;; amdgpu-corpus repo=ROCm/rccl kind=compiled arch=gfx90a opt=O3
	.text
	.amdgcn_target "amdgcn-amd-amdhsa--gfx90a"
	.amdhsa_code_object_version 6
	.p2align	2                               ; -- Begin function __ockl_fprintf_append_string_n
	.type	__ockl_fprintf_append_string_n,@function
__ockl_fprintf_append_string_n:         ; @__ockl_fprintf_append_string_n
; %bb.0:
	s_waitcnt vmcnt(0) expcnt(0) lgkmcnt(0)
	v_mov_b32_e32 v9, v3
	v_mov_b32_e32 v8, v2
	v_or_b32_e32 v2, 2, v0
	v_cmp_eq_u32_e32 vcc, 0, v6
	s_mov_b32 s22, 0
	v_cndmask_b32_e32 v0, v2, v0, vcc
	s_mov_b64 s[6:7], 0
	v_cmp_ne_u64_e32 vcc, 0, v[8:9]
	v_mbcnt_lo_u32_b32 v2, -1, 0
	s_and_saveexec_b64 s[4:5], vcc
	s_xor_b64 s[10:11], exec, s[4:5]
	s_cbranch_execz .LBB0_86
; %bb.1:
	s_load_dwordx2 s[12:13], s[8:9], 0x50
	v_and_b32_e32 v6, 2, v0
	v_mov_b32_e32 v31, 0
	v_and_b32_e32 v0, -3, v0
	v_mbcnt_hi_u32_b32 v32, -1, v2
	s_movk_i32 s23, 0xff1f
	v_mov_b32_e32 v12, 2
	v_mov_b32_e32 v13, 1
	s_branch .LBB0_3
.LBB0_2:                                ;   in Loop: Header=BB0_3 Depth=1
	s_or_b64 exec, exec, s[16:17]
	v_sub_co_u32_e32 v4, vcc, v4, v34
	v_subb_co_u32_e32 v5, vcc, v5, v35, vcc
	v_cmp_eq_u64_e32 vcc, 0, v[4:5]
	s_or_b64 s[6:7], vcc, s[6:7]
	v_add_co_u32_e32 v8, vcc, v8, v34
	v_addc_co_u32_e32 v9, vcc, v9, v35, vcc
	s_andn2_b64 exec, exec, s[6:7]
	s_cbranch_execz .LBB0_85
.LBB0_3:                                ; =>This Loop Header: Depth=1
                                        ;     Child Loop BB0_6 Depth 2
                                        ;     Child Loop BB0_14 Depth 2
	;; [unrolled: 1-line block ×11, first 2 shown]
	v_cmp_gt_u64_e32 vcc, 56, v[4:5]
	v_cndmask_b32_e32 v35, 0, v5, vcc
	v_cndmask_b32_e32 v34, 56, v4, vcc
	v_cmp_gt_u64_e32 vcc, 8, v[4:5]
                                        ; implicit-def: $vgpr2_vgpr3
                                        ; implicit-def: $sgpr14
	s_and_saveexec_b64 s[4:5], vcc
	s_xor_b64 s[4:5], exec, s[4:5]
	s_cbranch_execz .LBB0_9
; %bb.4:                                ;   in Loop: Header=BB0_3 Depth=1
	s_mov_b64 s[16:17], 0
	v_cmp_ne_u64_e32 vcc, 0, v[4:5]
	s_waitcnt vmcnt(0)
	v_pk_mov_b32 v[2:3], 0, 0
	s_and_saveexec_b64 s[14:15], vcc
	s_cbranch_execz .LBB0_8
; %bb.5:                                ;   in Loop: Header=BB0_3 Depth=1
	v_lshlrev_b64 v[10:11], 3, v[34:35]
	v_pk_mov_b32 v[2:3], 0, 0
	v_pk_mov_b32 v[14:15], v[8:9], v[8:9] op_sel:[0,1]
	s_mov_b64 s[18:19], 0
.LBB0_6:                                ;   Parent Loop BB0_3 Depth=1
                                        ; =>  This Inner Loop Header: Depth=2
	flat_load_ubyte v7, v[14:15]
	v_mov_b32_e32 v17, s22
	v_add_co_u32_e32 v14, vcc, 1, v14
	v_addc_co_u32_e32 v15, vcc, 0, v15, vcc
	s_waitcnt vmcnt(0) lgkmcnt(0)
	v_and_b32_e32 v16, 0xffff, v7
	v_lshlrev_b64 v[16:17], s18, v[16:17]
	s_add_u32 s18, s18, 8
	s_addc_u32 s19, s19, 0
	v_cmp_eq_u32_e32 vcc, s18, v10
	v_or_b32_e32 v3, v17, v3
	s_or_b64 s[16:17], vcc, s[16:17]
	v_or_b32_e32 v2, v16, v2
	s_andn2_b64 exec, exec, s[16:17]
	s_cbranch_execnz .LBB0_6
; %bb.7:                                ;   in Loop: Header=BB0_3 Depth=1
	s_or_b64 exec, exec, s[16:17]
.LBB0_8:                                ;   in Loop: Header=BB0_3 Depth=1
	s_or_b64 exec, exec, s[14:15]
	s_mov_b32 s14, 0
.LBB0_9:                                ;   in Loop: Header=BB0_3 Depth=1
	s_or_saveexec_b64 s[4:5], s[4:5]
	v_mov_b32_e32 v7, s14
	v_pk_mov_b32 v[10:11], v[8:9], v[8:9] op_sel:[0,1]
	s_xor_b64 exec, exec, s[4:5]
	s_cbranch_execz .LBB0_11
; %bb.10:                               ;   in Loop: Header=BB0_3 Depth=1
	s_waitcnt vmcnt(0)
	flat_load_dwordx2 v[2:3], v[8:9]
	v_add_u32_e32 v7, -8, v34
	s_waitcnt vmcnt(0) lgkmcnt(0)
	v_and_b32_e32 v10, 0xff, v3
	v_and_b32_e32 v11, 0xff00, v3
	;; [unrolled: 1-line block ×4, first 2 shown]
	v_or_b32_e32 v10, v10, v11
	v_or3_b32 v3, v10, v14, v3
	v_add_co_u32_e32 v10, vcc, 8, v8
	v_or3_b32 v2, v2, 0, 0
	v_addc_co_u32_e32 v11, vcc, 0, v9, vcc
.LBB0_11:                               ;   in Loop: Header=BB0_3 Depth=1
	s_or_b64 exec, exec, s[4:5]
	v_cmp_gt_u32_e32 vcc, 8, v7
                                        ; implicit-def: $vgpr14_vgpr15
                                        ; implicit-def: $sgpr14
	s_and_saveexec_b64 s[4:5], vcc
	s_xor_b64 s[4:5], exec, s[4:5]
	s_cbranch_execz .LBB0_17
; %bb.12:                               ;   in Loop: Header=BB0_3 Depth=1
	v_cmp_ne_u32_e32 vcc, 0, v7
	v_pk_mov_b32 v[14:15], 0, 0
	s_and_saveexec_b64 s[14:15], vcc
	s_cbranch_execz .LBB0_16
; %bb.13:                               ;   in Loop: Header=BB0_3 Depth=1
	s_mov_b64 s[16:17], 0
	v_pk_mov_b32 v[14:15], 0, 0
	s_mov_b64 s[18:19], 0
	s_mov_b64 s[20:21], 0
.LBB0_14:                               ;   Parent Loop BB0_3 Depth=1
                                        ; =>  This Inner Loop Header: Depth=2
	v_mov_b32_e32 v17, s21
	v_add_co_u32_e32 v16, vcc, s20, v10
	v_addc_co_u32_e32 v17, vcc, v11, v17, vcc
	flat_load_ubyte v16, v[16:17]
	s_add_u32 s20, s20, 1
	v_mov_b32_e32 v17, s22
	s_addc_u32 s21, s21, 0
	v_cmp_eq_u32_e32 vcc, s20, v7
	s_waitcnt vmcnt(0) lgkmcnt(0)
	v_and_b32_e32 v16, 0xffff, v16
	v_lshlrev_b64 v[16:17], s18, v[16:17]
	s_add_u32 s18, s18, 8
	s_addc_u32 s19, s19, 0
	v_or_b32_e32 v15, v17, v15
	s_or_b64 s[16:17], vcc, s[16:17]
	v_or_b32_e32 v14, v16, v14
	s_andn2_b64 exec, exec, s[16:17]
	s_cbranch_execnz .LBB0_14
; %bb.15:                               ;   in Loop: Header=BB0_3 Depth=1
	s_or_b64 exec, exec, s[16:17]
.LBB0_16:                               ;   in Loop: Header=BB0_3 Depth=1
	s_or_b64 exec, exec, s[14:15]
	s_mov_b32 s14, 0
                                        ; implicit-def: $vgpr7
.LBB0_17:                               ;   in Loop: Header=BB0_3 Depth=1
	s_or_saveexec_b64 s[4:5], s[4:5]
	v_mov_b32_e32 v18, s14
	s_xor_b64 exec, exec, s[4:5]
	s_cbranch_execz .LBB0_19
; %bb.18:                               ;   in Loop: Header=BB0_3 Depth=1
	flat_load_dwordx2 v[14:15], v[10:11]
	v_add_u32_e32 v18, -8, v7
	v_add_co_u32_e32 v10, vcc, 8, v10
	v_addc_co_u32_e32 v11, vcc, 0, v11, vcc
	s_waitcnt vmcnt(0) lgkmcnt(0)
	v_and_b32_e32 v7, 0xff, v15
	v_and_b32_e32 v16, 0xff00, v15
	;; [unrolled: 1-line block ×4, first 2 shown]
	v_or_b32_e32 v7, v7, v16
	v_or3_b32 v14, v14, 0, 0
	v_or3_b32 v15, v7, v17, v15
.LBB0_19:                               ;   in Loop: Header=BB0_3 Depth=1
	s_or_b64 exec, exec, s[4:5]
	v_cmp_gt_u32_e32 vcc, 8, v18
                                        ; implicit-def: $sgpr14
	s_and_saveexec_b64 s[4:5], vcc
	s_xor_b64 s[4:5], exec, s[4:5]
	s_cbranch_execz .LBB0_25
; %bb.20:                               ;   in Loop: Header=BB0_3 Depth=1
	v_cmp_ne_u32_e32 vcc, 0, v18
	v_pk_mov_b32 v[16:17], 0, 0
	s_and_saveexec_b64 s[14:15], vcc
	s_cbranch_execz .LBB0_24
; %bb.21:                               ;   in Loop: Header=BB0_3 Depth=1
	s_mov_b64 s[16:17], 0
	v_pk_mov_b32 v[16:17], 0, 0
	s_mov_b64 s[18:19], 0
	s_mov_b64 s[20:21], 0
.LBB0_22:                               ;   Parent Loop BB0_3 Depth=1
                                        ; =>  This Inner Loop Header: Depth=2
	v_mov_b32_e32 v7, s21
	v_add_co_u32_e32 v20, vcc, s20, v10
	v_addc_co_u32_e32 v21, vcc, v11, v7, vcc
	flat_load_ubyte v7, v[20:21]
	s_add_u32 s20, s20, 1
	v_mov_b32_e32 v21, s22
	s_addc_u32 s21, s21, 0
	v_cmp_eq_u32_e32 vcc, s20, v18
	s_waitcnt vmcnt(0) lgkmcnt(0)
	v_and_b32_e32 v20, 0xffff, v7
	v_lshlrev_b64 v[20:21], s18, v[20:21]
	s_add_u32 s18, s18, 8
	s_addc_u32 s19, s19, 0
	v_or_b32_e32 v17, v21, v17
	s_or_b64 s[16:17], vcc, s[16:17]
	v_or_b32_e32 v16, v20, v16
	s_andn2_b64 exec, exec, s[16:17]
	s_cbranch_execnz .LBB0_22
; %bb.23:                               ;   in Loop: Header=BB0_3 Depth=1
	s_or_b64 exec, exec, s[16:17]
.LBB0_24:                               ;   in Loop: Header=BB0_3 Depth=1
	s_or_b64 exec, exec, s[14:15]
	s_mov_b32 s14, 0
                                        ; implicit-def: $vgpr18
.LBB0_25:                               ;   in Loop: Header=BB0_3 Depth=1
	s_or_saveexec_b64 s[4:5], s[4:5]
	v_mov_b32_e32 v7, s14
	s_xor_b64 exec, exec, s[4:5]
	s_cbranch_execz .LBB0_27
; %bb.26:                               ;   in Loop: Header=BB0_3 Depth=1
	flat_load_dwordx2 v[16:17], v[10:11]
	v_add_u32_e32 v7, -8, v18
	v_add_co_u32_e32 v10, vcc, 8, v10
	v_addc_co_u32_e32 v11, vcc, 0, v11, vcc
	s_waitcnt vmcnt(0) lgkmcnt(0)
	v_and_b32_e32 v18, 0xff, v17
	v_and_b32_e32 v19, 0xff00, v17
	;; [unrolled: 1-line block ×4, first 2 shown]
	v_or_b32_e32 v18, v18, v19
	v_or3_b32 v16, v16, 0, 0
	v_or3_b32 v17, v18, v20, v17
.LBB0_27:                               ;   in Loop: Header=BB0_3 Depth=1
	s_or_b64 exec, exec, s[4:5]
	v_cmp_gt_u32_e32 vcc, 8, v7
                                        ; implicit-def: $vgpr18_vgpr19
                                        ; implicit-def: $sgpr14
	s_and_saveexec_b64 s[4:5], vcc
	s_xor_b64 s[4:5], exec, s[4:5]
	s_cbranch_execz .LBB0_33
; %bb.28:                               ;   in Loop: Header=BB0_3 Depth=1
	v_cmp_ne_u32_e32 vcc, 0, v7
	v_pk_mov_b32 v[18:19], 0, 0
	s_and_saveexec_b64 s[14:15], vcc
	s_cbranch_execz .LBB0_32
; %bb.29:                               ;   in Loop: Header=BB0_3 Depth=1
	s_mov_b64 s[16:17], 0
	v_pk_mov_b32 v[18:19], 0, 0
	s_mov_b64 s[18:19], 0
	s_mov_b64 s[20:21], 0
.LBB0_30:                               ;   Parent Loop BB0_3 Depth=1
                                        ; =>  This Inner Loop Header: Depth=2
	v_mov_b32_e32 v21, s21
	v_add_co_u32_e32 v20, vcc, s20, v10
	v_addc_co_u32_e32 v21, vcc, v11, v21, vcc
	flat_load_ubyte v20, v[20:21]
	s_add_u32 s20, s20, 1
	v_mov_b32_e32 v21, s22
	s_addc_u32 s21, s21, 0
	v_cmp_eq_u32_e32 vcc, s20, v7
	s_waitcnt vmcnt(0) lgkmcnt(0)
	v_and_b32_e32 v20, 0xffff, v20
	v_lshlrev_b64 v[20:21], s18, v[20:21]
	s_add_u32 s18, s18, 8
	s_addc_u32 s19, s19, 0
	v_or_b32_e32 v19, v21, v19
	s_or_b64 s[16:17], vcc, s[16:17]
	v_or_b32_e32 v18, v20, v18
	s_andn2_b64 exec, exec, s[16:17]
	s_cbranch_execnz .LBB0_30
; %bb.31:                               ;   in Loop: Header=BB0_3 Depth=1
	s_or_b64 exec, exec, s[16:17]
.LBB0_32:                               ;   in Loop: Header=BB0_3 Depth=1
	s_or_b64 exec, exec, s[14:15]
	s_mov_b32 s14, 0
                                        ; implicit-def: $vgpr7
.LBB0_33:                               ;   in Loop: Header=BB0_3 Depth=1
	s_or_saveexec_b64 s[4:5], s[4:5]
	v_mov_b32_e32 v22, s14
	s_xor_b64 exec, exec, s[4:5]
	s_cbranch_execz .LBB0_35
; %bb.34:                               ;   in Loop: Header=BB0_3 Depth=1
	flat_load_dwordx2 v[18:19], v[10:11]
	v_add_u32_e32 v22, -8, v7
	v_add_co_u32_e32 v10, vcc, 8, v10
	v_addc_co_u32_e32 v11, vcc, 0, v11, vcc
	s_waitcnt vmcnt(0) lgkmcnt(0)
	v_and_b32_e32 v7, 0xff, v19
	v_and_b32_e32 v20, 0xff00, v19
	;; [unrolled: 1-line block ×4, first 2 shown]
	v_or_b32_e32 v7, v7, v20
	v_or3_b32 v18, v18, 0, 0
	v_or3_b32 v19, v7, v21, v19
.LBB0_35:                               ;   in Loop: Header=BB0_3 Depth=1
	s_or_b64 exec, exec, s[4:5]
	v_cmp_gt_u32_e32 vcc, 8, v22
                                        ; implicit-def: $sgpr14
	s_and_saveexec_b64 s[4:5], vcc
	s_xor_b64 s[4:5], exec, s[4:5]
	s_cbranch_execz .LBB0_41
; %bb.36:                               ;   in Loop: Header=BB0_3 Depth=1
	v_cmp_ne_u32_e32 vcc, 0, v22
	v_pk_mov_b32 v[20:21], 0, 0
	s_and_saveexec_b64 s[14:15], vcc
	s_cbranch_execz .LBB0_40
; %bb.37:                               ;   in Loop: Header=BB0_3 Depth=1
	s_mov_b64 s[16:17], 0
	v_pk_mov_b32 v[20:21], 0, 0
	s_mov_b64 s[18:19], 0
	s_mov_b64 s[20:21], 0
.LBB0_38:                               ;   Parent Loop BB0_3 Depth=1
                                        ; =>  This Inner Loop Header: Depth=2
	v_mov_b32_e32 v7, s21
	v_add_co_u32_e32 v24, vcc, s20, v10
	v_addc_co_u32_e32 v25, vcc, v11, v7, vcc
	flat_load_ubyte v7, v[24:25]
	s_add_u32 s20, s20, 1
	v_mov_b32_e32 v25, s22
	s_addc_u32 s21, s21, 0
	v_cmp_eq_u32_e32 vcc, s20, v22
	s_waitcnt vmcnt(0) lgkmcnt(0)
	v_and_b32_e32 v24, 0xffff, v7
	v_lshlrev_b64 v[24:25], s18, v[24:25]
	s_add_u32 s18, s18, 8
	s_addc_u32 s19, s19, 0
	v_or_b32_e32 v21, v25, v21
	s_or_b64 s[16:17], vcc, s[16:17]
	v_or_b32_e32 v20, v24, v20
	s_andn2_b64 exec, exec, s[16:17]
	s_cbranch_execnz .LBB0_38
; %bb.39:                               ;   in Loop: Header=BB0_3 Depth=1
	s_or_b64 exec, exec, s[16:17]
.LBB0_40:                               ;   in Loop: Header=BB0_3 Depth=1
	s_or_b64 exec, exec, s[14:15]
	s_mov_b32 s14, 0
                                        ; implicit-def: $vgpr22
.LBB0_41:                               ;   in Loop: Header=BB0_3 Depth=1
	s_or_saveexec_b64 s[4:5], s[4:5]
	v_mov_b32_e32 v7, s14
	s_xor_b64 exec, exec, s[4:5]
	s_cbranch_execz .LBB0_43
; %bb.42:                               ;   in Loop: Header=BB0_3 Depth=1
	flat_load_dwordx2 v[20:21], v[10:11]
	v_add_u32_e32 v7, -8, v22
	v_add_co_u32_e32 v10, vcc, 8, v10
	v_addc_co_u32_e32 v11, vcc, 0, v11, vcc
	s_waitcnt vmcnt(0) lgkmcnt(0)
	v_and_b32_e32 v22, 0xff, v21
	v_and_b32_e32 v23, 0xff00, v21
	;; [unrolled: 1-line block ×4, first 2 shown]
	v_or_b32_e32 v22, v22, v23
	v_or3_b32 v20, v20, 0, 0
	v_or3_b32 v21, v22, v24, v21
.LBB0_43:                               ;   in Loop: Header=BB0_3 Depth=1
	s_or_b64 exec, exec, s[4:5]
	v_cmp_gt_u32_e32 vcc, 8, v7
                                        ; implicit-def: $vgpr22_vgpr23
                                        ; implicit-def: $sgpr14
	s_and_saveexec_b64 s[4:5], vcc
	s_xor_b64 s[4:5], exec, s[4:5]
	s_cbranch_execz .LBB0_49
; %bb.44:                               ;   in Loop: Header=BB0_3 Depth=1
	v_cmp_ne_u32_e32 vcc, 0, v7
	v_pk_mov_b32 v[22:23], 0, 0
	s_and_saveexec_b64 s[14:15], vcc
	s_cbranch_execz .LBB0_48
; %bb.45:                               ;   in Loop: Header=BB0_3 Depth=1
	s_mov_b64 s[16:17], 0
	v_pk_mov_b32 v[22:23], 0, 0
	s_mov_b64 s[18:19], 0
	s_mov_b64 s[20:21], 0
.LBB0_46:                               ;   Parent Loop BB0_3 Depth=1
                                        ; =>  This Inner Loop Header: Depth=2
	v_mov_b32_e32 v25, s21
	v_add_co_u32_e32 v24, vcc, s20, v10
	v_addc_co_u32_e32 v25, vcc, v11, v25, vcc
	flat_load_ubyte v24, v[24:25]
	s_add_u32 s20, s20, 1
	v_mov_b32_e32 v25, s22
	s_addc_u32 s21, s21, 0
	v_cmp_eq_u32_e32 vcc, s20, v7
	s_waitcnt vmcnt(0) lgkmcnt(0)
	v_and_b32_e32 v24, 0xffff, v24
	v_lshlrev_b64 v[24:25], s18, v[24:25]
	s_add_u32 s18, s18, 8
	s_addc_u32 s19, s19, 0
	v_or_b32_e32 v23, v25, v23
	s_or_b64 s[16:17], vcc, s[16:17]
	v_or_b32_e32 v22, v24, v22
	s_andn2_b64 exec, exec, s[16:17]
	s_cbranch_execnz .LBB0_46
; %bb.47:                               ;   in Loop: Header=BB0_3 Depth=1
	s_or_b64 exec, exec, s[16:17]
.LBB0_48:                               ;   in Loop: Header=BB0_3 Depth=1
	s_or_b64 exec, exec, s[14:15]
	s_mov_b32 s14, 0
                                        ; implicit-def: $vgpr7
.LBB0_49:                               ;   in Loop: Header=BB0_3 Depth=1
	s_or_saveexec_b64 s[4:5], s[4:5]
	v_mov_b32_e32 v26, s14
	s_xor_b64 exec, exec, s[4:5]
	s_cbranch_execz .LBB0_51
; %bb.50:                               ;   in Loop: Header=BB0_3 Depth=1
	flat_load_dwordx2 v[22:23], v[10:11]
	v_add_u32_e32 v26, -8, v7
	v_add_co_u32_e32 v10, vcc, 8, v10
	v_addc_co_u32_e32 v11, vcc, 0, v11, vcc
	s_waitcnt vmcnt(0) lgkmcnt(0)
	v_and_b32_e32 v7, 0xff, v23
	v_and_b32_e32 v24, 0xff00, v23
	v_and_b32_e32 v25, 0xff0000, v23
	v_and_b32_e32 v23, 0xff000000, v23
	v_or_b32_e32 v7, v7, v24
	v_or3_b32 v22, v22, 0, 0
	v_or3_b32 v23, v7, v25, v23
.LBB0_51:                               ;   in Loop: Header=BB0_3 Depth=1
	s_or_b64 exec, exec, s[4:5]
	v_cmp_gt_u32_e32 vcc, 8, v26
	s_and_saveexec_b64 s[4:5], vcc
	s_xor_b64 s[4:5], exec, s[4:5]
	s_cbranch_execz .LBB0_57
; %bb.52:                               ;   in Loop: Header=BB0_3 Depth=1
	v_cmp_ne_u32_e32 vcc, 0, v26
	v_pk_mov_b32 v[24:25], 0, 0
	s_and_saveexec_b64 s[14:15], vcc
	s_cbranch_execz .LBB0_56
; %bb.53:                               ;   in Loop: Header=BB0_3 Depth=1
	s_mov_b64 s[16:17], 0
	v_pk_mov_b32 v[24:25], 0, 0
	s_mov_b64 s[18:19], 0
.LBB0_54:                               ;   Parent Loop BB0_3 Depth=1
                                        ; =>  This Inner Loop Header: Depth=2
	flat_load_ubyte v7, v[10:11]
	v_mov_b32_e32 v29, s22
	v_add_co_u32_e32 v10, vcc, 1, v10
	v_add_u32_e32 v26, -1, v26
	v_addc_co_u32_e32 v11, vcc, 0, v11, vcc
	v_cmp_eq_u32_e32 vcc, 0, v26
	s_waitcnt vmcnt(0) lgkmcnt(0)
	v_and_b32_e32 v28, 0xffff, v7
	v_lshlrev_b64 v[28:29], s18, v[28:29]
	s_add_u32 s18, s18, 8
	s_addc_u32 s19, s19, 0
	v_or_b32_e32 v25, v29, v25
	s_or_b64 s[16:17], vcc, s[16:17]
	v_or_b32_e32 v24, v28, v24
	s_andn2_b64 exec, exec, s[16:17]
	s_cbranch_execnz .LBB0_54
; %bb.55:                               ;   in Loop: Header=BB0_3 Depth=1
	s_or_b64 exec, exec, s[16:17]
.LBB0_56:                               ;   in Loop: Header=BB0_3 Depth=1
	s_or_b64 exec, exec, s[14:15]
                                        ; implicit-def: $vgpr10_vgpr11
.LBB0_57:                               ;   in Loop: Header=BB0_3 Depth=1
	s_andn2_saveexec_b64 s[4:5], s[4:5]
	s_cbranch_execz .LBB0_59
; %bb.58:                               ;   in Loop: Header=BB0_3 Depth=1
	flat_load_dwordx2 v[10:11], v[10:11]
	s_waitcnt vmcnt(0) lgkmcnt(0)
	v_and_b32_e32 v7, 0xff, v11
	v_and_b32_e32 v24, 0xff00, v11
	;; [unrolled: 1-line block ×4, first 2 shown]
	v_or_b32_e32 v7, v7, v24
	v_or3_b32 v25, v7, v25, v11
	v_or3_b32 v24, v10, 0, 0
.LBB0_59:                               ;   in Loop: Header=BB0_3 Depth=1
	s_or_b64 exec, exec, s[4:5]
	v_readfirstlane_b32 s4, v32
	v_cmp_eq_u32_e64 s[4:5], s4, v32
	v_pk_mov_b32 v[10:11], 0, 0
	s_and_saveexec_b64 s[14:15], s[4:5]
	s_cbranch_execz .LBB0_65
; %bb.60:                               ;   in Loop: Header=BB0_3 Depth=1
	s_waitcnt lgkmcnt(0)
	global_load_dwordx2 v[28:29], v31, s[12:13] offset:24 glc
	s_waitcnt vmcnt(0)
	buffer_invl2
	buffer_wbinvl1_vol
	global_load_dwordx2 v[10:11], v31, s[12:13] offset:40
	global_load_dwordx2 v[26:27], v31, s[12:13]
	s_waitcnt vmcnt(1)
	v_and_b32_e32 v7, v10, v28
	v_and_b32_e32 v10, v11, v29
	v_mul_lo_u32 v10, v10, 24
	v_mul_hi_u32 v11, v7, 24
	v_mul_lo_u32 v7, v7, 24
	v_add_u32_e32 v11, v11, v10
	s_waitcnt vmcnt(0)
	v_add_co_u32_e32 v10, vcc, v26, v7
	v_addc_co_u32_e32 v11, vcc, v27, v11, vcc
	global_load_dwordx2 v[26:27], v[10:11], off glc
	s_waitcnt vmcnt(0)
	global_atomic_cmpswap_x2 v[10:11], v31, v[26:29], s[12:13] offset:24 glc
	s_waitcnt vmcnt(0)
	buffer_invl2
	buffer_wbinvl1_vol
	v_cmp_ne_u64_e32 vcc, v[10:11], v[28:29]
	s_and_saveexec_b64 s[16:17], vcc
	s_cbranch_execz .LBB0_64
; %bb.61:                               ;   in Loop: Header=BB0_3 Depth=1
	s_mov_b64 s[18:19], 0
.LBB0_62:                               ;   Parent Loop BB0_3 Depth=1
                                        ; =>  This Inner Loop Header: Depth=2
	s_sleep 1
	global_load_dwordx2 v[26:27], v31, s[12:13] offset:40
	global_load_dwordx2 v[36:37], v31, s[12:13]
	v_pk_mov_b32 v[28:29], v[10:11], v[10:11] op_sel:[0,1]
	s_waitcnt vmcnt(1)
	v_and_b32_e32 v10, v26, v28
	s_waitcnt vmcnt(0)
	v_mad_u64_u32 v[10:11], s[20:21], v10, 24, v[36:37]
	v_and_b32_e32 v7, v27, v29
	v_mov_b32_e32 v26, v11
	v_mad_u64_u32 v[26:27], s[20:21], v7, 24, v[26:27]
	v_mov_b32_e32 v11, v26
	global_load_dwordx2 v[26:27], v[10:11], off glc
	s_waitcnt vmcnt(0)
	global_atomic_cmpswap_x2 v[10:11], v31, v[26:29], s[12:13] offset:24 glc
	s_waitcnt vmcnt(0)
	buffer_invl2
	buffer_wbinvl1_vol
	v_cmp_eq_u64_e32 vcc, v[10:11], v[28:29]
	s_or_b64 s[18:19], vcc, s[18:19]
	s_andn2_b64 exec, exec, s[18:19]
	s_cbranch_execnz .LBB0_62
; %bb.63:                               ;   in Loop: Header=BB0_3 Depth=1
	s_or_b64 exec, exec, s[18:19]
.LBB0_64:                               ;   in Loop: Header=BB0_3 Depth=1
	s_or_b64 exec, exec, s[16:17]
.LBB0_65:                               ;   in Loop: Header=BB0_3 Depth=1
	s_or_b64 exec, exec, s[14:15]
	s_waitcnt lgkmcnt(0)
	global_load_dwordx2 v[36:37], v31, s[12:13] offset:40
	global_load_dwordx4 v[26:29], v31, s[12:13]
	v_readfirstlane_b32 s14, v10
	v_readfirstlane_b32 s15, v11
	s_mov_b64 s[16:17], exec
	s_waitcnt vmcnt(1)
	v_readfirstlane_b32 s18, v36
	v_readfirstlane_b32 s19, v37
	s_and_b64 s[18:19], s[14:15], s[18:19]
	s_mul_i32 s20, s19, 24
	s_mul_hi_u32 s21, s18, 24
	s_mul_i32 s24, s18, 24
	s_add_i32 s20, s21, s20
	v_mov_b32_e32 v7, s20
	s_waitcnt vmcnt(0)
	v_add_co_u32_e32 v36, vcc, s24, v26
	v_addc_co_u32_e32 v37, vcc, v27, v7, vcc
	s_and_saveexec_b64 s[20:21], s[4:5]
	s_cbranch_execz .LBB0_67
; %bb.66:                               ;   in Loop: Header=BB0_3 Depth=1
	v_pk_mov_b32 v[10:11], s[16:17], s[16:17] op_sel:[0,1]
	global_store_dwordx4 v[36:37], v[10:13], off offset:8
.LBB0_67:                               ;   in Loop: Header=BB0_3 Depth=1
	s_or_b64 exec, exec, s[20:21]
	s_lshl_b64 s[16:17], s[18:19], 12
	v_mov_b32_e32 v7, s17
	v_add_co_u32_e32 v10, vcc, s16, v28
	v_addc_co_u32_e32 v7, vcc, v29, v7, vcc
	v_or_b32_e32 v11, 0, v1
	v_cmp_lt_u64_e32 vcc, 56, v[4:5]
	v_or_b32_e32 v28, v0, v6
	v_cndmask_b32_e32 v1, v11, v1, vcc
	v_lshl_add_u32 v11, v34, 2, 28
	v_cndmask_b32_e32 v0, v28, v0, vcc
	v_and_b32_e32 v11, 0x1e0, v11
	v_and_or_b32 v0, v0, s23, v11
	v_lshlrev_b32_e32 v11, 6, v32
	v_readfirstlane_b32 s16, v10
	v_readfirstlane_b32 s17, v7
	s_nop 4
	global_store_dwordx4 v11, v[0:3], s[16:17]
	global_store_dwordx4 v11, v[14:17], s[16:17] offset:16
	global_store_dwordx4 v11, v[18:21], s[16:17] offset:32
	;; [unrolled: 1-line block ×3, first 2 shown]
	s_and_saveexec_b64 s[16:17], s[4:5]
	s_cbranch_execz .LBB0_75
; %bb.68:                               ;   in Loop: Header=BB0_3 Depth=1
	global_load_dwordx2 v[18:19], v31, s[12:13] offset:32 glc
	global_load_dwordx2 v[0:1], v31, s[12:13] offset:40
	v_mov_b32_e32 v16, s14
	v_mov_b32_e32 v17, s15
	s_waitcnt vmcnt(0)
	v_readfirstlane_b32 s18, v0
	v_readfirstlane_b32 s19, v1
	s_and_b64 s[18:19], s[18:19], s[14:15]
	s_mul_i32 s19, s19, 24
	s_mul_hi_u32 s20, s18, 24
	s_mul_i32 s18, s18, 24
	s_add_i32 s19, s20, s19
	v_mov_b32_e32 v0, s19
	v_add_co_u32_e32 v14, vcc, s18, v26
	v_addc_co_u32_e32 v15, vcc, v27, v0, vcc
	global_store_dwordx2 v[14:15], v[18:19], off
	buffer_wbl2
	s_waitcnt vmcnt(0)
	global_atomic_cmpswap_x2 v[2:3], v31, v[16:19], s[12:13] offset:32 glc
	s_waitcnt vmcnt(0)
	v_cmp_ne_u64_e32 vcc, v[2:3], v[18:19]
	s_and_saveexec_b64 s[18:19], vcc
	s_cbranch_execz .LBB0_71
; %bb.69:                               ;   in Loop: Header=BB0_3 Depth=1
	s_mov_b64 s[20:21], 0
.LBB0_70:                               ;   Parent Loop BB0_3 Depth=1
                                        ; =>  This Inner Loop Header: Depth=2
	s_sleep 1
	global_store_dwordx2 v[14:15], v[2:3], off
	v_mov_b32_e32 v0, s14
	v_mov_b32_e32 v1, s15
	buffer_wbl2
	s_waitcnt vmcnt(0)
	global_atomic_cmpswap_x2 v[0:1], v31, v[0:3], s[12:13] offset:32 glc
	s_waitcnt vmcnt(0)
	v_cmp_eq_u64_e32 vcc, v[0:1], v[2:3]
	s_or_b64 s[20:21], vcc, s[20:21]
	v_pk_mov_b32 v[2:3], v[0:1], v[0:1] op_sel:[0,1]
	s_andn2_b64 exec, exec, s[20:21]
	s_cbranch_execnz .LBB0_70
.LBB0_71:                               ;   in Loop: Header=BB0_3 Depth=1
	s_or_b64 exec, exec, s[18:19]
	global_load_dwordx2 v[0:1], v31, s[12:13] offset:16
	s_mov_b64 s[20:21], exec
	v_mbcnt_lo_u32_b32 v2, s20, 0
	v_mbcnt_hi_u32_b32 v2, s21, v2
	v_cmp_eq_u32_e32 vcc, 0, v2
	s_and_saveexec_b64 s[18:19], vcc
	s_cbranch_execz .LBB0_73
; %bb.72:                               ;   in Loop: Header=BB0_3 Depth=1
	s_bcnt1_i32_b64 s20, s[20:21]
	v_mov_b32_e32 v30, s20
	buffer_wbl2
	s_waitcnt vmcnt(0)
	global_atomic_add_x2 v[0:1], v[30:31], off offset:8
.LBB0_73:                               ;   in Loop: Header=BB0_3 Depth=1
	s_or_b64 exec, exec, s[18:19]
	s_waitcnt vmcnt(0)
	global_load_dwordx2 v[2:3], v[0:1], off offset:16
	s_waitcnt vmcnt(0)
	v_cmp_eq_u64_e32 vcc, 0, v[2:3]
	s_cbranch_vccnz .LBB0_75
; %bb.74:                               ;   in Loop: Header=BB0_3 Depth=1
	global_load_dword v30, v[0:1], off offset:24
	s_waitcnt vmcnt(0)
	v_and_b32_e32 v0, 0xffffff, v30
	v_readfirstlane_b32 m0, v0
	buffer_wbl2
	global_store_dwordx2 v[2:3], v[30:31], off
	s_sendmsg sendmsg(MSG_INTERRUPT)
.LBB0_75:                               ;   in Loop: Header=BB0_3 Depth=1
	s_or_b64 exec, exec, s[16:17]
	v_add_co_u32_e32 v0, vcc, v10, v11
	v_addc_co_u32_e32 v1, vcc, 0, v7, vcc
	s_branch .LBB0_79
.LBB0_76:                               ;   in Loop: Header=BB0_79 Depth=2
	s_or_b64 exec, exec, s[16:17]
	v_readfirstlane_b32 s16, v2
	s_cmp_eq_u32 s16, 0
	s_cbranch_scc1 .LBB0_78
; %bb.77:                               ;   in Loop: Header=BB0_79 Depth=2
	s_sleep 1
	s_cbranch_execnz .LBB0_79
	s_branch .LBB0_81
.LBB0_78:                               ;   in Loop: Header=BB0_3 Depth=1
	s_branch .LBB0_81
.LBB0_79:                               ;   Parent Loop BB0_3 Depth=1
                                        ; =>  This Inner Loop Header: Depth=2
	v_mov_b32_e32 v2, 1
	s_and_saveexec_b64 s[16:17], s[4:5]
	s_cbranch_execz .LBB0_76
; %bb.80:                               ;   in Loop: Header=BB0_79 Depth=2
	global_load_dword v2, v[36:37], off offset:20 glc
	s_waitcnt vmcnt(0)
	buffer_invl2
	buffer_wbinvl1_vol
	v_and_b32_e32 v2, 1, v2
	s_branch .LBB0_76
.LBB0_81:                               ;   in Loop: Header=BB0_3 Depth=1
	global_load_dwordx4 v[0:3], v[0:1], off
	s_and_saveexec_b64 s[16:17], s[4:5]
	s_cbranch_execz .LBB0_2
; %bb.82:                               ;   in Loop: Header=BB0_3 Depth=1
	global_load_dwordx2 v[2:3], v31, s[12:13] offset:40
	global_load_dwordx2 v[10:11], v31, s[12:13] offset:24 glc
	global_load_dwordx2 v[18:19], v31, s[12:13]
	v_mov_b32_e32 v7, s15
	s_waitcnt vmcnt(2)
	v_add_co_u32_e32 v17, vcc, 1, v2
	v_addc_co_u32_e32 v20, vcc, 0, v3, vcc
	v_add_co_u32_e32 v14, vcc, s14, v17
	v_addc_co_u32_e32 v15, vcc, v20, v7, vcc
	v_cmp_eq_u64_e32 vcc, 0, v[14:15]
	v_cndmask_b32_e32 v15, v15, v20, vcc
	v_cndmask_b32_e32 v14, v14, v17, vcc
	v_and_b32_e32 v3, v15, v3
	v_and_b32_e32 v2, v14, v2
	v_mul_lo_u32 v3, v3, 24
	v_mul_hi_u32 v7, v2, 24
	v_mul_lo_u32 v2, v2, 24
	v_add_u32_e32 v3, v7, v3
	s_waitcnt vmcnt(0)
	v_add_co_u32_e32 v2, vcc, v18, v2
	v_addc_co_u32_e32 v3, vcc, v19, v3, vcc
	v_mov_b32_e32 v16, v10
	global_store_dwordx2 v[2:3], v[10:11], off
	v_mov_b32_e32 v17, v11
	buffer_wbl2
	s_waitcnt vmcnt(0)
	global_atomic_cmpswap_x2 v[16:17], v31, v[14:17], s[12:13] offset:24 glc
	s_waitcnt vmcnt(0)
	v_cmp_ne_u64_e32 vcc, v[16:17], v[10:11]
	s_and_b64 exec, exec, vcc
	s_cbranch_execz .LBB0_2
; %bb.83:                               ;   in Loop: Header=BB0_3 Depth=1
	s_mov_b64 s[4:5], 0
.LBB0_84:                               ;   Parent Loop BB0_3 Depth=1
                                        ; =>  This Inner Loop Header: Depth=2
	s_sleep 1
	global_store_dwordx2 v[2:3], v[16:17], off
	buffer_wbl2
	s_waitcnt vmcnt(0)
	global_atomic_cmpswap_x2 v[10:11], v31, v[14:17], s[12:13] offset:24 glc
	s_waitcnt vmcnt(0)
	v_cmp_eq_u64_e32 vcc, v[10:11], v[16:17]
	s_or_b64 s[4:5], vcc, s[4:5]
	v_pk_mov_b32 v[16:17], v[10:11], v[10:11] op_sel:[0,1]
	s_andn2_b64 exec, exec, s[4:5]
	s_cbranch_execnz .LBB0_84
	s_branch .LBB0_2
.LBB0_85:
	s_or_b64 exec, exec, s[6:7]
                                        ; implicit-def: $vgpr0
                                        ; implicit-def: $vgpr1
                                        ; implicit-def: $vgpr2
.LBB0_86:
	s_andn2_saveexec_b64 s[6:7], s[10:11]
	s_cbranch_execz .LBB0_109
; %bb.87:
	s_load_dwordx2 s[8:9], s[8:9], 0x50
	s_waitcnt vmcnt(0)
	v_mbcnt_hi_u32_b32 v3, -1, v2
	v_readfirstlane_b32 s4, v3
	v_cmp_eq_u32_e64 s[4:5], s4, v3
	v_pk_mov_b32 v[8:9], 0, 0
	s_and_saveexec_b64 s[10:11], s[4:5]
	s_cbranch_execz .LBB0_93
; %bb.88:
	v_mov_b32_e32 v2, 0
	s_waitcnt lgkmcnt(0)
	global_load_dwordx2 v[6:7], v2, s[8:9] offset:24 glc
	s_waitcnt vmcnt(0)
	buffer_invl2
	buffer_wbinvl1_vol
	global_load_dwordx2 v[4:5], v2, s[8:9] offset:40
	global_load_dwordx2 v[8:9], v2, s[8:9]
	s_waitcnt vmcnt(1)
	v_and_b32_e32 v4, v4, v6
	v_and_b32_e32 v5, v5, v7
	v_mul_lo_u32 v5, v5, 24
	v_mul_hi_u32 v10, v4, 24
	v_mul_lo_u32 v4, v4, 24
	v_add_u32_e32 v5, v10, v5
	s_waitcnt vmcnt(0)
	v_add_co_u32_e32 v4, vcc, v8, v4
	v_addc_co_u32_e32 v5, vcc, v9, v5, vcc
	global_load_dwordx2 v[4:5], v[4:5], off glc
	s_waitcnt vmcnt(0)
	global_atomic_cmpswap_x2 v[8:9], v2, v[4:7], s[8:9] offset:24 glc
	s_waitcnt vmcnt(0)
	buffer_invl2
	buffer_wbinvl1_vol
	v_cmp_ne_u64_e32 vcc, v[8:9], v[6:7]
	s_and_saveexec_b64 s[12:13], vcc
	s_cbranch_execz .LBB0_92
; %bb.89:
	s_mov_b64 s[14:15], 0
.LBB0_90:                               ; =>This Inner Loop Header: Depth=1
	s_sleep 1
	global_load_dwordx2 v[4:5], v2, s[8:9] offset:40
	global_load_dwordx2 v[10:11], v2, s[8:9]
	v_pk_mov_b32 v[6:7], v[8:9], v[8:9] op_sel:[0,1]
	s_waitcnt vmcnt(1)
	v_and_b32_e32 v4, v4, v6
	v_and_b32_e32 v9, v5, v7
	s_waitcnt vmcnt(0)
	v_mad_u64_u32 v[4:5], s[16:17], v4, 24, v[10:11]
	v_mov_b32_e32 v8, v5
	v_mad_u64_u32 v[8:9], s[16:17], v9, 24, v[8:9]
	v_mov_b32_e32 v5, v8
	global_load_dwordx2 v[4:5], v[4:5], off glc
	s_waitcnt vmcnt(0)
	global_atomic_cmpswap_x2 v[8:9], v2, v[4:7], s[8:9] offset:24 glc
	s_waitcnt vmcnt(0)
	buffer_invl2
	buffer_wbinvl1_vol
	v_cmp_eq_u64_e32 vcc, v[8:9], v[6:7]
	s_or_b64 s[14:15], vcc, s[14:15]
	s_andn2_b64 exec, exec, s[14:15]
	s_cbranch_execnz .LBB0_90
; %bb.91:
	s_or_b64 exec, exec, s[14:15]
.LBB0_92:
	s_or_b64 exec, exec, s[12:13]
.LBB0_93:
	s_or_b64 exec, exec, s[10:11]
	v_mov_b32_e32 v2, 0
	s_waitcnt lgkmcnt(0)
	global_load_dwordx2 v[10:11], v2, s[8:9] offset:40
	global_load_dwordx4 v[4:7], v2, s[8:9]
	v_readfirstlane_b32 s10, v8
	v_readfirstlane_b32 s11, v9
	s_mov_b64 s[12:13], exec
	s_waitcnt vmcnt(1)
	v_readfirstlane_b32 s14, v10
	v_readfirstlane_b32 s15, v11
	s_and_b64 s[14:15], s[10:11], s[14:15]
	s_mul_i32 s16, s15, 24
	s_mul_hi_u32 s17, s14, 24
	s_mul_i32 s18, s14, 24
	s_add_i32 s16, s17, s16
	v_mov_b32_e32 v9, s16
	s_waitcnt vmcnt(0)
	v_add_co_u32_e32 v8, vcc, s18, v4
	v_addc_co_u32_e32 v9, vcc, v5, v9, vcc
	s_and_saveexec_b64 s[16:17], s[4:5]
	s_cbranch_execz .LBB0_95
; %bb.94:
	v_pk_mov_b32 v[10:11], s[12:13], s[12:13] op_sel:[0,1]
	v_mov_b32_e32 v12, 2
	v_mov_b32_e32 v13, 1
	global_store_dwordx4 v[8:9], v[10:13], off offset:8
.LBB0_95:
	s_or_b64 exec, exec, s[16:17]
	s_lshl_b64 s[12:13], s[14:15], 12
	v_mov_b32_e32 v10, s13
	v_add_co_u32_e32 v6, vcc, s12, v6
	s_movk_i32 s12, 0xff1f
	v_addc_co_u32_e32 v7, vcc, v7, v10, vcc
	v_and_or_b32 v0, v0, s12, 32
	s_mov_b32 s12, 0
	v_lshlrev_b32_e32 v10, 6, v3
	v_mov_b32_e32 v3, v2
	v_readfirstlane_b32 s16, v6
	v_readfirstlane_b32 s17, v7
	s_mov_b32 s13, s12
	s_mov_b32 s14, s12
	;; [unrolled: 1-line block ×3, first 2 shown]
	s_nop 1
	global_store_dwordx4 v10, v[0:3], s[16:17]
	s_nop 0
	v_pk_mov_b32 v[0:1], s[12:13], s[12:13] op_sel:[0,1]
	v_pk_mov_b32 v[2:3], s[14:15], s[14:15] op_sel:[0,1]
	global_store_dwordx4 v10, v[0:3], s[16:17] offset:16
	global_store_dwordx4 v10, v[0:3], s[16:17] offset:32
	;; [unrolled: 1-line block ×3, first 2 shown]
	s_and_saveexec_b64 s[12:13], s[4:5]
	s_cbranch_execz .LBB0_103
; %bb.96:
	v_mov_b32_e32 v6, 0
	global_load_dwordx2 v[12:13], v6, s[8:9] offset:32 glc
	global_load_dwordx2 v[0:1], v6, s[8:9] offset:40
	v_mov_b32_e32 v10, s10
	v_mov_b32_e32 v11, s11
	s_waitcnt vmcnt(0)
	v_and_b32_e32 v0, s10, v0
	v_and_b32_e32 v1, s11, v1
	v_mul_lo_u32 v1, v1, 24
	v_mul_hi_u32 v2, v0, 24
	v_mul_lo_u32 v0, v0, 24
	v_add_u32_e32 v1, v2, v1
	v_add_co_u32_e32 v4, vcc, v4, v0
	v_addc_co_u32_e32 v5, vcc, v5, v1, vcc
	global_store_dwordx2 v[4:5], v[12:13], off
	buffer_wbl2
	s_waitcnt vmcnt(0)
	global_atomic_cmpswap_x2 v[2:3], v6, v[10:13], s[8:9] offset:32 glc
	s_waitcnt vmcnt(0)
	v_cmp_ne_u64_e32 vcc, v[2:3], v[12:13]
	s_and_saveexec_b64 s[14:15], vcc
	s_cbranch_execz .LBB0_99
; %bb.97:
	s_mov_b64 s[16:17], 0
.LBB0_98:                               ; =>This Inner Loop Header: Depth=1
	s_sleep 1
	global_store_dwordx2 v[4:5], v[2:3], off
	v_mov_b32_e32 v0, s10
	v_mov_b32_e32 v1, s11
	buffer_wbl2
	s_waitcnt vmcnt(0)
	global_atomic_cmpswap_x2 v[0:1], v6, v[0:3], s[8:9] offset:32 glc
	s_waitcnt vmcnt(0)
	v_cmp_eq_u64_e32 vcc, v[0:1], v[2:3]
	s_or_b64 s[16:17], vcc, s[16:17]
	v_pk_mov_b32 v[2:3], v[0:1], v[0:1] op_sel:[0,1]
	s_andn2_b64 exec, exec, s[16:17]
	s_cbranch_execnz .LBB0_98
.LBB0_99:
	s_or_b64 exec, exec, s[14:15]
	v_mov_b32_e32 v3, 0
	global_load_dwordx2 v[0:1], v3, s[8:9] offset:16
	s_mov_b64 s[14:15], exec
	v_mbcnt_lo_u32_b32 v2, s14, 0
	v_mbcnt_hi_u32_b32 v2, s15, v2
	v_cmp_eq_u32_e32 vcc, 0, v2
	s_and_saveexec_b64 s[16:17], vcc
	s_cbranch_execz .LBB0_101
; %bb.100:
	s_bcnt1_i32_b64 s14, s[14:15]
	v_mov_b32_e32 v2, s14
	buffer_wbl2
	s_waitcnt vmcnt(0)
	global_atomic_add_x2 v[0:1], v[2:3], off offset:8
.LBB0_101:
	s_or_b64 exec, exec, s[16:17]
	s_waitcnt vmcnt(0)
	global_load_dwordx2 v[2:3], v[0:1], off offset:16
	s_waitcnt vmcnt(0)
	v_cmp_eq_u64_e32 vcc, 0, v[2:3]
	s_cbranch_vccnz .LBB0_103
; %bb.102:
	global_load_dword v0, v[0:1], off offset:24
	v_mov_b32_e32 v1, 0
	buffer_wbl2
	s_waitcnt vmcnt(0)
	global_store_dwordx2 v[2:3], v[0:1], off
	v_and_b32_e32 v0, 0xffffff, v0
	v_readfirstlane_b32 m0, v0
	s_sendmsg sendmsg(MSG_INTERRUPT)
.LBB0_103:
	s_or_b64 exec, exec, s[12:13]
	s_branch .LBB0_107
.LBB0_104:                              ;   in Loop: Header=BB0_107 Depth=1
	s_or_b64 exec, exec, s[12:13]
	v_readfirstlane_b32 s12, v0
	s_cmp_eq_u32 s12, 0
	s_cbranch_scc1 .LBB0_106
; %bb.105:                              ;   in Loop: Header=BB0_107 Depth=1
	s_sleep 1
	s_cbranch_execnz .LBB0_107
	s_branch .LBB0_110
.LBB0_106:
	s_branch .LBB0_110
.LBB0_107:                              ; =>This Inner Loop Header: Depth=1
	v_mov_b32_e32 v0, 1
	s_and_saveexec_b64 s[12:13], s[4:5]
	s_cbranch_execz .LBB0_104
; %bb.108:                              ;   in Loop: Header=BB0_107 Depth=1
	global_load_dword v0, v[8:9], off offset:20 glc
	s_waitcnt vmcnt(0)
	buffer_invl2
	buffer_wbinvl1_vol
	v_and_b32_e32 v0, 1, v0
	s_branch .LBB0_104
.LBB0_109:
	s_or_b64 exec, exec, s[6:7]
	s_waitcnt vmcnt(0) lgkmcnt(0)
	s_setpc_b64 s[30:31]
.LBB0_110:
	s_and_saveexec_b64 s[12:13], s[4:5]
	s_cbranch_execz .LBB0_113
; %bb.111:
	v_mov_b32_e32 v6, 0
	global_load_dwordx2 v[4:5], v6, s[8:9] offset:40
	global_load_dwordx2 v[8:9], v6, s[8:9] offset:24 glc
	global_load_dwordx2 v[10:11], v6, s[8:9]
	v_mov_b32_e32 v1, s11
	s_mov_b64 s[4:5], 0
	s_waitcnt vmcnt(2)
	v_add_co_u32_e32 v3, vcc, 1, v4
	v_addc_co_u32_e32 v7, vcc, 0, v5, vcc
	v_add_co_u32_e32 v0, vcc, s10, v3
	v_addc_co_u32_e32 v1, vcc, v7, v1, vcc
	v_cmp_eq_u64_e32 vcc, 0, v[0:1]
	v_cndmask_b32_e32 v1, v1, v7, vcc
	v_cndmask_b32_e32 v0, v0, v3, vcc
	v_and_b32_e32 v3, v1, v5
	v_and_b32_e32 v4, v0, v4
	v_mul_lo_u32 v3, v3, 24
	v_mul_hi_u32 v5, v4, 24
	v_mul_lo_u32 v4, v4, 24
	v_add_u32_e32 v3, v5, v3
	s_waitcnt vmcnt(0)
	v_add_co_u32_e32 v4, vcc, v10, v4
	v_addc_co_u32_e32 v5, vcc, v11, v3, vcc
	v_mov_b32_e32 v2, v8
	global_store_dwordx2 v[4:5], v[8:9], off
	v_mov_b32_e32 v3, v9
	buffer_wbl2
	s_waitcnt vmcnt(0)
	global_atomic_cmpswap_x2 v[2:3], v6, v[0:3], s[8:9] offset:24 glc
	s_waitcnt vmcnt(0)
	v_cmp_ne_u64_e32 vcc, v[2:3], v[8:9]
	s_and_b64 exec, exec, vcc
	s_cbranch_execz .LBB0_113
.LBB0_112:                              ; =>This Inner Loop Header: Depth=1
	s_sleep 1
	global_store_dwordx2 v[4:5], v[2:3], off
	buffer_wbl2
	s_waitcnt vmcnt(0)
	global_atomic_cmpswap_x2 v[8:9], v6, v[0:3], s[8:9] offset:24 glc
	s_waitcnt vmcnt(0)
	v_cmp_eq_u64_e32 vcc, v[8:9], v[2:3]
	s_or_b64 s[4:5], vcc, s[4:5]
	v_pk_mov_b32 v[2:3], v[8:9], v[8:9] op_sel:[0,1]
	s_andn2_b64 exec, exec, s[4:5]
	s_cbranch_execnz .LBB0_112
.LBB0_113:
	s_or_b64 exec, exec, s[12:13]
	s_or_b64 exec, exec, s[6:7]
	s_waitcnt vmcnt(0) lgkmcnt(0)
	s_setpc_b64 s[30:31]
.Lfunc_end0:
	.size	__ockl_fprintf_append_string_n, .Lfunc_end0-__ockl_fprintf_append_string_n
                                        ; -- End function
	.section	.AMDGPU.csdata,"",@progbits
; Function info:
; codeLenInByte = 4372
; NumSgprs: 36
; NumVgprs: 38
; NumAgprs: 0
; TotalNumVgprs: 38
; ScratchSize: 0
; MemoryBound: 0
	.text
	.p2align	2                               ; -- Begin function __assert_fail
	.type	__assert_fail,@function
__assert_fail:                          ; @__assert_fail
; %bb.0:
	s_waitcnt vmcnt(0) expcnt(0) lgkmcnt(0)
	s_mov_b32 s25, s33
	s_mov_b32 s33, s32
	s_or_saveexec_b64 s[4:5], -1
	buffer_store_dword v40, off, s[0:3], s33 offset:48 ; 4-byte Folded Spill
	s_mov_b64 exec, s[4:5]
	v_writelane_b32 v40, s30, 0
	s_addk_i32 s32, 0x1000
	v_writelane_b32 v40, s31, 1
	s_getpc_b64 s[4:5]
	s_add_u32 s4, s4, __const.__assert_fail.fmt@rel32@lo+4
	s_addc_u32 s5, s5, __const.__assert_fail.fmt@rel32@hi+12
	s_load_dwordx4 s[4:7], s[4:5], 0x0
	v_mov_b32_e32 v4, v0
	v_mov_b32_e32 v0, 0xa2e
	buffer_store_short v0, off, s[0:3], s33 offset:44
	v_mov_b32_e32 v0, 0x64656c69
	buffer_store_dword v0, off, s[0:3], s33 offset:40
	v_mov_b32_e32 v0, 0x61662027
	s_getpc_b64 s[10:11]
	s_add_u32 s10, s10, __const.__assert_fail.fmt@rel32@lo+20
	s_addc_u32 s11, s11, __const.__assert_fail.fmt@rel32@hi+28
	buffer_store_dword v0, off, s[0:3], s33 offset:36
	v_mov_b32_e32 v0, 0x73256020
	s_load_dwordx4 s[12:15], s[10:11], 0x0
	buffer_store_dword v0, off, s[0:3], s33 offset:32
	s_waitcnt lgkmcnt(0)
	v_mov_b32_e32 v0, s7
	buffer_store_dword v0, off, s[0:3], s33 offset:12
	v_mov_b32_e32 v0, s6
	buffer_store_dword v0, off, s[0:3], s33 offset:8
	v_mov_b32_e32 v0, s5
	buffer_store_dword v0, off, s[0:3], s33 offset:4
	v_mov_b32_e32 v0, s4
	buffer_store_dword v0, off, s[0:3], s33
	v_mov_b32_e32 v0, s15
	buffer_store_dword v0, off, s[0:3], s33 offset:28
	v_mov_b32_e32 v0, s14
	buffer_store_dword v0, off, s[0:3], s33 offset:24
	;; [unrolled: 2-line block ×3, first 2 shown]
	v_mov_b32_e32 v0, s12
	s_load_dwordx2 s[10:11], s[8:9], 0x50
	buffer_store_dword v0, off, s[0:3], s33 offset:16
	v_mbcnt_lo_u32_b32 v0, -1, 0
	v_mbcnt_hi_u32_b32 v37, -1, v0
	v_readfirstlane_b32 s4, v37
	v_mov_b32_e32 v5, v1
	v_mov_b32_e32 v8, 0
	v_cmp_eq_u32_e64 s[4:5], s4, v37
	v_pk_mov_b32 v[6:7], 0, 0
	buffer_store_byte v8, off, s[0:3], s33 offset:46
	s_and_saveexec_b64 s[6:7], s[4:5]
	s_cbranch_execz .LBB1_6
; %bb.1:
	s_waitcnt lgkmcnt(0)
	global_load_dwordx2 v[2:3], v8, s[10:11] offset:24 glc
	s_waitcnt vmcnt(0)
	buffer_invl2
	buffer_wbinvl1_vol
	global_load_dwordx2 v[0:1], v8, s[10:11] offset:40
	global_load_dwordx2 v[6:7], v8, s[10:11]
	s_waitcnt vmcnt(1)
	v_and_b32_e32 v0, v0, v2
	v_and_b32_e32 v1, v1, v3
	v_mul_lo_u32 v1, v1, 24
	v_mul_hi_u32 v9, v0, 24
	v_mul_lo_u32 v0, v0, 24
	v_add_u32_e32 v1, v9, v1
	s_waitcnt vmcnt(0)
	v_add_co_u32_e32 v0, vcc, v6, v0
	v_addc_co_u32_e32 v1, vcc, v7, v1, vcc
	global_load_dwordx2 v[0:1], v[0:1], off glc
	s_waitcnt vmcnt(0)
	global_atomic_cmpswap_x2 v[6:7], v8, v[0:3], s[10:11] offset:24 glc
	s_waitcnt vmcnt(0)
	buffer_invl2
	buffer_wbinvl1_vol
	v_cmp_ne_u64_e32 vcc, v[6:7], v[2:3]
	s_and_saveexec_b64 s[12:13], vcc
	s_cbranch_execz .LBB1_5
; %bb.2:
	s_mov_b64 s[14:15], 0
.LBB1_3:                                ; =>This Inner Loop Header: Depth=1
	s_sleep 1
	global_load_dwordx2 v[0:1], v8, s[10:11] offset:40
	global_load_dwordx2 v[10:11], v8, s[10:11]
	v_pk_mov_b32 v[2:3], v[6:7], v[6:7] op_sel:[0,1]
	s_waitcnt vmcnt(1)
	v_and_b32_e32 v0, v0, v2
	v_and_b32_e32 v7, v1, v3
	s_waitcnt vmcnt(0)
	v_mad_u64_u32 v[0:1], s[16:17], v0, 24, v[10:11]
	v_mov_b32_e32 v6, v1
	v_mad_u64_u32 v[6:7], s[16:17], v7, 24, v[6:7]
	v_mov_b32_e32 v1, v6
	global_load_dwordx2 v[0:1], v[0:1], off glc
	s_waitcnt vmcnt(0)
	global_atomic_cmpswap_x2 v[6:7], v8, v[0:3], s[10:11] offset:24 glc
	s_waitcnt vmcnt(0)
	buffer_invl2
	buffer_wbinvl1_vol
	v_cmp_eq_u64_e32 vcc, v[6:7], v[2:3]
	s_or_b64 s[14:15], vcc, s[14:15]
	s_andn2_b64 exec, exec, s[14:15]
	s_cbranch_execnz .LBB1_3
; %bb.4:
	s_or_b64 exec, exec, s[14:15]
.LBB1_5:
	s_or_b64 exec, exec, s[12:13]
.LBB1_6:
	s_or_b64 exec, exec, s[6:7]
	s_waitcnt lgkmcnt(0)
	global_load_dwordx2 v[10:11], v8, s[10:11] offset:40
	global_load_dwordx4 v[0:3], v8, s[10:11]
	v_readfirstlane_b32 s6, v6
	v_readfirstlane_b32 s7, v7
	s_mov_b64 s[12:13], exec
	s_waitcnt vmcnt(1)
	v_readfirstlane_b32 s14, v10
	v_readfirstlane_b32 s15, v11
	s_and_b64 s[14:15], s[6:7], s[14:15]
	s_mul_i32 s16, s15, 24
	s_mul_hi_u32 s17, s14, 24
	s_mul_i32 s18, s14, 24
	s_add_i32 s16, s17, s16
	v_mov_b32_e32 v6, s16
	s_waitcnt vmcnt(0)
	v_add_co_u32_e32 v10, vcc, s18, v0
	v_addc_co_u32_e32 v11, vcc, v1, v6, vcc
	s_and_saveexec_b64 s[16:17], s[4:5]
	s_cbranch_execz .LBB1_8
; %bb.7:
	v_pk_mov_b32 v[6:7], s[12:13], s[12:13] op_sel:[0,1]
	v_mov_b32_e32 v8, 2
	v_mov_b32_e32 v9, 1
	global_store_dwordx4 v[10:11], v[6:9], off offset:8
.LBB1_8:
	s_or_b64 exec, exec, s[16:17]
	s_lshl_b64 s[12:13], s[14:15], 12
	v_mov_b32_e32 v6, s13
	v_add_co_u32_e32 v2, vcc, s12, v2
	s_mov_b32 s12, 0
	v_addc_co_u32_e32 v3, vcc, v3, v6, vcc
	v_lshlrev_b32_e32 v36, 6, v37
	s_mov_b32 s14, s12
	s_mov_b32 s15, s12
	v_mov_b32_e32 v7, 0
	v_add_co_u32_e32 v12, vcc, v2, v36
	s_mov_b32 s13, s12
	v_pk_mov_b32 v[16:17], s[14:15], s[14:15] op_sel:[0,1]
	v_addc_co_u32_e32 v13, vcc, 0, v3, vcc
	v_mov_b32_e32 v6, 33
	v_mov_b32_e32 v8, 1
	;; [unrolled: 1-line block ×3, first 2 shown]
	v_readfirstlane_b32 s16, v2
	v_readfirstlane_b32 s17, v3
	v_pk_mov_b32 v[14:15], s[12:13], s[12:13] op_sel:[0,1]
	s_nop 3
	global_store_dwordx4 v36, v[6:9], s[16:17]
	global_store_dwordx4 v36, v[14:17], s[16:17] offset:16
	global_store_dwordx4 v36, v[14:17], s[16:17] offset:32
	global_store_dwordx4 v36, v[14:17], s[16:17] offset:48
	s_and_saveexec_b64 s[12:13], s[4:5]
	s_cbranch_execz .LBB1_16
; %bb.9:
	global_load_dwordx2 v[16:17], v7, s[10:11] offset:32 glc
	global_load_dwordx2 v[2:3], v7, s[10:11] offset:40
	v_mov_b32_e32 v14, s6
	v_mov_b32_e32 v15, s7
	s_waitcnt vmcnt(0)
	v_and_b32_e32 v2, s6, v2
	v_and_b32_e32 v3, s7, v3
	v_mul_lo_u32 v3, v3, 24
	v_mul_hi_u32 v6, v2, 24
	v_mul_lo_u32 v2, v2, 24
	v_add_u32_e32 v3, v6, v3
	v_add_co_u32_e32 v8, vcc, v0, v2
	v_addc_co_u32_e32 v9, vcc, v1, v3, vcc
	global_store_dwordx2 v[8:9], v[16:17], off
	buffer_wbl2
	s_waitcnt vmcnt(0)
	global_atomic_cmpswap_x2 v[2:3], v7, v[14:17], s[10:11] offset:32 glc
	s_waitcnt vmcnt(0)
	v_cmp_ne_u64_e32 vcc, v[2:3], v[16:17]
	s_and_saveexec_b64 s[14:15], vcc
	s_cbranch_execz .LBB1_12
; %bb.10:
	s_mov_b64 s[16:17], 0
.LBB1_11:                               ; =>This Inner Loop Header: Depth=1
	s_sleep 1
	global_store_dwordx2 v[8:9], v[2:3], off
	v_mov_b32_e32 v0, s6
	v_mov_b32_e32 v1, s7
	buffer_wbl2
	s_waitcnt vmcnt(0)
	global_atomic_cmpswap_x2 v[0:1], v7, v[0:3], s[10:11] offset:32 glc
	s_waitcnt vmcnt(0)
	v_cmp_eq_u64_e32 vcc, v[0:1], v[2:3]
	s_or_b64 s[16:17], vcc, s[16:17]
	v_pk_mov_b32 v[2:3], v[0:1], v[0:1] op_sel:[0,1]
	s_andn2_b64 exec, exec, s[16:17]
	s_cbranch_execnz .LBB1_11
.LBB1_12:
	s_or_b64 exec, exec, s[14:15]
	v_mov_b32_e32 v3, 0
	global_load_dwordx2 v[0:1], v3, s[10:11] offset:16
	s_mov_b64 s[14:15], exec
	v_mbcnt_lo_u32_b32 v2, s14, 0
	v_mbcnt_hi_u32_b32 v2, s15, v2
	v_cmp_eq_u32_e32 vcc, 0, v2
	s_and_saveexec_b64 s[16:17], vcc
	s_cbranch_execz .LBB1_14
; %bb.13:
	s_bcnt1_i32_b64 s14, s[14:15]
	v_mov_b32_e32 v2, s14
	buffer_wbl2
	s_waitcnt vmcnt(0)
	global_atomic_add_x2 v[0:1], v[2:3], off offset:8
.LBB1_14:
	s_or_b64 exec, exec, s[16:17]
	s_waitcnt vmcnt(0)
	global_load_dwordx2 v[2:3], v[0:1], off offset:16
	s_waitcnt vmcnt(0)
	v_cmp_eq_u64_e32 vcc, 0, v[2:3]
	s_cbranch_vccnz .LBB1_16
; %bb.15:
	global_load_dword v0, v[0:1], off offset:24
	v_mov_b32_e32 v1, 0
	buffer_wbl2
	s_waitcnt vmcnt(0)
	global_store_dwordx2 v[2:3], v[0:1], off
	v_and_b32_e32 v0, 0xffffff, v0
	v_readfirstlane_b32 m0, v0
	s_sendmsg sendmsg(MSG_INTERRUPT)
.LBB1_16:
	s_or_b64 exec, exec, s[12:13]
	s_branch .LBB1_20
.LBB1_17:                               ;   in Loop: Header=BB1_20 Depth=1
	s_or_b64 exec, exec, s[12:13]
	v_readfirstlane_b32 s12, v0
	s_cmp_eq_u32 s12, 0
	s_cbranch_scc1 .LBB1_19
; %bb.18:                               ;   in Loop: Header=BB1_20 Depth=1
	s_sleep 1
	s_cbranch_execnz .LBB1_20
	s_branch .LBB1_22
.LBB1_19:
	s_branch .LBB1_22
.LBB1_20:                               ; =>This Inner Loop Header: Depth=1
	v_mov_b32_e32 v0, 1
	s_and_saveexec_b64 s[12:13], s[4:5]
	s_cbranch_execz .LBB1_17
; %bb.21:                               ;   in Loop: Header=BB1_20 Depth=1
	global_load_dword v0, v[10:11], off offset:20 glc
	s_waitcnt vmcnt(0)
	buffer_invl2
	buffer_wbinvl1_vol
	v_and_b32_e32 v0, 1, v0
	s_branch .LBB1_17
.LBB1_22:
	global_load_dwordx2 v[6:7], v[12:13], off
	s_and_saveexec_b64 s[12:13], s[4:5]
	s_cbranch_execz .LBB1_25
; %bb.23:
	v_mov_b32_e32 v10, 0
	global_load_dwordx2 v[8:9], v10, s[10:11] offset:40
	global_load_dwordx2 v[12:13], v10, s[10:11] offset:24 glc
	global_load_dwordx2 v[14:15], v10, s[10:11]
	v_mov_b32_e32 v1, s7
	s_mov_b64 s[4:5], 0
	s_waitcnt vmcnt(2)
	v_add_co_u32_e32 v3, vcc, 1, v8
	v_addc_co_u32_e32 v11, vcc, 0, v9, vcc
	v_add_co_u32_e32 v0, vcc, s6, v3
	v_addc_co_u32_e32 v1, vcc, v11, v1, vcc
	v_cmp_eq_u64_e32 vcc, 0, v[0:1]
	v_cndmask_b32_e32 v1, v1, v11, vcc
	v_cndmask_b32_e32 v0, v0, v3, vcc
	v_and_b32_e32 v3, v1, v9
	v_and_b32_e32 v8, v0, v8
	v_mul_lo_u32 v3, v3, 24
	v_mul_hi_u32 v9, v8, 24
	v_mul_lo_u32 v8, v8, 24
	v_add_u32_e32 v3, v9, v3
	s_waitcnt vmcnt(0)
	v_add_co_u32_e32 v8, vcc, v14, v8
	v_addc_co_u32_e32 v9, vcc, v15, v3, vcc
	v_mov_b32_e32 v2, v12
	global_store_dwordx2 v[8:9], v[12:13], off
	v_mov_b32_e32 v3, v13
	buffer_wbl2
	s_waitcnt vmcnt(0)
	global_atomic_cmpswap_x2 v[2:3], v10, v[0:3], s[10:11] offset:24 glc
	s_waitcnt vmcnt(0)
	v_cmp_ne_u64_e32 vcc, v[2:3], v[12:13]
	s_and_b64 exec, exec, vcc
	s_cbranch_execz .LBB1_25
.LBB1_24:                               ; =>This Inner Loop Header: Depth=1
	s_sleep 1
	global_store_dwordx2 v[8:9], v[2:3], off
	buffer_wbl2
	s_waitcnt vmcnt(0)
	global_atomic_cmpswap_x2 v[12:13], v10, v[0:3], s[10:11] offset:24 glc
	s_waitcnt vmcnt(0)
	v_cmp_eq_u64_e32 vcc, v[12:13], v[2:3]
	s_or_b64 s[4:5], vcc, s[4:5]
	v_pk_mov_b32 v[2:3], v[12:13], v[12:13] op_sel:[0,1]
	s_andn2_b64 exec, exec, s[4:5]
	s_cbranch_execnz .LBB1_24
.LBB1_25:
	s_or_b64 exec, exec, s[12:13]
	v_lshrrev_b32_e64 v1, 6, s33
	s_mov_b64 s[4:5], 0
.LBB1_26:                               ; =>This Inner Loop Header: Depth=1
	buffer_load_ubyte v2, v1, s[0:3], 0 offen
	v_add_u32_e32 v0, 1, v1
	v_mov_b32_e32 v1, v0
	s_waitcnt vmcnt(0)
	v_cmp_eq_u16_e32 vcc, 0, v2
	s_or_b64 s[4:5], vcc, s[4:5]
	s_andn2_b64 exec, exec, s[4:5]
	s_cbranch_execnz .LBB1_26
; %bb.27:
	s_or_b64 exec, exec, s[4:5]
	v_lshrrev_b32_e64 v31, 6, s33
	v_cmp_ne_u32_e32 vcc, -1, v31
	s_cbranch_vccz .LBB1_112
; %bb.28:
	v_lshrrev_b32_e64 v1, 6, s33
	v_subrev_u32_e32 v28, v1, v0
	v_ashrrev_i32_e32 v29, 31, v28
	v_and_b32_e32 v30, 2, v6
	v_mov_b32_e32 v33, 0
	v_and_b32_e32 v0, -3, v6
	v_mov_b32_e32 v1, v7
	s_mov_b64 s[12:13], 0
	s_mov_b32 s20, 0
	s_movk_i32 s21, 0xff1f
	v_mov_b32_e32 v10, 2
	v_mov_b32_e32 v11, 1
	s_branch .LBB1_30
.LBB1_29:                               ;   in Loop: Header=BB1_30 Depth=1
	s_or_b64 exec, exec, s[6:7]
	v_sub_co_u32_e32 v28, vcc, v28, v38
	v_subb_co_u32_e32 v29, vcc, v29, v39, vcc
	v_cmp_eq_u64_e32 vcc, 0, v[28:29]
	s_or_b64 s[12:13], vcc, s[12:13]
	v_add_u32_e32 v31, v31, v38
	s_andn2_b64 exec, exec, s[12:13]
	s_cbranch_execz .LBB1_113
.LBB1_30:                               ; =>This Loop Header: Depth=1
                                        ;     Child Loop BB1_33 Depth 2
                                        ;     Child Loop BB1_41 Depth 2
	;; [unrolled: 1-line block ×11, first 2 shown]
	v_cmp_gt_u64_e32 vcc, 56, v[28:29]
	v_cndmask_b32_e32 v38, 56, v28, vcc
	v_cmp_gt_u64_e64 s[4:5], 8, v[28:29]
                                        ; implicit-def: $vgpr2_vgpr3
                                        ; implicit-def: $sgpr14
	s_and_saveexec_b64 s[6:7], s[4:5]
	s_xor_b64 s[6:7], exec, s[6:7]
	s_cbranch_execz .LBB1_36
; %bb.31:                               ;   in Loop: Header=BB1_30 Depth=1
	s_mov_b64 s[16:17], 0
	v_cmp_ne_u64_e64 s[4:5], 0, v[28:29]
	s_waitcnt vmcnt(0)
	v_pk_mov_b32 v[2:3], 0, 0
	s_and_saveexec_b64 s[14:15], s[4:5]
	s_cbranch_execz .LBB1_35
; %bb.32:                               ;   in Loop: Header=BB1_30 Depth=1
	s_mov_b32 s22, 0
	v_pk_mov_b32 v[2:3], 0, 0
	s_mov_b64 s[18:19], 0
.LBB1_33:                               ;   Parent Loop BB1_30 Depth=1
                                        ; =>  This Inner Loop Header: Depth=2
	v_add_u32_e32 v8, s22, v31
	buffer_load_ubyte v8, v8, s[0:3], 0 offen
	v_mov_b32_e32 v9, s20
	s_add_i32 s22, s22, 1
	v_cmp_eq_u32_e64 s[4:5], s22, v38
	s_waitcnt vmcnt(0)
	v_and_b32_e32 v8, 0xffff, v8
	v_lshlrev_b64 v[8:9], s18, v[8:9]
	s_add_u32 s18, s18, 8
	s_addc_u32 s19, s19, 0
	v_or_b32_e32 v3, v9, v3
	s_or_b64 s[16:17], s[4:5], s[16:17]
	v_or_b32_e32 v2, v8, v2
	s_andn2_b64 exec, exec, s[16:17]
	s_cbranch_execnz .LBB1_33
; %bb.34:                               ;   in Loop: Header=BB1_30 Depth=1
	s_or_b64 exec, exec, s[16:17]
.LBB1_35:                               ;   in Loop: Header=BB1_30 Depth=1
	s_or_b64 exec, exec, s[14:15]
	s_mov_b32 s14, 0
.LBB1_36:                               ;   in Loop: Header=BB1_30 Depth=1
	s_or_saveexec_b64 s[4:5], s[6:7]
	v_mov_b32_e32 v9, s14
	v_mov_b32_e32 v8, v31
	s_xor_b64 exec, exec, s[4:5]
	s_cbranch_execz .LBB1_38
; %bb.37:                               ;   in Loop: Header=BB1_30 Depth=1
	buffer_load_dword v2, v31, s[0:3], 0 offen offset:4
	buffer_load_dword v3, v31, s[0:3], 0 offen
	v_add_u32_e32 v9, -8, v38
	s_waitcnt vmcnt(1)
	v_and_b32_e32 v8, 0xff, v2
	v_and_b32_e32 v12, 0xff00, v2
	s_waitcnt vmcnt(0)
	v_or3_b32 v3, v3, 0, 0
	v_and_b32_e32 v13, 0xff0000, v2
	v_and_b32_e32 v14, 0xff000000, v2
	v_or3_b32 v8, 0, v8, v12
	v_or3_b32 v2, v3, 0, 0
	;; [unrolled: 1-line block ×3, first 2 shown]
	v_add_u32_e32 v8, 8, v31
.LBB1_38:                               ;   in Loop: Header=BB1_30 Depth=1
	s_or_b64 exec, exec, s[4:5]
	v_cmp_gt_u32_e64 s[4:5], 8, v9
                                        ; implicit-def: $vgpr12_vgpr13
                                        ; implicit-def: $sgpr14
	s_and_saveexec_b64 s[6:7], s[4:5]
	s_xor_b64 s[6:7], exec, s[6:7]
	s_cbranch_execz .LBB1_44
; %bb.39:                               ;   in Loop: Header=BB1_30 Depth=1
	v_cmp_ne_u32_e64 s[4:5], 0, v9
	v_pk_mov_b32 v[12:13], 0, 0
	s_and_saveexec_b64 s[14:15], s[4:5]
	s_cbranch_execz .LBB1_43
; %bb.40:                               ;   in Loop: Header=BB1_30 Depth=1
	s_mov_b32 s22, 0
	s_mov_b64 s[16:17], 0
	v_pk_mov_b32 v[12:13], 0, 0
	s_mov_b64 s[18:19], 0
.LBB1_41:                               ;   Parent Loop BB1_30 Depth=1
                                        ; =>  This Inner Loop Header: Depth=2
	v_add_u32_e32 v14, s22, v8
	buffer_load_ubyte v14, v14, s[0:3], 0 offen
	v_mov_b32_e32 v15, s20
	s_add_i32 s22, s22, 1
	v_cmp_eq_u32_e64 s[4:5], s22, v9
	s_waitcnt vmcnt(0)
	v_and_b32_e32 v14, 0xffff, v14
	v_lshlrev_b64 v[14:15], s18, v[14:15]
	s_add_u32 s18, s18, 8
	s_addc_u32 s19, s19, 0
	v_or_b32_e32 v13, v15, v13
	s_or_b64 s[16:17], s[4:5], s[16:17]
	v_or_b32_e32 v12, v14, v12
	s_andn2_b64 exec, exec, s[16:17]
	s_cbranch_execnz .LBB1_41
; %bb.42:                               ;   in Loop: Header=BB1_30 Depth=1
	s_or_b64 exec, exec, s[16:17]
.LBB1_43:                               ;   in Loop: Header=BB1_30 Depth=1
	s_or_b64 exec, exec, s[14:15]
	s_mov_b32 s14, 0
                                        ; implicit-def: $vgpr9
.LBB1_44:                               ;   in Loop: Header=BB1_30 Depth=1
	s_or_saveexec_b64 s[4:5], s[6:7]
	v_mov_b32_e32 v16, s14
	s_xor_b64 exec, exec, s[4:5]
	s_cbranch_execz .LBB1_46
; %bb.45:                               ;   in Loop: Header=BB1_30 Depth=1
	buffer_load_dword v12, v8, s[0:3], 0 offen offset:4
	buffer_load_dword v13, v8, s[0:3], 0 offen
	v_add_u32_e32 v16, -8, v9
	v_add_u32_e32 v8, 8, v8
	s_waitcnt vmcnt(1)
	v_and_b32_e32 v9, 0xff, v12
	v_and_b32_e32 v14, 0xff00, v12
	s_waitcnt vmcnt(0)
	v_or3_b32 v13, v13, 0, 0
	v_and_b32_e32 v15, 0xff0000, v12
	v_and_b32_e32 v17, 0xff000000, v12
	v_or3_b32 v9, 0, v9, v14
	v_or3_b32 v12, v13, 0, 0
	;; [unrolled: 1-line block ×3, first 2 shown]
.LBB1_46:                               ;   in Loop: Header=BB1_30 Depth=1
	s_or_b64 exec, exec, s[4:5]
	v_cmp_gt_u32_e64 s[4:5], 8, v16
                                        ; implicit-def: $sgpr14
	s_and_saveexec_b64 s[6:7], s[4:5]
	s_xor_b64 s[6:7], exec, s[6:7]
	s_cbranch_execz .LBB1_52
; %bb.47:                               ;   in Loop: Header=BB1_30 Depth=1
	v_cmp_ne_u32_e64 s[4:5], 0, v16
	v_pk_mov_b32 v[14:15], 0, 0
	s_and_saveexec_b64 s[14:15], s[4:5]
	s_cbranch_execz .LBB1_51
; %bb.48:                               ;   in Loop: Header=BB1_30 Depth=1
	s_mov_b32 s22, 0
	s_mov_b64 s[16:17], 0
	v_pk_mov_b32 v[14:15], 0, 0
	s_mov_b64 s[18:19], 0
.LBB1_49:                               ;   Parent Loop BB1_30 Depth=1
                                        ; =>  This Inner Loop Header: Depth=2
	v_add_u32_e32 v9, s22, v8
	buffer_load_ubyte v9, v9, s[0:3], 0 offen
	v_mov_b32_e32 v19, s20
	s_add_i32 s22, s22, 1
	v_cmp_eq_u32_e64 s[4:5], s22, v16
	s_waitcnt vmcnt(0)
	v_and_b32_e32 v18, 0xffff, v9
	v_lshlrev_b64 v[18:19], s18, v[18:19]
	s_add_u32 s18, s18, 8
	s_addc_u32 s19, s19, 0
	v_or_b32_e32 v15, v19, v15
	s_or_b64 s[16:17], s[4:5], s[16:17]
	v_or_b32_e32 v14, v18, v14
	s_andn2_b64 exec, exec, s[16:17]
	s_cbranch_execnz .LBB1_49
; %bb.50:                               ;   in Loop: Header=BB1_30 Depth=1
	s_or_b64 exec, exec, s[16:17]
.LBB1_51:                               ;   in Loop: Header=BB1_30 Depth=1
	s_or_b64 exec, exec, s[14:15]
	s_mov_b32 s14, 0
                                        ; implicit-def: $vgpr16
.LBB1_52:                               ;   in Loop: Header=BB1_30 Depth=1
	s_or_saveexec_b64 s[4:5], s[6:7]
	v_mov_b32_e32 v9, s14
	s_xor_b64 exec, exec, s[4:5]
	s_cbranch_execz .LBB1_54
; %bb.53:                               ;   in Loop: Header=BB1_30 Depth=1
	buffer_load_dword v14, v8, s[0:3], 0 offen offset:4
	buffer_load_dword v15, v8, s[0:3], 0 offen
	v_add_u32_e32 v9, -8, v16
	v_add_u32_e32 v8, 8, v8
	s_waitcnt vmcnt(1)
	v_and_b32_e32 v16, 0xff, v14
	v_and_b32_e32 v17, 0xff00, v14
	s_waitcnt vmcnt(0)
	v_or3_b32 v15, v15, 0, 0
	v_and_b32_e32 v18, 0xff0000, v14
	v_and_b32_e32 v19, 0xff000000, v14
	v_or3_b32 v16, 0, v16, v17
	v_or3_b32 v14, v15, 0, 0
	;; [unrolled: 1-line block ×3, first 2 shown]
.LBB1_54:                               ;   in Loop: Header=BB1_30 Depth=1
	s_or_b64 exec, exec, s[4:5]
	v_cmp_gt_u32_e64 s[4:5], 8, v9
                                        ; implicit-def: $vgpr16_vgpr17
                                        ; implicit-def: $sgpr14
	s_and_saveexec_b64 s[6:7], s[4:5]
	s_xor_b64 s[6:7], exec, s[6:7]
	s_cbranch_execz .LBB1_60
; %bb.55:                               ;   in Loop: Header=BB1_30 Depth=1
	v_cmp_ne_u32_e64 s[4:5], 0, v9
	v_pk_mov_b32 v[16:17], 0, 0
	s_and_saveexec_b64 s[14:15], s[4:5]
	s_cbranch_execz .LBB1_59
; %bb.56:                               ;   in Loop: Header=BB1_30 Depth=1
	s_mov_b32 s22, 0
	s_mov_b64 s[16:17], 0
	v_pk_mov_b32 v[16:17], 0, 0
	s_mov_b64 s[18:19], 0
.LBB1_57:                               ;   Parent Loop BB1_30 Depth=1
                                        ; =>  This Inner Loop Header: Depth=2
	v_add_u32_e32 v18, s22, v8
	buffer_load_ubyte v18, v18, s[0:3], 0 offen
	v_mov_b32_e32 v19, s20
	s_add_i32 s22, s22, 1
	v_cmp_eq_u32_e64 s[4:5], s22, v9
	s_waitcnt vmcnt(0)
	v_and_b32_e32 v18, 0xffff, v18
	v_lshlrev_b64 v[18:19], s18, v[18:19]
	s_add_u32 s18, s18, 8
	s_addc_u32 s19, s19, 0
	v_or_b32_e32 v17, v19, v17
	s_or_b64 s[16:17], s[4:5], s[16:17]
	v_or_b32_e32 v16, v18, v16
	s_andn2_b64 exec, exec, s[16:17]
	s_cbranch_execnz .LBB1_57
; %bb.58:                               ;   in Loop: Header=BB1_30 Depth=1
	s_or_b64 exec, exec, s[16:17]
.LBB1_59:                               ;   in Loop: Header=BB1_30 Depth=1
	s_or_b64 exec, exec, s[14:15]
	s_mov_b32 s14, 0
                                        ; implicit-def: $vgpr9
.LBB1_60:                               ;   in Loop: Header=BB1_30 Depth=1
	s_or_saveexec_b64 s[4:5], s[6:7]
	v_mov_b32_e32 v20, s14
	s_xor_b64 exec, exec, s[4:5]
	s_cbranch_execz .LBB1_62
; %bb.61:                               ;   in Loop: Header=BB1_30 Depth=1
	buffer_load_dword v16, v8, s[0:3], 0 offen offset:4
	buffer_load_dword v17, v8, s[0:3], 0 offen
	v_add_u32_e32 v20, -8, v9
	v_add_u32_e32 v8, 8, v8
	s_waitcnt vmcnt(1)
	v_and_b32_e32 v9, 0xff, v16
	v_and_b32_e32 v18, 0xff00, v16
	s_waitcnt vmcnt(0)
	v_or3_b32 v17, v17, 0, 0
	v_and_b32_e32 v19, 0xff0000, v16
	v_and_b32_e32 v21, 0xff000000, v16
	v_or3_b32 v9, 0, v9, v18
	v_or3_b32 v16, v17, 0, 0
	v_or3_b32 v17, v9, v19, v21
.LBB1_62:                               ;   in Loop: Header=BB1_30 Depth=1
	s_or_b64 exec, exec, s[4:5]
	v_cmp_gt_u32_e64 s[4:5], 8, v20
                                        ; implicit-def: $sgpr14
	s_and_saveexec_b64 s[6:7], s[4:5]
	s_xor_b64 s[6:7], exec, s[6:7]
	s_cbranch_execz .LBB1_68
; %bb.63:                               ;   in Loop: Header=BB1_30 Depth=1
	v_cmp_ne_u32_e64 s[4:5], 0, v20
	v_pk_mov_b32 v[18:19], 0, 0
	s_and_saveexec_b64 s[14:15], s[4:5]
	s_cbranch_execz .LBB1_67
; %bb.64:                               ;   in Loop: Header=BB1_30 Depth=1
	s_mov_b32 s22, 0
	s_mov_b64 s[16:17], 0
	v_pk_mov_b32 v[18:19], 0, 0
	s_mov_b64 s[18:19], 0
.LBB1_65:                               ;   Parent Loop BB1_30 Depth=1
                                        ; =>  This Inner Loop Header: Depth=2
	v_add_u32_e32 v9, s22, v8
	buffer_load_ubyte v9, v9, s[0:3], 0 offen
	v_mov_b32_e32 v23, s20
	s_add_i32 s22, s22, 1
	v_cmp_eq_u32_e64 s[4:5], s22, v20
	s_waitcnt vmcnt(0)
	v_and_b32_e32 v22, 0xffff, v9
	v_lshlrev_b64 v[22:23], s18, v[22:23]
	s_add_u32 s18, s18, 8
	s_addc_u32 s19, s19, 0
	v_or_b32_e32 v19, v23, v19
	s_or_b64 s[16:17], s[4:5], s[16:17]
	v_or_b32_e32 v18, v22, v18
	s_andn2_b64 exec, exec, s[16:17]
	s_cbranch_execnz .LBB1_65
; %bb.66:                               ;   in Loop: Header=BB1_30 Depth=1
	s_or_b64 exec, exec, s[16:17]
.LBB1_67:                               ;   in Loop: Header=BB1_30 Depth=1
	s_or_b64 exec, exec, s[14:15]
	s_mov_b32 s14, 0
                                        ; implicit-def: $vgpr20
.LBB1_68:                               ;   in Loop: Header=BB1_30 Depth=1
	s_or_saveexec_b64 s[4:5], s[6:7]
	v_mov_b32_e32 v9, s14
	s_xor_b64 exec, exec, s[4:5]
	s_cbranch_execz .LBB1_70
; %bb.69:                               ;   in Loop: Header=BB1_30 Depth=1
	buffer_load_dword v18, v8, s[0:3], 0 offen offset:4
	buffer_load_dword v19, v8, s[0:3], 0 offen
	v_add_u32_e32 v9, -8, v20
	v_add_u32_e32 v8, 8, v8
	s_waitcnt vmcnt(1)
	v_and_b32_e32 v20, 0xff, v18
	v_and_b32_e32 v21, 0xff00, v18
	s_waitcnt vmcnt(0)
	v_or3_b32 v19, v19, 0, 0
	v_and_b32_e32 v22, 0xff0000, v18
	v_and_b32_e32 v23, 0xff000000, v18
	v_or3_b32 v20, 0, v20, v21
	v_or3_b32 v18, v19, 0, 0
	v_or3_b32 v19, v20, v22, v23
.LBB1_70:                               ;   in Loop: Header=BB1_30 Depth=1
	s_or_b64 exec, exec, s[4:5]
	v_cmp_gt_u32_e64 s[4:5], 8, v9
                                        ; implicit-def: $vgpr20_vgpr21
                                        ; implicit-def: $sgpr14
	s_and_saveexec_b64 s[6:7], s[4:5]
	s_xor_b64 s[6:7], exec, s[6:7]
	s_cbranch_execz .LBB1_76
; %bb.71:                               ;   in Loop: Header=BB1_30 Depth=1
	v_cmp_ne_u32_e64 s[4:5], 0, v9
	v_pk_mov_b32 v[20:21], 0, 0
	s_and_saveexec_b64 s[14:15], s[4:5]
	s_cbranch_execz .LBB1_75
; %bb.72:                               ;   in Loop: Header=BB1_30 Depth=1
	s_mov_b32 s22, 0
	s_mov_b64 s[16:17], 0
	v_pk_mov_b32 v[20:21], 0, 0
	s_mov_b64 s[18:19], 0
.LBB1_73:                               ;   Parent Loop BB1_30 Depth=1
                                        ; =>  This Inner Loop Header: Depth=2
	v_add_u32_e32 v22, s22, v8
	buffer_load_ubyte v22, v22, s[0:3], 0 offen
	v_mov_b32_e32 v23, s20
	s_add_i32 s22, s22, 1
	v_cmp_eq_u32_e64 s[4:5], s22, v9
	s_waitcnt vmcnt(0)
	v_and_b32_e32 v22, 0xffff, v22
	v_lshlrev_b64 v[22:23], s18, v[22:23]
	s_add_u32 s18, s18, 8
	s_addc_u32 s19, s19, 0
	v_or_b32_e32 v21, v23, v21
	s_or_b64 s[16:17], s[4:5], s[16:17]
	v_or_b32_e32 v20, v22, v20
	s_andn2_b64 exec, exec, s[16:17]
	s_cbranch_execnz .LBB1_73
; %bb.74:                               ;   in Loop: Header=BB1_30 Depth=1
	s_or_b64 exec, exec, s[16:17]
.LBB1_75:                               ;   in Loop: Header=BB1_30 Depth=1
	s_or_b64 exec, exec, s[14:15]
	s_mov_b32 s14, 0
                                        ; implicit-def: $vgpr9
.LBB1_76:                               ;   in Loop: Header=BB1_30 Depth=1
	s_or_saveexec_b64 s[4:5], s[6:7]
	v_mov_b32_e32 v24, s14
	s_xor_b64 exec, exec, s[4:5]
	s_cbranch_execz .LBB1_78
; %bb.77:                               ;   in Loop: Header=BB1_30 Depth=1
	buffer_load_dword v20, v8, s[0:3], 0 offen offset:4
	buffer_load_dword v21, v8, s[0:3], 0 offen
	v_add_u32_e32 v24, -8, v9
	v_add_u32_e32 v8, 8, v8
	s_waitcnt vmcnt(1)
	v_and_b32_e32 v9, 0xff, v20
	v_and_b32_e32 v22, 0xff00, v20
	s_waitcnt vmcnt(0)
	v_or3_b32 v21, v21, 0, 0
	v_and_b32_e32 v23, 0xff0000, v20
	v_and_b32_e32 v25, 0xff000000, v20
	v_or3_b32 v9, 0, v9, v22
	v_or3_b32 v20, v21, 0, 0
	;; [unrolled: 1-line block ×3, first 2 shown]
.LBB1_78:                               ;   in Loop: Header=BB1_30 Depth=1
	s_or_b64 exec, exec, s[4:5]
	v_cmp_gt_u32_e64 s[4:5], 8, v24
	s_and_saveexec_b64 s[6:7], s[4:5]
	s_xor_b64 s[6:7], exec, s[6:7]
	s_cbranch_execz .LBB1_84
; %bb.79:                               ;   in Loop: Header=BB1_30 Depth=1
	v_cmp_ne_u32_e64 s[4:5], 0, v24
	v_pk_mov_b32 v[22:23], 0, 0
	s_and_saveexec_b64 s[14:15], s[4:5]
	s_cbranch_execz .LBB1_83
; %bb.80:                               ;   in Loop: Header=BB1_30 Depth=1
	s_mov_b64 s[16:17], 0
	v_pk_mov_b32 v[22:23], 0, 0
	s_mov_b64 s[18:19], 0
.LBB1_81:                               ;   Parent Loop BB1_30 Depth=1
                                        ; =>  This Inner Loop Header: Depth=2
	buffer_load_ubyte v9, v8, s[0:3], 0 offen
	v_mov_b32_e32 v27, s20
	v_add_u32_e32 v24, -1, v24
	v_cmp_eq_u32_e64 s[4:5], 0, v24
	v_add_u32_e32 v8, 1, v8
	s_waitcnt vmcnt(0)
	v_and_b32_e32 v26, 0xffff, v9
	v_lshlrev_b64 v[26:27], s18, v[26:27]
	s_add_u32 s18, s18, 8
	s_addc_u32 s19, s19, 0
	v_or_b32_e32 v23, v27, v23
	s_or_b64 s[16:17], s[4:5], s[16:17]
	v_or_b32_e32 v22, v26, v22
	s_andn2_b64 exec, exec, s[16:17]
	s_cbranch_execnz .LBB1_81
; %bb.82:                               ;   in Loop: Header=BB1_30 Depth=1
	s_or_b64 exec, exec, s[16:17]
.LBB1_83:                               ;   in Loop: Header=BB1_30 Depth=1
	s_or_b64 exec, exec, s[14:15]
                                        ; implicit-def: $vgpr8
.LBB1_84:                               ;   in Loop: Header=BB1_30 Depth=1
	s_andn2_saveexec_b64 s[4:5], s[6:7]
	s_cbranch_execz .LBB1_86
; %bb.85:                               ;   in Loop: Header=BB1_30 Depth=1
	buffer_load_dword v9, v8, s[0:3], 0 offen offset:4
	buffer_load_dword v22, v8, s[0:3], 0 offen
	s_waitcnt vmcnt(1)
	v_and_b32_e32 v8, 0xff, v9
	v_and_b32_e32 v23, 0xff00, v9
	s_waitcnt vmcnt(0)
	v_or3_b32 v22, v22, 0, 0
	v_and_b32_e32 v24, 0xff0000, v9
	v_and_b32_e32 v9, 0xff000000, v9
	v_or3_b32 v8, 0, v8, v23
	v_or3_b32 v23, v8, v24, v9
	;; [unrolled: 1-line block ×3, first 2 shown]
.LBB1_86:                               ;   in Loop: Header=BB1_30 Depth=1
	s_or_b64 exec, exec, s[4:5]
	v_readfirstlane_b32 s4, v37
	v_cmp_eq_u32_e64 s[4:5], s4, v37
	v_pk_mov_b32 v[8:9], 0, 0
	s_and_saveexec_b64 s[14:15], s[4:5]
	s_cbranch_execz .LBB1_92
; %bb.87:                               ;   in Loop: Header=BB1_30 Depth=1
	global_load_dwordx2 v[26:27], v33, s[10:11] offset:24 glc
	s_waitcnt vmcnt(0)
	buffer_invl2
	buffer_wbinvl1_vol
	global_load_dwordx2 v[8:9], v33, s[10:11] offset:40
	global_load_dwordx2 v[24:25], v33, s[10:11]
	s_waitcnt vmcnt(1)
	v_and_b32_e32 v8, v8, v26
	v_and_b32_e32 v9, v9, v27
	v_mul_lo_u32 v9, v9, 24
	v_mul_hi_u32 v32, v8, 24
	v_mul_lo_u32 v8, v8, 24
	v_add_u32_e32 v9, v32, v9
	s_waitcnt vmcnt(0)
	v_add_co_u32_e64 v8, s[6:7], v24, v8
	v_addc_co_u32_e64 v9, s[6:7], v25, v9, s[6:7]
	global_load_dwordx2 v[24:25], v[8:9], off glc
	s_waitcnt vmcnt(0)
	global_atomic_cmpswap_x2 v[8:9], v33, v[24:27], s[10:11] offset:24 glc
	s_waitcnt vmcnt(0)
	buffer_invl2
	buffer_wbinvl1_vol
	v_cmp_ne_u64_e64 s[6:7], v[8:9], v[26:27]
	s_and_saveexec_b64 s[16:17], s[6:7]
	s_cbranch_execz .LBB1_91
; %bb.88:                               ;   in Loop: Header=BB1_30 Depth=1
	s_mov_b64 s[18:19], 0
.LBB1_89:                               ;   Parent Loop BB1_30 Depth=1
                                        ; =>  This Inner Loop Header: Depth=2
	s_sleep 1
	global_load_dwordx2 v[24:25], v33, s[10:11] offset:40
	global_load_dwordx2 v[34:35], v33, s[10:11]
	v_pk_mov_b32 v[26:27], v[8:9], v[8:9] op_sel:[0,1]
	s_waitcnt vmcnt(1)
	v_and_b32_e32 v8, v24, v26
	s_waitcnt vmcnt(0)
	v_mad_u64_u32 v[8:9], s[6:7], v8, 24, v[34:35]
	v_and_b32_e32 v25, v25, v27
	v_mov_b32_e32 v24, v9
	v_mad_u64_u32 v[24:25], s[6:7], v25, 24, v[24:25]
	v_mov_b32_e32 v9, v24
	global_load_dwordx2 v[24:25], v[8:9], off glc
	s_waitcnt vmcnt(0)
	global_atomic_cmpswap_x2 v[8:9], v33, v[24:27], s[10:11] offset:24 glc
	s_waitcnt vmcnt(0)
	buffer_invl2
	buffer_wbinvl1_vol
	v_cmp_eq_u64_e64 s[6:7], v[8:9], v[26:27]
	s_or_b64 s[18:19], s[6:7], s[18:19]
	s_andn2_b64 exec, exec, s[18:19]
	s_cbranch_execnz .LBB1_89
; %bb.90:                               ;   in Loop: Header=BB1_30 Depth=1
	s_or_b64 exec, exec, s[18:19]
.LBB1_91:                               ;   in Loop: Header=BB1_30 Depth=1
	s_or_b64 exec, exec, s[16:17]
.LBB1_92:                               ;   in Loop: Header=BB1_30 Depth=1
	s_or_b64 exec, exec, s[14:15]
	global_load_dwordx2 v[34:35], v33, s[10:11] offset:40
	global_load_dwordx4 v[24:27], v33, s[10:11]
	v_readfirstlane_b32 s14, v8
	v_readfirstlane_b32 s15, v9
	s_mov_b64 s[16:17], exec
	s_waitcnt vmcnt(1)
	v_readfirstlane_b32 s6, v34
	v_readfirstlane_b32 s7, v35
	s_and_b64 s[18:19], s[14:15], s[6:7]
	s_mul_i32 s6, s19, 24
	s_mul_hi_u32 s7, s18, 24
	s_mul_i32 s22, s18, 24
	s_add_i32 s6, s7, s6
	v_mov_b32_e32 v8, s6
	s_waitcnt vmcnt(0)
	v_add_co_u32_e64 v34, s[6:7], s22, v24
	v_addc_co_u32_e64 v35, s[6:7], v25, v8, s[6:7]
	s_and_saveexec_b64 s[6:7], s[4:5]
	s_cbranch_execz .LBB1_94
; %bb.93:                               ;   in Loop: Header=BB1_30 Depth=1
	v_pk_mov_b32 v[8:9], s[16:17], s[16:17] op_sel:[0,1]
	global_store_dwordx4 v[34:35], v[8:11], off offset:8
.LBB1_94:                               ;   in Loop: Header=BB1_30 Depth=1
	s_or_b64 exec, exec, s[6:7]
	s_lshl_b64 s[6:7], s[18:19], 12
	v_cndmask_b32_e32 v39, 0, v29, vcc
	v_mov_b32_e32 v9, s7
	v_add_co_u32_e32 v8, vcc, s6, v26
	v_addc_co_u32_e32 v9, vcc, v27, v9, vcc
	v_or_b32_e32 v26, 0, v1
	v_cmp_lt_u64_e32 vcc, 56, v[28:29]
	v_or_b32_e32 v27, v0, v30
	v_cndmask_b32_e32 v1, v26, v1, vcc
	v_lshl_add_u32 v26, v38, 2, 28
	v_cndmask_b32_e32 v0, v27, v0, vcc
	v_and_b32_e32 v26, 0x1e0, v26
	v_and_or_b32 v0, v0, s21, v26
	v_readfirstlane_b32 s6, v8
	v_readfirstlane_b32 s7, v9
	s_nop 4
	global_store_dwordx4 v36, v[0:3], s[6:7]
	global_store_dwordx4 v36, v[12:15], s[6:7] offset:16
	global_store_dwordx4 v36, v[16:19], s[6:7] offset:32
	;; [unrolled: 1-line block ×3, first 2 shown]
	s_and_saveexec_b64 s[6:7], s[4:5]
	s_cbranch_execz .LBB1_102
; %bb.95:                               ;   in Loop: Header=BB1_30 Depth=1
	global_load_dwordx2 v[16:17], v33, s[10:11] offset:32 glc
	global_load_dwordx2 v[0:1], v33, s[10:11] offset:40
	v_mov_b32_e32 v14, s14
	v_mov_b32_e32 v15, s15
	s_waitcnt vmcnt(0)
	v_readfirstlane_b32 s16, v0
	v_readfirstlane_b32 s17, v1
	s_and_b64 s[16:17], s[16:17], s[14:15]
	s_mul_i32 s17, s17, 24
	s_mul_hi_u32 s18, s16, 24
	s_mul_i32 s16, s16, 24
	s_add_i32 s17, s18, s17
	v_mov_b32_e32 v0, s17
	v_add_co_u32_e32 v12, vcc, s16, v24
	v_addc_co_u32_e32 v13, vcc, v25, v0, vcc
	global_store_dwordx2 v[12:13], v[16:17], off
	buffer_wbl2
	s_waitcnt vmcnt(0)
	global_atomic_cmpswap_x2 v[2:3], v33, v[14:17], s[10:11] offset:32 glc
	s_waitcnt vmcnt(0)
	v_cmp_ne_u64_e32 vcc, v[2:3], v[16:17]
	s_and_saveexec_b64 s[16:17], vcc
	s_cbranch_execz .LBB1_98
; %bb.96:                               ;   in Loop: Header=BB1_30 Depth=1
	s_mov_b64 s[18:19], 0
.LBB1_97:                               ;   Parent Loop BB1_30 Depth=1
                                        ; =>  This Inner Loop Header: Depth=2
	s_sleep 1
	global_store_dwordx2 v[12:13], v[2:3], off
	v_mov_b32_e32 v0, s14
	v_mov_b32_e32 v1, s15
	buffer_wbl2
	s_waitcnt vmcnt(0)
	global_atomic_cmpswap_x2 v[0:1], v33, v[0:3], s[10:11] offset:32 glc
	s_waitcnt vmcnt(0)
	v_cmp_eq_u64_e32 vcc, v[0:1], v[2:3]
	s_or_b64 s[18:19], vcc, s[18:19]
	v_pk_mov_b32 v[2:3], v[0:1], v[0:1] op_sel:[0,1]
	s_andn2_b64 exec, exec, s[18:19]
	s_cbranch_execnz .LBB1_97
.LBB1_98:                               ;   in Loop: Header=BB1_30 Depth=1
	s_or_b64 exec, exec, s[16:17]
	global_load_dwordx2 v[0:1], v33, s[10:11] offset:16
	s_mov_b64 s[18:19], exec
	v_mbcnt_lo_u32_b32 v2, s18, 0
	v_mbcnt_hi_u32_b32 v2, s19, v2
	v_cmp_eq_u32_e32 vcc, 0, v2
	s_and_saveexec_b64 s[16:17], vcc
	s_cbranch_execz .LBB1_100
; %bb.99:                               ;   in Loop: Header=BB1_30 Depth=1
	s_bcnt1_i32_b64 s18, s[18:19]
	v_mov_b32_e32 v32, s18
	buffer_wbl2
	s_waitcnt vmcnt(0)
	global_atomic_add_x2 v[0:1], v[32:33], off offset:8
.LBB1_100:                              ;   in Loop: Header=BB1_30 Depth=1
	s_or_b64 exec, exec, s[16:17]
	s_waitcnt vmcnt(0)
	global_load_dwordx2 v[2:3], v[0:1], off offset:16
	s_waitcnt vmcnt(0)
	v_cmp_eq_u64_e32 vcc, 0, v[2:3]
	s_cbranch_vccnz .LBB1_102
; %bb.101:                              ;   in Loop: Header=BB1_30 Depth=1
	global_load_dword v32, v[0:1], off offset:24
	s_waitcnt vmcnt(0)
	v_and_b32_e32 v0, 0xffffff, v32
	v_readfirstlane_b32 m0, v0
	buffer_wbl2
	global_store_dwordx2 v[2:3], v[32:33], off
	s_sendmsg sendmsg(MSG_INTERRUPT)
.LBB1_102:                              ;   in Loop: Header=BB1_30 Depth=1
	s_or_b64 exec, exec, s[6:7]
	v_add_co_u32_e32 v0, vcc, v8, v36
	v_addc_co_u32_e32 v1, vcc, 0, v9, vcc
	s_branch .LBB1_106
.LBB1_103:                              ;   in Loop: Header=BB1_106 Depth=2
	s_or_b64 exec, exec, s[6:7]
	v_readfirstlane_b32 s6, v2
	s_cmp_eq_u32 s6, 0
	s_cbranch_scc1 .LBB1_105
; %bb.104:                              ;   in Loop: Header=BB1_106 Depth=2
	s_sleep 1
	s_cbranch_execnz .LBB1_106
	s_branch .LBB1_108
.LBB1_105:                              ;   in Loop: Header=BB1_30 Depth=1
	s_branch .LBB1_108
.LBB1_106:                              ;   Parent Loop BB1_30 Depth=1
                                        ; =>  This Inner Loop Header: Depth=2
	v_mov_b32_e32 v2, 1
	s_and_saveexec_b64 s[6:7], s[4:5]
	s_cbranch_execz .LBB1_103
; %bb.107:                              ;   in Loop: Header=BB1_106 Depth=2
	global_load_dword v2, v[34:35], off offset:20 glc
	s_waitcnt vmcnt(0)
	buffer_invl2
	buffer_wbinvl1_vol
	v_and_b32_e32 v2, 1, v2
	s_branch .LBB1_103
.LBB1_108:                              ;   in Loop: Header=BB1_30 Depth=1
	global_load_dwordx4 v[0:3], v[0:1], off
	s_and_saveexec_b64 s[6:7], s[4:5]
	s_cbranch_execz .LBB1_29
; %bb.109:                              ;   in Loop: Header=BB1_30 Depth=1
	global_load_dwordx2 v[2:3], v33, s[10:11] offset:40
	global_load_dwordx2 v[8:9], v33, s[10:11] offset:24 glc
	global_load_dwordx2 v[16:17], v33, s[10:11]
	v_mov_b32_e32 v13, s15
	s_waitcnt vmcnt(2)
	v_add_co_u32_e32 v15, vcc, 1, v2
	v_addc_co_u32_e32 v18, vcc, 0, v3, vcc
	v_add_co_u32_e32 v12, vcc, s14, v15
	v_addc_co_u32_e32 v13, vcc, v18, v13, vcc
	v_cmp_eq_u64_e32 vcc, 0, v[12:13]
	v_cndmask_b32_e32 v13, v13, v18, vcc
	v_cndmask_b32_e32 v12, v12, v15, vcc
	v_and_b32_e32 v3, v13, v3
	v_and_b32_e32 v2, v12, v2
	v_mul_lo_u32 v3, v3, 24
	v_mul_hi_u32 v15, v2, 24
	v_mul_lo_u32 v2, v2, 24
	v_add_u32_e32 v3, v15, v3
	s_waitcnt vmcnt(0)
	v_add_co_u32_e32 v2, vcc, v16, v2
	v_addc_co_u32_e32 v3, vcc, v17, v3, vcc
	v_mov_b32_e32 v14, v8
	global_store_dwordx2 v[2:3], v[8:9], off
	v_mov_b32_e32 v15, v9
	buffer_wbl2
	s_waitcnt vmcnt(0)
	global_atomic_cmpswap_x2 v[14:15], v33, v[12:15], s[10:11] offset:24 glc
	s_waitcnt vmcnt(0)
	v_cmp_ne_u64_e32 vcc, v[14:15], v[8:9]
	s_and_b64 exec, exec, vcc
	s_cbranch_execz .LBB1_29
; %bb.110:                              ;   in Loop: Header=BB1_30 Depth=1
	s_mov_b64 s[4:5], 0
.LBB1_111:                              ;   Parent Loop BB1_30 Depth=1
                                        ; =>  This Inner Loop Header: Depth=2
	s_sleep 1
	global_store_dwordx2 v[2:3], v[14:15], off
	buffer_wbl2
	s_waitcnt vmcnt(0)
	global_atomic_cmpswap_x2 v[8:9], v33, v[12:15], s[10:11] offset:24 glc
	s_waitcnt vmcnt(0)
	v_cmp_eq_u64_e32 vcc, v[8:9], v[14:15]
	s_or_b64 s[4:5], vcc, s[4:5]
	v_pk_mov_b32 v[14:15], v[8:9], v[8:9] op_sel:[0,1]
	s_andn2_b64 exec, exec, s[4:5]
	s_cbranch_execnz .LBB1_111
	s_branch .LBB1_29
.LBB1_112:
                                        ; implicit-def: $vgpr0_vgpr1
	s_cbranch_execnz .LBB1_114
	s_branch .LBB1_140
.LBB1_113:
	s_or_b64 exec, exec, s[12:13]
	s_branch .LBB1_140
.LBB1_114:
	v_readfirstlane_b32 s4, v37
	v_cmp_eq_u32_e64 s[4:5], s4, v37
	v_pk_mov_b32 v[10:11], 0, 0
	s_and_saveexec_b64 s[6:7], s[4:5]
	s_cbranch_execz .LBB1_120
; %bb.115:
	s_waitcnt vmcnt(0)
	v_mov_b32_e32 v0, 0
	global_load_dwordx2 v[12:13], v0, s[10:11] offset:24 glc
	s_waitcnt vmcnt(0)
	buffer_invl2
	buffer_wbinvl1_vol
	global_load_dwordx2 v[2:3], v0, s[10:11] offset:40
	global_load_dwordx2 v[8:9], v0, s[10:11]
	s_waitcnt vmcnt(1)
	v_and_b32_e32 v1, v2, v12
	v_and_b32_e32 v2, v3, v13
	v_mul_lo_u32 v2, v2, 24
	v_mul_hi_u32 v3, v1, 24
	v_mul_lo_u32 v1, v1, 24
	v_add_u32_e32 v3, v3, v2
	s_waitcnt vmcnt(0)
	v_add_co_u32_e32 v2, vcc, v8, v1
	v_addc_co_u32_e32 v3, vcc, v9, v3, vcc
	global_load_dwordx2 v[10:11], v[2:3], off glc
	s_waitcnt vmcnt(0)
	global_atomic_cmpswap_x2 v[10:11], v0, v[10:13], s[10:11] offset:24 glc
	s_waitcnt vmcnt(0)
	buffer_invl2
	buffer_wbinvl1_vol
	v_cmp_ne_u64_e32 vcc, v[10:11], v[12:13]
	s_and_saveexec_b64 s[12:13], vcc
	s_cbranch_execz .LBB1_119
; %bb.116:
	s_mov_b64 s[14:15], 0
.LBB1_117:                              ; =>This Inner Loop Header: Depth=1
	s_sleep 1
	global_load_dwordx2 v[2:3], v0, s[10:11] offset:40
	global_load_dwordx2 v[8:9], v0, s[10:11]
	v_pk_mov_b32 v[12:13], v[10:11], v[10:11] op_sel:[0,1]
	s_waitcnt vmcnt(1)
	v_and_b32_e32 v2, v2, v12
	v_and_b32_e32 v1, v3, v13
	s_waitcnt vmcnt(0)
	v_mad_u64_u32 v[2:3], s[16:17], v2, 24, v[8:9]
	v_mov_b32_e32 v8, v3
	v_mad_u64_u32 v[8:9], s[16:17], v1, 24, v[8:9]
	v_mov_b32_e32 v3, v8
	global_load_dwordx2 v[10:11], v[2:3], off glc
	s_waitcnt vmcnt(0)
	global_atomic_cmpswap_x2 v[10:11], v0, v[10:13], s[10:11] offset:24 glc
	s_waitcnt vmcnt(0)
	buffer_invl2
	buffer_wbinvl1_vol
	v_cmp_eq_u64_e32 vcc, v[10:11], v[12:13]
	s_or_b64 s[14:15], vcc, s[14:15]
	s_andn2_b64 exec, exec, s[14:15]
	s_cbranch_execnz .LBB1_117
; %bb.118:
	s_or_b64 exec, exec, s[14:15]
.LBB1_119:
	s_or_b64 exec, exec, s[12:13]
.LBB1_120:
	s_or_b64 exec, exec, s[6:7]
	v_mov_b32_e32 v8, 0
	global_load_dwordx2 v[12:13], v8, s[10:11] offset:40
	global_load_dwordx4 v[0:3], v8, s[10:11]
	v_readfirstlane_b32 s6, v10
	v_readfirstlane_b32 s7, v11
	s_mov_b64 s[12:13], exec
	s_waitcnt vmcnt(1)
	v_readfirstlane_b32 s14, v12
	v_readfirstlane_b32 s15, v13
	s_and_b64 s[14:15], s[6:7], s[14:15]
	s_mul_i32 s16, s15, 24
	s_mul_hi_u32 s17, s14, 24
	s_mul_i32 s18, s14, 24
	s_add_i32 s16, s17, s16
	v_mov_b32_e32 v9, s16
	s_waitcnt vmcnt(0)
	v_add_co_u32_e32 v10, vcc, s18, v0
	v_addc_co_u32_e32 v11, vcc, v1, v9, vcc
	s_and_saveexec_b64 s[16:17], s[4:5]
	s_cbranch_execz .LBB1_122
; %bb.121:
	v_pk_mov_b32 v[12:13], s[12:13], s[12:13] op_sel:[0,1]
	v_mov_b32_e32 v14, 2
	v_mov_b32_e32 v15, 1
	global_store_dwordx4 v[10:11], v[12:15], off offset:8
.LBB1_122:
	s_or_b64 exec, exec, s[16:17]
	s_lshl_b64 s[12:13], s[14:15], 12
	v_mov_b32_e32 v9, s13
	v_add_co_u32_e32 v2, vcc, s12, v2
	s_movk_i32 s12, 0xff1f
	v_addc_co_u32_e32 v3, vcc, v3, v9, vcc
	v_and_or_b32 v6, v6, s12, 32
	s_mov_b32 s12, 0
	v_mov_b32_e32 v9, v8
	v_readfirstlane_b32 s16, v2
	v_readfirstlane_b32 s17, v3
	s_mov_b32 s13, s12
	v_add_co_u32_e32 v12, vcc, v2, v36
	s_mov_b32 s14, s12
	s_mov_b32 s15, s12
	s_nop 0
	global_store_dwordx4 v36, v[6:9], s[16:17]
	v_addc_co_u32_e32 v13, vcc, 0, v3, vcc
	v_pk_mov_b32 v[6:7], s[12:13], s[12:13] op_sel:[0,1]
	v_pk_mov_b32 v[8:9], s[14:15], s[14:15] op_sel:[0,1]
	global_store_dwordx4 v36, v[6:9], s[16:17] offset:16
	global_store_dwordx4 v36, v[6:9], s[16:17] offset:32
	;; [unrolled: 1-line block ×3, first 2 shown]
	s_and_saveexec_b64 s[12:13], s[4:5]
	s_cbranch_execz .LBB1_130
; %bb.123:
	v_mov_b32_e32 v8, 0
	global_load_dwordx2 v[16:17], v8, s[10:11] offset:32 glc
	global_load_dwordx2 v[2:3], v8, s[10:11] offset:40
	v_mov_b32_e32 v14, s6
	v_mov_b32_e32 v15, s7
	s_waitcnt vmcnt(0)
	v_readfirstlane_b32 s14, v2
	v_readfirstlane_b32 s15, v3
	s_and_b64 s[14:15], s[14:15], s[6:7]
	s_mul_i32 s15, s15, 24
	s_mul_hi_u32 s16, s14, 24
	s_mul_i32 s14, s14, 24
	s_add_i32 s15, s16, s15
	v_mov_b32_e32 v2, s15
	v_add_co_u32_e32 v6, vcc, s14, v0
	v_addc_co_u32_e32 v7, vcc, v1, v2, vcc
	global_store_dwordx2 v[6:7], v[16:17], off
	buffer_wbl2
	s_waitcnt vmcnt(0)
	global_atomic_cmpswap_x2 v[2:3], v8, v[14:17], s[10:11] offset:32 glc
	s_waitcnt vmcnt(0)
	v_cmp_ne_u64_e32 vcc, v[2:3], v[16:17]
	s_and_saveexec_b64 s[14:15], vcc
	s_cbranch_execz .LBB1_126
; %bb.124:
	s_mov_b64 s[16:17], 0
.LBB1_125:                              ; =>This Inner Loop Header: Depth=1
	s_sleep 1
	global_store_dwordx2 v[6:7], v[2:3], off
	v_mov_b32_e32 v0, s6
	v_mov_b32_e32 v1, s7
	buffer_wbl2
	s_waitcnt vmcnt(0)
	global_atomic_cmpswap_x2 v[0:1], v8, v[0:3], s[10:11] offset:32 glc
	s_waitcnt vmcnt(0)
	v_cmp_eq_u64_e32 vcc, v[0:1], v[2:3]
	s_or_b64 s[16:17], vcc, s[16:17]
	v_pk_mov_b32 v[2:3], v[0:1], v[0:1] op_sel:[0,1]
	s_andn2_b64 exec, exec, s[16:17]
	s_cbranch_execnz .LBB1_125
.LBB1_126:
	s_or_b64 exec, exec, s[14:15]
	v_mov_b32_e32 v3, 0
	global_load_dwordx2 v[0:1], v3, s[10:11] offset:16
	s_mov_b64 s[14:15], exec
	v_mbcnt_lo_u32_b32 v2, s14, 0
	v_mbcnt_hi_u32_b32 v2, s15, v2
	v_cmp_eq_u32_e32 vcc, 0, v2
	s_and_saveexec_b64 s[16:17], vcc
	s_cbranch_execz .LBB1_128
; %bb.127:
	s_bcnt1_i32_b64 s14, s[14:15]
	v_mov_b32_e32 v2, s14
	buffer_wbl2
	s_waitcnt vmcnt(0)
	global_atomic_add_x2 v[0:1], v[2:3], off offset:8
.LBB1_128:
	s_or_b64 exec, exec, s[16:17]
	s_waitcnt vmcnt(0)
	global_load_dwordx2 v[2:3], v[0:1], off offset:16
	s_waitcnt vmcnt(0)
	v_cmp_eq_u64_e32 vcc, 0, v[2:3]
	s_cbranch_vccnz .LBB1_130
; %bb.129:
	global_load_dword v0, v[0:1], off offset:24
	v_mov_b32_e32 v1, 0
	buffer_wbl2
	s_waitcnt vmcnt(0)
	global_store_dwordx2 v[2:3], v[0:1], off
	v_and_b32_e32 v0, 0xffffff, v0
	v_readfirstlane_b32 m0, v0
	s_sendmsg sendmsg(MSG_INTERRUPT)
.LBB1_130:
	s_or_b64 exec, exec, s[12:13]
	s_branch .LBB1_134
.LBB1_131:                              ;   in Loop: Header=BB1_134 Depth=1
	s_or_b64 exec, exec, s[12:13]
	v_readfirstlane_b32 s12, v0
	s_cmp_eq_u32 s12, 0
	s_cbranch_scc1 .LBB1_133
; %bb.132:                              ;   in Loop: Header=BB1_134 Depth=1
	s_sleep 1
	s_cbranch_execnz .LBB1_134
	s_branch .LBB1_136
.LBB1_133:
	s_branch .LBB1_136
.LBB1_134:                              ; =>This Inner Loop Header: Depth=1
	v_mov_b32_e32 v0, 1
	s_and_saveexec_b64 s[12:13], s[4:5]
	s_cbranch_execz .LBB1_131
; %bb.135:                              ;   in Loop: Header=BB1_134 Depth=1
	global_load_dword v0, v[10:11], off offset:20 glc
	s_waitcnt vmcnt(0)
	buffer_invl2
	buffer_wbinvl1_vol
	v_and_b32_e32 v0, 1, v0
	s_branch .LBB1_131
.LBB1_136:
	global_load_dwordx2 v[0:1], v[12:13], off
	s_and_saveexec_b64 s[12:13], s[4:5]
	s_cbranch_execz .LBB1_139
; %bb.137:
	v_mov_b32_e32 v10, 0
	global_load_dwordx2 v[2:3], v10, s[10:11] offset:40
	global_load_dwordx2 v[12:13], v10, s[10:11] offset:24 glc
	global_load_dwordx2 v[14:15], v10, s[10:11]
	v_mov_b32_e32 v7, s7
	s_mov_b64 s[4:5], 0
	s_waitcnt vmcnt(2)
	v_add_co_u32_e32 v9, vcc, 1, v2
	v_addc_co_u32_e32 v11, vcc, 0, v3, vcc
	v_add_co_u32_e32 v6, vcc, s6, v9
	v_addc_co_u32_e32 v7, vcc, v11, v7, vcc
	v_cmp_eq_u64_e32 vcc, 0, v[6:7]
	v_cndmask_b32_e32 v7, v7, v11, vcc
	v_cndmask_b32_e32 v6, v6, v9, vcc
	v_and_b32_e32 v3, v7, v3
	v_and_b32_e32 v2, v6, v2
	v_mul_lo_u32 v3, v3, 24
	v_mul_hi_u32 v9, v2, 24
	v_mul_lo_u32 v2, v2, 24
	v_add_u32_e32 v3, v9, v3
	s_waitcnt vmcnt(0)
	v_add_co_u32_e32 v2, vcc, v14, v2
	v_addc_co_u32_e32 v3, vcc, v15, v3, vcc
	v_mov_b32_e32 v8, v12
	global_store_dwordx2 v[2:3], v[12:13], off
	v_mov_b32_e32 v9, v13
	buffer_wbl2
	s_waitcnt vmcnt(0)
	global_atomic_cmpswap_x2 v[8:9], v10, v[6:9], s[10:11] offset:24 glc
	s_waitcnt vmcnt(0)
	v_cmp_ne_u64_e32 vcc, v[8:9], v[12:13]
	s_and_b64 exec, exec, vcc
	s_cbranch_execz .LBB1_139
.LBB1_138:                              ; =>This Inner Loop Header: Depth=1
	s_sleep 1
	global_store_dwordx2 v[2:3], v[8:9], off
	buffer_wbl2
	s_waitcnt vmcnt(0)
	global_atomic_cmpswap_x2 v[12:13], v10, v[6:9], s[10:11] offset:24 glc
	s_waitcnt vmcnt(0)
	v_cmp_eq_u64_e32 vcc, v[12:13], v[8:9]
	s_or_b64 s[4:5], vcc, s[4:5]
	v_pk_mov_b32 v[8:9], v[12:13], v[12:13] op_sel:[0,1]
	s_andn2_b64 exec, exec, s[4:5]
	s_cbranch_execnz .LBB1_138
.LBB1_139:
	s_or_b64 exec, exec, s[12:13]
.LBB1_140:
	s_getpc_b64 s[6:7]
	s_add_u32 s6, s6, .str.2@rel32@lo+4
	s_addc_u32 s7, s7, .str.2@rel32@hi+12
	s_cmp_lg_u64 s[6:7], 0
	s_cbranch_scc0 .LBB1_224
; %bb.141:
	s_getpc_b64 s[4:5]
	s_add_u32 s4, s4, .str.2@rel32@lo+80
	s_addc_u32 s5, s5, .str.2@rel32@hi+88
	s_sub_i32 s12, s4, s6
	s_ashr_i32 s13, s12, 31
	s_waitcnt vmcnt(0)
	v_and_b32_e32 v2, 2, v0
	v_mov_b32_e32 v33, 0
	v_and_b32_e32 v6, -3, v0
	v_mov_b32_e32 v7, v1
	v_mov_b32_e32 v10, 2
	;; [unrolled: 1-line block ×3, first 2 shown]
	s_branch .LBB1_143
.LBB1_142:                              ;   in Loop: Header=BB1_143 Depth=1
	s_or_b64 exec, exec, s[18:19]
	s_sub_u32 s12, s12, s14
	s_subb_u32 s13, s13, s15
	s_add_u32 s6, s6, s14
	s_addc_u32 s7, s7, s15
	s_cmp_lg_u64 s[12:13], 0
	s_cbranch_scc0 .LBB1_225
.LBB1_143:                              ; =>This Loop Header: Depth=1
                                        ;     Child Loop BB1_146 Depth 2
                                        ;     Child Loop BB1_153 Depth 2
	;; [unrolled: 1-line block ×11, first 2 shown]
	v_cmp_lt_u64_e64 s[4:5], s[12:13], 56
	s_and_b64 s[4:5], s[4:5], exec
	v_cmp_gt_u64_e64 s[4:5], s[12:13], 7
	s_cselect_b32 s15, s13, 0
	s_cselect_b32 s14, s12, 56
	s_and_b64 vcc, exec, s[4:5]
	s_cbranch_vccnz .LBB1_148
; %bb.144:                              ;   in Loop: Header=BB1_143 Depth=1
	s_mov_b64 s[4:5], 0
	s_cmp_eq_u64 s[12:13], 0
	v_pk_mov_b32 v[14:15], 0, 0
	s_cbranch_scc1 .LBB1_147
; %bb.145:                              ;   in Loop: Header=BB1_143 Depth=1
	s_lshl_b64 s[16:17], s[14:15], 3
	s_mov_b64 s[18:19], 0
	v_pk_mov_b32 v[14:15], 0, 0
	s_mov_b64 s[20:21], s[6:7]
.LBB1_146:                              ;   Parent Loop BB1_143 Depth=1
                                        ; =>  This Inner Loop Header: Depth=2
	global_load_ubyte v3, v33, s[20:21]
	s_waitcnt vmcnt(0)
	v_and_b32_e32 v32, 0xffff, v3
	v_lshlrev_b64 v[8:9], s18, v[32:33]
	s_add_u32 s18, s18, 8
	s_addc_u32 s19, s19, 0
	s_add_u32 s20, s20, 1
	s_addc_u32 s21, s21, 0
	v_or_b32_e32 v14, v8, v14
	s_cmp_lg_u32 s16, s18
	v_or_b32_e32 v15, v9, v15
	s_cbranch_scc1 .LBB1_146
.LBB1_147:                              ;   in Loop: Header=BB1_143 Depth=1
	s_mov_b32 s20, 0
	s_andn2_b64 vcc, exec, s[4:5]
	s_mov_b64 s[4:5], s[6:7]
	s_cbranch_vccz .LBB1_149
	s_branch .LBB1_150
.LBB1_148:                              ;   in Loop: Header=BB1_143 Depth=1
                                        ; implicit-def: $vgpr14_vgpr15
                                        ; implicit-def: $sgpr20
	s_mov_b64 s[4:5], s[6:7]
.LBB1_149:                              ;   in Loop: Header=BB1_143 Depth=1
	global_load_dwordx2 v[14:15], v33, s[6:7]
	s_add_i32 s20, s14, -8
	s_add_u32 s4, s6, 8
	s_addc_u32 s5, s7, 0
.LBB1_150:                              ;   in Loop: Header=BB1_143 Depth=1
	s_cmp_gt_u32 s20, 7
	s_cbranch_scc1 .LBB1_154
; %bb.151:                              ;   in Loop: Header=BB1_143 Depth=1
	s_cmp_eq_u32 s20, 0
	s_cbranch_scc1 .LBB1_155
; %bb.152:                              ;   in Loop: Header=BB1_143 Depth=1
	s_mov_b64 s[16:17], 0
	v_pk_mov_b32 v[16:17], 0, 0
	s_mov_b64 s[18:19], 0
.LBB1_153:                              ;   Parent Loop BB1_143 Depth=1
                                        ; =>  This Inner Loop Header: Depth=2
	s_add_u32 s22, s4, s18
	s_addc_u32 s23, s5, s19
	global_load_ubyte v3, v33, s[22:23]
	s_add_u32 s18, s18, 1
	s_addc_u32 s19, s19, 0
	s_waitcnt vmcnt(0)
	v_and_b32_e32 v32, 0xffff, v3
	v_lshlrev_b64 v[8:9], s16, v[32:33]
	s_add_u32 s16, s16, 8
	s_addc_u32 s17, s17, 0
	v_or_b32_e32 v16, v8, v16
	s_cmp_lg_u32 s20, s18
	v_or_b32_e32 v17, v9, v17
	s_cbranch_scc1 .LBB1_153
	s_branch .LBB1_156
.LBB1_154:                              ;   in Loop: Header=BB1_143 Depth=1
                                        ; implicit-def: $vgpr16_vgpr17
                                        ; implicit-def: $sgpr21
	s_branch .LBB1_157
.LBB1_155:                              ;   in Loop: Header=BB1_143 Depth=1
	v_pk_mov_b32 v[16:17], 0, 0
.LBB1_156:                              ;   in Loop: Header=BB1_143 Depth=1
	s_mov_b32 s21, 0
	s_cbranch_execnz .LBB1_158
.LBB1_157:                              ;   in Loop: Header=BB1_143 Depth=1
	global_load_dwordx2 v[16:17], v33, s[4:5]
	s_add_i32 s21, s20, -8
	s_add_u32 s4, s4, 8
	s_addc_u32 s5, s5, 0
.LBB1_158:                              ;   in Loop: Header=BB1_143 Depth=1
	s_cmp_gt_u32 s21, 7
	s_cbranch_scc1 .LBB1_162
; %bb.159:                              ;   in Loop: Header=BB1_143 Depth=1
	s_cmp_eq_u32 s21, 0
	s_cbranch_scc1 .LBB1_163
; %bb.160:                              ;   in Loop: Header=BB1_143 Depth=1
	s_mov_b64 s[16:17], 0
	v_pk_mov_b32 v[18:19], 0, 0
	s_mov_b64 s[18:19], 0
.LBB1_161:                              ;   Parent Loop BB1_143 Depth=1
                                        ; =>  This Inner Loop Header: Depth=2
	s_add_u32 s22, s4, s18
	s_addc_u32 s23, s5, s19
	global_load_ubyte v3, v33, s[22:23]
	s_add_u32 s18, s18, 1
	s_addc_u32 s19, s19, 0
	s_waitcnt vmcnt(0)
	v_and_b32_e32 v32, 0xffff, v3
	v_lshlrev_b64 v[8:9], s16, v[32:33]
	s_add_u32 s16, s16, 8
	s_addc_u32 s17, s17, 0
	v_or_b32_e32 v18, v8, v18
	s_cmp_lg_u32 s21, s18
	v_or_b32_e32 v19, v9, v19
	s_cbranch_scc1 .LBB1_161
	s_branch .LBB1_164
.LBB1_162:                              ;   in Loop: Header=BB1_143 Depth=1
                                        ; implicit-def: $sgpr20
	s_branch .LBB1_165
.LBB1_163:                              ;   in Loop: Header=BB1_143 Depth=1
	v_pk_mov_b32 v[18:19], 0, 0
.LBB1_164:                              ;   in Loop: Header=BB1_143 Depth=1
	s_mov_b32 s20, 0
	s_cbranch_execnz .LBB1_166
.LBB1_165:                              ;   in Loop: Header=BB1_143 Depth=1
	global_load_dwordx2 v[18:19], v33, s[4:5]
	s_add_i32 s20, s21, -8
	s_add_u32 s4, s4, 8
	s_addc_u32 s5, s5, 0
.LBB1_166:                              ;   in Loop: Header=BB1_143 Depth=1
	s_cmp_gt_u32 s20, 7
	s_cbranch_scc1 .LBB1_170
; %bb.167:                              ;   in Loop: Header=BB1_143 Depth=1
	s_cmp_eq_u32 s20, 0
	s_cbranch_scc1 .LBB1_171
; %bb.168:                              ;   in Loop: Header=BB1_143 Depth=1
	s_mov_b64 s[16:17], 0
	v_pk_mov_b32 v[20:21], 0, 0
	s_mov_b64 s[18:19], 0
.LBB1_169:                              ;   Parent Loop BB1_143 Depth=1
                                        ; =>  This Inner Loop Header: Depth=2
	s_add_u32 s22, s4, s18
	s_addc_u32 s23, s5, s19
	global_load_ubyte v3, v33, s[22:23]
	s_add_u32 s18, s18, 1
	s_addc_u32 s19, s19, 0
	s_waitcnt vmcnt(0)
	v_and_b32_e32 v32, 0xffff, v3
	v_lshlrev_b64 v[8:9], s16, v[32:33]
	s_add_u32 s16, s16, 8
	s_addc_u32 s17, s17, 0
	v_or_b32_e32 v20, v8, v20
	s_cmp_lg_u32 s20, s18
	v_or_b32_e32 v21, v9, v21
	s_cbranch_scc1 .LBB1_169
	s_branch .LBB1_172
.LBB1_170:                              ;   in Loop: Header=BB1_143 Depth=1
                                        ; implicit-def: $vgpr20_vgpr21
                                        ; implicit-def: $sgpr21
	s_branch .LBB1_173
.LBB1_171:                              ;   in Loop: Header=BB1_143 Depth=1
	v_pk_mov_b32 v[20:21], 0, 0
.LBB1_172:                              ;   in Loop: Header=BB1_143 Depth=1
	s_mov_b32 s21, 0
	s_cbranch_execnz .LBB1_174
.LBB1_173:                              ;   in Loop: Header=BB1_143 Depth=1
	global_load_dwordx2 v[20:21], v33, s[4:5]
	s_add_i32 s21, s20, -8
	s_add_u32 s4, s4, 8
	s_addc_u32 s5, s5, 0
.LBB1_174:                              ;   in Loop: Header=BB1_143 Depth=1
	s_cmp_gt_u32 s21, 7
	s_cbranch_scc1 .LBB1_178
; %bb.175:                              ;   in Loop: Header=BB1_143 Depth=1
	s_cmp_eq_u32 s21, 0
	s_cbranch_scc1 .LBB1_179
; %bb.176:                              ;   in Loop: Header=BB1_143 Depth=1
	s_mov_b64 s[16:17], 0
	v_pk_mov_b32 v[22:23], 0, 0
	s_mov_b64 s[18:19], 0
.LBB1_177:                              ;   Parent Loop BB1_143 Depth=1
                                        ; =>  This Inner Loop Header: Depth=2
	s_add_u32 s22, s4, s18
	s_addc_u32 s23, s5, s19
	global_load_ubyte v3, v33, s[22:23]
	s_add_u32 s18, s18, 1
	s_addc_u32 s19, s19, 0
	s_waitcnt vmcnt(0)
	v_and_b32_e32 v32, 0xffff, v3
	v_lshlrev_b64 v[8:9], s16, v[32:33]
	s_add_u32 s16, s16, 8
	s_addc_u32 s17, s17, 0
	v_or_b32_e32 v22, v8, v22
	s_cmp_lg_u32 s21, s18
	v_or_b32_e32 v23, v9, v23
	s_cbranch_scc1 .LBB1_177
	s_branch .LBB1_180
.LBB1_178:                              ;   in Loop: Header=BB1_143 Depth=1
                                        ; implicit-def: $sgpr20
	s_branch .LBB1_181
.LBB1_179:                              ;   in Loop: Header=BB1_143 Depth=1
	v_pk_mov_b32 v[22:23], 0, 0
.LBB1_180:                              ;   in Loop: Header=BB1_143 Depth=1
	s_mov_b32 s20, 0
	s_cbranch_execnz .LBB1_182
.LBB1_181:                              ;   in Loop: Header=BB1_143 Depth=1
	global_load_dwordx2 v[22:23], v33, s[4:5]
	s_add_i32 s20, s21, -8
	s_add_u32 s4, s4, 8
	s_addc_u32 s5, s5, 0
.LBB1_182:                              ;   in Loop: Header=BB1_143 Depth=1
	s_cmp_gt_u32 s20, 7
	s_cbranch_scc1 .LBB1_186
; %bb.183:                              ;   in Loop: Header=BB1_143 Depth=1
	s_cmp_eq_u32 s20, 0
	s_cbranch_scc1 .LBB1_187
; %bb.184:                              ;   in Loop: Header=BB1_143 Depth=1
	s_mov_b64 s[16:17], 0
	v_pk_mov_b32 v[24:25], 0, 0
	s_mov_b64 s[18:19], 0
.LBB1_185:                              ;   Parent Loop BB1_143 Depth=1
                                        ; =>  This Inner Loop Header: Depth=2
	s_add_u32 s22, s4, s18
	s_addc_u32 s23, s5, s19
	global_load_ubyte v3, v33, s[22:23]
	s_add_u32 s18, s18, 1
	s_addc_u32 s19, s19, 0
	s_waitcnt vmcnt(0)
	v_and_b32_e32 v32, 0xffff, v3
	v_lshlrev_b64 v[8:9], s16, v[32:33]
	s_add_u32 s16, s16, 8
	s_addc_u32 s17, s17, 0
	v_or_b32_e32 v24, v8, v24
	s_cmp_lg_u32 s20, s18
	v_or_b32_e32 v25, v9, v25
	s_cbranch_scc1 .LBB1_185
	s_branch .LBB1_188
.LBB1_186:                              ;   in Loop: Header=BB1_143 Depth=1
                                        ; implicit-def: $vgpr24_vgpr25
                                        ; implicit-def: $sgpr21
	s_branch .LBB1_189
.LBB1_187:                              ;   in Loop: Header=BB1_143 Depth=1
	v_pk_mov_b32 v[24:25], 0, 0
.LBB1_188:                              ;   in Loop: Header=BB1_143 Depth=1
	s_mov_b32 s21, 0
	s_cbranch_execnz .LBB1_190
.LBB1_189:                              ;   in Loop: Header=BB1_143 Depth=1
	global_load_dwordx2 v[24:25], v33, s[4:5]
	s_add_i32 s21, s20, -8
	s_add_u32 s4, s4, 8
	s_addc_u32 s5, s5, 0
.LBB1_190:                              ;   in Loop: Header=BB1_143 Depth=1
	s_cmp_gt_u32 s21, 7
	s_cbranch_scc1 .LBB1_194
; %bb.191:                              ;   in Loop: Header=BB1_143 Depth=1
	s_cmp_eq_u32 s21, 0
	s_cbranch_scc1 .LBB1_195
; %bb.192:                              ;   in Loop: Header=BB1_143 Depth=1
	s_mov_b64 s[16:17], 0
	v_pk_mov_b32 v[26:27], 0, 0
	s_mov_b64 s[18:19], s[4:5]
.LBB1_193:                              ;   Parent Loop BB1_143 Depth=1
                                        ; =>  This Inner Loop Header: Depth=2
	global_load_ubyte v3, v33, s[18:19]
	s_add_i32 s21, s21, -1
	s_waitcnt vmcnt(0)
	v_and_b32_e32 v32, 0xffff, v3
	v_lshlrev_b64 v[8:9], s16, v[32:33]
	s_add_u32 s16, s16, 8
	s_addc_u32 s17, s17, 0
	s_add_u32 s18, s18, 1
	s_addc_u32 s19, s19, 0
	v_or_b32_e32 v26, v8, v26
	s_cmp_lg_u32 s21, 0
	v_or_b32_e32 v27, v9, v27
	s_cbranch_scc1 .LBB1_193
	s_branch .LBB1_196
.LBB1_194:                              ;   in Loop: Header=BB1_143 Depth=1
	s_branch .LBB1_197
.LBB1_195:                              ;   in Loop: Header=BB1_143 Depth=1
	v_pk_mov_b32 v[26:27], 0, 0
.LBB1_196:                              ;   in Loop: Header=BB1_143 Depth=1
	s_cbranch_execnz .LBB1_198
.LBB1_197:                              ;   in Loop: Header=BB1_143 Depth=1
	global_load_dwordx2 v[26:27], v33, s[4:5]
.LBB1_198:                              ;   in Loop: Header=BB1_143 Depth=1
	v_readfirstlane_b32 s4, v37
	v_cmp_eq_u32_e64 s[4:5], s4, v37
	s_waitcnt vmcnt(0)
	v_pk_mov_b32 v[8:9], 0, 0
	s_and_saveexec_b64 s[16:17], s[4:5]
	s_cbranch_execz .LBB1_204
; %bb.199:                              ;   in Loop: Header=BB1_143 Depth=1
	global_load_dwordx2 v[30:31], v33, s[10:11] offset:24 glc
	s_waitcnt vmcnt(0)
	buffer_invl2
	buffer_wbinvl1_vol
	global_load_dwordx2 v[8:9], v33, s[10:11] offset:40
	global_load_dwordx2 v[12:13], v33, s[10:11]
	s_waitcnt vmcnt(1)
	v_and_b32_e32 v3, v8, v30
	v_and_b32_e32 v8, v9, v31
	v_mul_lo_u32 v8, v8, 24
	v_mul_hi_u32 v9, v3, 24
	v_mul_lo_u32 v3, v3, 24
	v_add_u32_e32 v9, v9, v8
	s_waitcnt vmcnt(0)
	v_add_co_u32_e32 v8, vcc, v12, v3
	v_addc_co_u32_e32 v9, vcc, v13, v9, vcc
	global_load_dwordx2 v[28:29], v[8:9], off glc
	s_waitcnt vmcnt(0)
	global_atomic_cmpswap_x2 v[8:9], v33, v[28:31], s[10:11] offset:24 glc
	s_waitcnt vmcnt(0)
	buffer_invl2
	buffer_wbinvl1_vol
	v_cmp_ne_u64_e32 vcc, v[8:9], v[30:31]
	s_and_saveexec_b64 s[18:19], vcc
	s_cbranch_execz .LBB1_203
; %bb.200:                              ;   in Loop: Header=BB1_143 Depth=1
	s_mov_b64 s[20:21], 0
.LBB1_201:                              ;   Parent Loop BB1_143 Depth=1
                                        ; =>  This Inner Loop Header: Depth=2
	s_sleep 1
	global_load_dwordx2 v[12:13], v33, s[10:11] offset:40
	global_load_dwordx2 v[28:29], v33, s[10:11]
	v_pk_mov_b32 v[30:31], v[8:9], v[8:9] op_sel:[0,1]
	s_waitcnt vmcnt(1)
	v_and_b32_e32 v8, v12, v30
	s_waitcnt vmcnt(0)
	v_mad_u64_u32 v[8:9], s[22:23], v8, 24, v[28:29]
	v_and_b32_e32 v3, v13, v31
	v_mov_b32_e32 v12, v9
	v_mad_u64_u32 v[12:13], s[22:23], v3, 24, v[12:13]
	v_mov_b32_e32 v9, v12
	global_load_dwordx2 v[28:29], v[8:9], off glc
	s_waitcnt vmcnt(0)
	global_atomic_cmpswap_x2 v[8:9], v33, v[28:31], s[10:11] offset:24 glc
	s_waitcnt vmcnt(0)
	buffer_invl2
	buffer_wbinvl1_vol
	v_cmp_eq_u64_e32 vcc, v[8:9], v[30:31]
	s_or_b64 s[20:21], vcc, s[20:21]
	s_andn2_b64 exec, exec, s[20:21]
	s_cbranch_execnz .LBB1_201
; %bb.202:                              ;   in Loop: Header=BB1_143 Depth=1
	s_or_b64 exec, exec, s[20:21]
.LBB1_203:                              ;   in Loop: Header=BB1_143 Depth=1
	s_or_b64 exec, exec, s[18:19]
.LBB1_204:                              ;   in Loop: Header=BB1_143 Depth=1
	s_or_b64 exec, exec, s[16:17]
	global_load_dwordx2 v[12:13], v33, s[10:11] offset:40
	global_load_dwordx4 v[28:31], v33, s[10:11]
	v_readfirstlane_b32 s16, v8
	v_readfirstlane_b32 s17, v9
	s_mov_b64 s[18:19], exec
	s_waitcnt vmcnt(1)
	v_readfirstlane_b32 s20, v12
	v_readfirstlane_b32 s21, v13
	s_and_b64 s[20:21], s[16:17], s[20:21]
	s_mul_i32 s22, s21, 24
	s_mul_hi_u32 s23, s20, 24
	s_mul_i32 s24, s20, 24
	s_add_i32 s22, s23, s22
	v_mov_b32_e32 v3, s22
	s_waitcnt vmcnt(0)
	v_add_co_u32_e32 v34, vcc, s24, v28
	v_addc_co_u32_e32 v35, vcc, v29, v3, vcc
	s_and_saveexec_b64 s[22:23], s[4:5]
	s_cbranch_execz .LBB1_206
; %bb.205:                              ;   in Loop: Header=BB1_143 Depth=1
	v_pk_mov_b32 v[8:9], s[18:19], s[18:19] op_sel:[0,1]
	global_store_dwordx4 v[34:35], v[8:11], off offset:8
.LBB1_206:                              ;   in Loop: Header=BB1_143 Depth=1
	s_or_b64 exec, exec, s[22:23]
	s_lshl_b64 s[18:19], s[20:21], 12
	v_mov_b32_e32 v3, s19
	v_add_co_u32_e32 v30, vcc, s18, v30
	v_addc_co_u32_e32 v3, vcc, v31, v3, vcc
	v_or_b32_e32 v9, v6, v2
	v_cmp_gt_u64_e64 vcc, s[12:13], 56
	s_lshl_b32 s18, s14, 2
	v_cndmask_b32_e32 v6, v9, v6, vcc
	s_add_i32 s18, s18, 28
	v_or_b32_e32 v8, 0, v7
	s_and_b32 s18, s18, 0x1e0
	v_and_b32_e32 v6, 0xffffff1f, v6
	v_cndmask_b32_e32 v13, v8, v7, vcc
	v_or_b32_e32 v12, s18, v6
	v_readfirstlane_b32 s18, v30
	v_readfirstlane_b32 s19, v3
	s_nop 4
	global_store_dwordx4 v36, v[12:15], s[18:19]
	global_store_dwordx4 v36, v[16:19], s[18:19] offset:16
	global_store_dwordx4 v36, v[20:23], s[18:19] offset:32
	global_store_dwordx4 v36, v[24:27], s[18:19] offset:48
	s_and_saveexec_b64 s[18:19], s[4:5]
	s_cbranch_execz .LBB1_214
; %bb.207:                              ;   in Loop: Header=BB1_143 Depth=1
	global_load_dwordx2 v[16:17], v33, s[10:11] offset:32 glc
	global_load_dwordx2 v[6:7], v33, s[10:11] offset:40
	v_mov_b32_e32 v14, s16
	v_mov_b32_e32 v15, s17
	s_waitcnt vmcnt(0)
	v_readfirstlane_b32 s20, v6
	v_readfirstlane_b32 s21, v7
	s_and_b64 s[20:21], s[20:21], s[16:17]
	s_mul_i32 s21, s21, 24
	s_mul_hi_u32 s22, s20, 24
	s_mul_i32 s20, s20, 24
	s_add_i32 s21, s22, s21
	v_mov_b32_e32 v6, s21
	v_add_co_u32_e32 v12, vcc, s20, v28
	v_addc_co_u32_e32 v13, vcc, v29, v6, vcc
	global_store_dwordx2 v[12:13], v[16:17], off
	buffer_wbl2
	s_waitcnt vmcnt(0)
	global_atomic_cmpswap_x2 v[8:9], v33, v[14:17], s[10:11] offset:32 glc
	s_waitcnt vmcnt(0)
	v_cmp_ne_u64_e32 vcc, v[8:9], v[16:17]
	s_and_saveexec_b64 s[20:21], vcc
	s_cbranch_execz .LBB1_210
; %bb.208:                              ;   in Loop: Header=BB1_143 Depth=1
	s_mov_b64 s[22:23], 0
.LBB1_209:                              ;   Parent Loop BB1_143 Depth=1
                                        ; =>  This Inner Loop Header: Depth=2
	s_sleep 1
	global_store_dwordx2 v[12:13], v[8:9], off
	v_mov_b32_e32 v6, s16
	v_mov_b32_e32 v7, s17
	buffer_wbl2
	s_waitcnt vmcnt(0)
	global_atomic_cmpswap_x2 v[6:7], v33, v[6:9], s[10:11] offset:32 glc
	s_waitcnt vmcnt(0)
	v_cmp_eq_u64_e32 vcc, v[6:7], v[8:9]
	s_or_b64 s[22:23], vcc, s[22:23]
	v_pk_mov_b32 v[8:9], v[6:7], v[6:7] op_sel:[0,1]
	s_andn2_b64 exec, exec, s[22:23]
	s_cbranch_execnz .LBB1_209
.LBB1_210:                              ;   in Loop: Header=BB1_143 Depth=1
	s_or_b64 exec, exec, s[20:21]
	global_load_dwordx2 v[6:7], v33, s[10:11] offset:16
	s_mov_b64 s[22:23], exec
	v_mbcnt_lo_u32_b32 v8, s22, 0
	v_mbcnt_hi_u32_b32 v8, s23, v8
	v_cmp_eq_u32_e32 vcc, 0, v8
	s_and_saveexec_b64 s[20:21], vcc
	s_cbranch_execz .LBB1_212
; %bb.211:                              ;   in Loop: Header=BB1_143 Depth=1
	s_bcnt1_i32_b64 s22, s[22:23]
	v_mov_b32_e32 v32, s22
	buffer_wbl2
	s_waitcnt vmcnt(0)
	global_atomic_add_x2 v[6:7], v[32:33], off offset:8
.LBB1_212:                              ;   in Loop: Header=BB1_143 Depth=1
	s_or_b64 exec, exec, s[20:21]
	s_waitcnt vmcnt(0)
	global_load_dwordx2 v[8:9], v[6:7], off offset:16
	s_waitcnt vmcnt(0)
	v_cmp_eq_u64_e32 vcc, 0, v[8:9]
	s_cbranch_vccnz .LBB1_214
; %bb.213:                              ;   in Loop: Header=BB1_143 Depth=1
	global_load_dword v32, v[6:7], off offset:24
	s_waitcnt vmcnt(0)
	v_and_b32_e32 v6, 0xffffff, v32
	v_readfirstlane_b32 m0, v6
	buffer_wbl2
	global_store_dwordx2 v[8:9], v[32:33], off
	s_sendmsg sendmsg(MSG_INTERRUPT)
.LBB1_214:                              ;   in Loop: Header=BB1_143 Depth=1
	s_or_b64 exec, exec, s[18:19]
	v_add_co_u32_e32 v6, vcc, v30, v36
	v_addc_co_u32_e32 v7, vcc, 0, v3, vcc
	s_branch .LBB1_218
.LBB1_215:                              ;   in Loop: Header=BB1_218 Depth=2
	s_or_b64 exec, exec, s[18:19]
	v_readfirstlane_b32 s18, v3
	s_cmp_eq_u32 s18, 0
	s_cbranch_scc1 .LBB1_217
; %bb.216:                              ;   in Loop: Header=BB1_218 Depth=2
	s_sleep 1
	s_cbranch_execnz .LBB1_218
	s_branch .LBB1_220
.LBB1_217:                              ;   in Loop: Header=BB1_143 Depth=1
	s_branch .LBB1_220
.LBB1_218:                              ;   Parent Loop BB1_143 Depth=1
                                        ; =>  This Inner Loop Header: Depth=2
	v_mov_b32_e32 v3, 1
	s_and_saveexec_b64 s[18:19], s[4:5]
	s_cbranch_execz .LBB1_215
; %bb.219:                              ;   in Loop: Header=BB1_218 Depth=2
	global_load_dword v3, v[34:35], off offset:20 glc
	s_waitcnt vmcnt(0)
	buffer_invl2
	buffer_wbinvl1_vol
	v_and_b32_e32 v3, 1, v3
	s_branch .LBB1_215
.LBB1_220:                              ;   in Loop: Header=BB1_143 Depth=1
	global_load_dwordx4 v[6:9], v[6:7], off
	s_and_saveexec_b64 s[18:19], s[4:5]
	s_cbranch_execz .LBB1_142
; %bb.221:                              ;   in Loop: Header=BB1_143 Depth=1
	global_load_dwordx2 v[8:9], v33, s[10:11] offset:40
	global_load_dwordx2 v[16:17], v33, s[10:11] offset:24 glc
	global_load_dwordx2 v[18:19], v33, s[10:11]
	v_mov_b32_e32 v3, s17
	s_waitcnt vmcnt(2)
	v_add_co_u32_e32 v15, vcc, 1, v8
	v_addc_co_u32_e32 v20, vcc, 0, v9, vcc
	v_add_co_u32_e32 v12, vcc, s16, v15
	v_addc_co_u32_e32 v13, vcc, v20, v3, vcc
	v_cmp_eq_u64_e32 vcc, 0, v[12:13]
	v_cndmask_b32_e32 v13, v13, v20, vcc
	v_cndmask_b32_e32 v12, v12, v15, vcc
	v_and_b32_e32 v3, v13, v9
	v_and_b32_e32 v8, v12, v8
	v_mul_lo_u32 v3, v3, 24
	v_mul_hi_u32 v9, v8, 24
	v_mul_lo_u32 v8, v8, 24
	v_add_u32_e32 v3, v9, v3
	s_waitcnt vmcnt(0)
	v_add_co_u32_e32 v8, vcc, v18, v8
	v_addc_co_u32_e32 v9, vcc, v19, v3, vcc
	v_mov_b32_e32 v14, v16
	global_store_dwordx2 v[8:9], v[16:17], off
	v_mov_b32_e32 v15, v17
	buffer_wbl2
	s_waitcnt vmcnt(0)
	global_atomic_cmpswap_x2 v[14:15], v33, v[12:15], s[10:11] offset:24 glc
	s_waitcnt vmcnt(0)
	v_cmp_ne_u64_e32 vcc, v[14:15], v[16:17]
	s_and_b64 exec, exec, vcc
	s_cbranch_execz .LBB1_142
; %bb.222:                              ;   in Loop: Header=BB1_143 Depth=1
	s_mov_b64 s[4:5], 0
.LBB1_223:                              ;   Parent Loop BB1_143 Depth=1
                                        ; =>  This Inner Loop Header: Depth=2
	s_sleep 1
	global_store_dwordx2 v[8:9], v[14:15], off
	buffer_wbl2
	s_waitcnt vmcnt(0)
	global_atomic_cmpswap_x2 v[16:17], v33, v[12:15], s[10:11] offset:24 glc
	s_waitcnt vmcnt(0)
	v_cmp_eq_u64_e32 vcc, v[16:17], v[14:15]
	s_or_b64 s[4:5], vcc, s[4:5]
	v_pk_mov_b32 v[14:15], v[16:17], v[16:17] op_sel:[0,1]
	s_andn2_b64 exec, exec, s[4:5]
	s_cbranch_execnz .LBB1_223
	s_branch .LBB1_142
.LBB1_224:
                                        ; implicit-def: $vgpr6_vgpr7
	s_cbranch_execnz .LBB1_226
	s_branch .LBB1_252
.LBB1_225:
	s_branch .LBB1_252
.LBB1_226:
	v_readfirstlane_b32 s4, v37
	v_cmp_eq_u32_e64 s[4:5], s4, v37
	v_pk_mov_b32 v[10:11], 0, 0
	s_and_saveexec_b64 s[6:7], s[4:5]
	s_cbranch_execz .LBB1_232
; %bb.227:
	s_waitcnt vmcnt(0)
	v_mov_b32_e32 v2, 0
	global_load_dwordx2 v[8:9], v2, s[10:11] offset:24 glc
	s_waitcnt vmcnt(0)
	buffer_invl2
	buffer_wbinvl1_vol
	global_load_dwordx2 v[6:7], v2, s[10:11] offset:40
	global_load_dwordx2 v[10:11], v2, s[10:11]
	s_waitcnt vmcnt(1)
	v_and_b32_e32 v3, v6, v8
	v_and_b32_e32 v6, v7, v9
	v_mul_lo_u32 v6, v6, 24
	v_mul_hi_u32 v7, v3, 24
	v_mul_lo_u32 v3, v3, 24
	v_add_u32_e32 v7, v7, v6
	s_waitcnt vmcnt(0)
	v_add_co_u32_e32 v6, vcc, v10, v3
	v_addc_co_u32_e32 v7, vcc, v11, v7, vcc
	global_load_dwordx2 v[6:7], v[6:7], off glc
	s_waitcnt vmcnt(0)
	global_atomic_cmpswap_x2 v[10:11], v2, v[6:9], s[10:11] offset:24 glc
	s_waitcnt vmcnt(0)
	buffer_invl2
	buffer_wbinvl1_vol
	v_cmp_ne_u64_e32 vcc, v[10:11], v[8:9]
	s_and_saveexec_b64 s[12:13], vcc
	s_cbranch_execz .LBB1_231
; %bb.228:
	s_mov_b64 s[14:15], 0
.LBB1_229:                              ; =>This Inner Loop Header: Depth=1
	s_sleep 1
	global_load_dwordx2 v[6:7], v2, s[10:11] offset:40
	global_load_dwordx2 v[12:13], v2, s[10:11]
	v_pk_mov_b32 v[8:9], v[10:11], v[10:11] op_sel:[0,1]
	s_waitcnt vmcnt(1)
	v_and_b32_e32 v6, v6, v8
	v_and_b32_e32 v3, v7, v9
	s_waitcnt vmcnt(0)
	v_mad_u64_u32 v[6:7], s[16:17], v6, 24, v[12:13]
	v_mov_b32_e32 v10, v7
	v_mad_u64_u32 v[10:11], s[16:17], v3, 24, v[10:11]
	v_mov_b32_e32 v7, v10
	global_load_dwordx2 v[6:7], v[6:7], off glc
	s_waitcnt vmcnt(0)
	global_atomic_cmpswap_x2 v[10:11], v2, v[6:9], s[10:11] offset:24 glc
	s_waitcnt vmcnt(0)
	buffer_invl2
	buffer_wbinvl1_vol
	v_cmp_eq_u64_e32 vcc, v[10:11], v[8:9]
	s_or_b64 s[14:15], vcc, s[14:15]
	s_andn2_b64 exec, exec, s[14:15]
	s_cbranch_execnz .LBB1_229
; %bb.230:
	s_or_b64 exec, exec, s[14:15]
.LBB1_231:
	s_or_b64 exec, exec, s[12:13]
.LBB1_232:
	s_or_b64 exec, exec, s[6:7]
	s_waitcnt vmcnt(0)
	v_mov_b32_e32 v2, 0
	global_load_dwordx2 v[12:13], v2, s[10:11] offset:40
	global_load_dwordx4 v[6:9], v2, s[10:11]
	v_readfirstlane_b32 s6, v10
	v_readfirstlane_b32 s7, v11
	s_mov_b64 s[12:13], exec
	s_waitcnt vmcnt(1)
	v_readfirstlane_b32 s14, v12
	v_readfirstlane_b32 s15, v13
	s_and_b64 s[14:15], s[6:7], s[14:15]
	s_mul_i32 s16, s15, 24
	s_mul_hi_u32 s17, s14, 24
	s_mul_i32 s18, s14, 24
	s_add_i32 s16, s17, s16
	v_mov_b32_e32 v3, s16
	s_waitcnt vmcnt(0)
	v_add_co_u32_e32 v10, vcc, s18, v6
	v_addc_co_u32_e32 v11, vcc, v7, v3, vcc
	s_and_saveexec_b64 s[16:17], s[4:5]
	s_cbranch_execz .LBB1_234
; %bb.233:
	v_pk_mov_b32 v[12:13], s[12:13], s[12:13] op_sel:[0,1]
	v_mov_b32_e32 v14, 2
	v_mov_b32_e32 v15, 1
	global_store_dwordx4 v[10:11], v[12:15], off offset:8
.LBB1_234:
	s_or_b64 exec, exec, s[16:17]
	s_lshl_b64 s[12:13], s[14:15], 12
	v_mov_b32_e32 v3, s13
	v_add_co_u32_e32 v12, vcc, s12, v8
	s_movk_i32 s12, 0xff1f
	v_addc_co_u32_e32 v13, vcc, v9, v3, vcc
	v_and_or_b32 v0, v0, s12, 32
	s_mov_b32 s12, 0
	v_mov_b32_e32 v3, v2
	v_readfirstlane_b32 s16, v12
	v_readfirstlane_b32 s17, v13
	s_mov_b32 s13, s12
	v_add_co_u32_e32 v8, vcc, v12, v36
	s_mov_b32 s14, s12
	s_mov_b32 s15, s12
	s_nop 0
	global_store_dwordx4 v36, v[0:3], s[16:17]
	v_addc_co_u32_e32 v9, vcc, 0, v13, vcc
	v_pk_mov_b32 v[0:1], s[12:13], s[12:13] op_sel:[0,1]
	v_pk_mov_b32 v[2:3], s[14:15], s[14:15] op_sel:[0,1]
	global_store_dwordx4 v36, v[0:3], s[16:17] offset:16
	global_store_dwordx4 v36, v[0:3], s[16:17] offset:32
	;; [unrolled: 1-line block ×3, first 2 shown]
	s_and_saveexec_b64 s[12:13], s[4:5]
	s_cbranch_execz .LBB1_242
; %bb.235:
	v_mov_b32_e32 v12, 0
	global_load_dwordx2 v[16:17], v12, s[10:11] offset:32 glc
	global_load_dwordx2 v[0:1], v12, s[10:11] offset:40
	v_mov_b32_e32 v14, s6
	v_mov_b32_e32 v15, s7
	s_waitcnt vmcnt(0)
	v_readfirstlane_b32 s14, v0
	v_readfirstlane_b32 s15, v1
	s_and_b64 s[14:15], s[14:15], s[6:7]
	s_mul_i32 s15, s15, 24
	s_mul_hi_u32 s16, s14, 24
	s_mul_i32 s14, s14, 24
	s_add_i32 s15, s16, s15
	v_mov_b32_e32 v0, s15
	v_add_co_u32_e32 v6, vcc, s14, v6
	v_addc_co_u32_e32 v7, vcc, v7, v0, vcc
	global_store_dwordx2 v[6:7], v[16:17], off
	buffer_wbl2
	s_waitcnt vmcnt(0)
	global_atomic_cmpswap_x2 v[2:3], v12, v[14:17], s[10:11] offset:32 glc
	s_waitcnt vmcnt(0)
	v_cmp_ne_u64_e32 vcc, v[2:3], v[16:17]
	s_and_saveexec_b64 s[14:15], vcc
	s_cbranch_execz .LBB1_238
; %bb.236:
	s_mov_b64 s[16:17], 0
.LBB1_237:                              ; =>This Inner Loop Header: Depth=1
	s_sleep 1
	global_store_dwordx2 v[6:7], v[2:3], off
	v_mov_b32_e32 v0, s6
	v_mov_b32_e32 v1, s7
	buffer_wbl2
	s_waitcnt vmcnt(0)
	global_atomic_cmpswap_x2 v[0:1], v12, v[0:3], s[10:11] offset:32 glc
	s_waitcnt vmcnt(0)
	v_cmp_eq_u64_e32 vcc, v[0:1], v[2:3]
	s_or_b64 s[16:17], vcc, s[16:17]
	v_pk_mov_b32 v[2:3], v[0:1], v[0:1] op_sel:[0,1]
	s_andn2_b64 exec, exec, s[16:17]
	s_cbranch_execnz .LBB1_237
.LBB1_238:
	s_or_b64 exec, exec, s[14:15]
	v_mov_b32_e32 v3, 0
	global_load_dwordx2 v[0:1], v3, s[10:11] offset:16
	s_mov_b64 s[14:15], exec
	v_mbcnt_lo_u32_b32 v2, s14, 0
	v_mbcnt_hi_u32_b32 v2, s15, v2
	v_cmp_eq_u32_e32 vcc, 0, v2
	s_and_saveexec_b64 s[16:17], vcc
	s_cbranch_execz .LBB1_240
; %bb.239:
	s_bcnt1_i32_b64 s14, s[14:15]
	v_mov_b32_e32 v2, s14
	buffer_wbl2
	s_waitcnt vmcnt(0)
	global_atomic_add_x2 v[0:1], v[2:3], off offset:8
.LBB1_240:
	s_or_b64 exec, exec, s[16:17]
	s_waitcnt vmcnt(0)
	global_load_dwordx2 v[2:3], v[0:1], off offset:16
	s_waitcnt vmcnt(0)
	v_cmp_eq_u64_e32 vcc, 0, v[2:3]
	s_cbranch_vccnz .LBB1_242
; %bb.241:
	global_load_dword v0, v[0:1], off offset:24
	v_mov_b32_e32 v1, 0
	buffer_wbl2
	s_waitcnt vmcnt(0)
	global_store_dwordx2 v[2:3], v[0:1], off
	v_and_b32_e32 v0, 0xffffff, v0
	v_readfirstlane_b32 m0, v0
	s_sendmsg sendmsg(MSG_INTERRUPT)
.LBB1_242:
	s_or_b64 exec, exec, s[12:13]
	s_branch .LBB1_246
.LBB1_243:                              ;   in Loop: Header=BB1_246 Depth=1
	s_or_b64 exec, exec, s[12:13]
	v_readfirstlane_b32 s12, v0
	s_cmp_eq_u32 s12, 0
	s_cbranch_scc1 .LBB1_245
; %bb.244:                              ;   in Loop: Header=BB1_246 Depth=1
	s_sleep 1
	s_cbranch_execnz .LBB1_246
	s_branch .LBB1_248
.LBB1_245:
	s_branch .LBB1_248
.LBB1_246:                              ; =>This Inner Loop Header: Depth=1
	v_mov_b32_e32 v0, 1
	s_and_saveexec_b64 s[12:13], s[4:5]
	s_cbranch_execz .LBB1_243
; %bb.247:                              ;   in Loop: Header=BB1_246 Depth=1
	global_load_dword v0, v[10:11], off offset:20 glc
	s_waitcnt vmcnt(0)
	buffer_invl2
	buffer_wbinvl1_vol
	v_and_b32_e32 v0, 1, v0
	s_branch .LBB1_243
.LBB1_248:
	global_load_dwordx2 v[6:7], v[8:9], off
	s_and_saveexec_b64 s[12:13], s[4:5]
	s_cbranch_execz .LBB1_251
; %bb.249:
	v_mov_b32_e32 v10, 0
	global_load_dwordx2 v[8:9], v10, s[10:11] offset:40
	global_load_dwordx2 v[12:13], v10, s[10:11] offset:24 glc
	global_load_dwordx2 v[14:15], v10, s[10:11]
	v_mov_b32_e32 v1, s7
	s_mov_b64 s[4:5], 0
	s_waitcnt vmcnt(2)
	v_add_co_u32_e32 v3, vcc, 1, v8
	v_addc_co_u32_e32 v11, vcc, 0, v9, vcc
	v_add_co_u32_e32 v0, vcc, s6, v3
	v_addc_co_u32_e32 v1, vcc, v11, v1, vcc
	v_cmp_eq_u64_e32 vcc, 0, v[0:1]
	v_cndmask_b32_e32 v1, v1, v11, vcc
	v_cndmask_b32_e32 v0, v0, v3, vcc
	v_and_b32_e32 v3, v1, v9
	v_and_b32_e32 v8, v0, v8
	v_mul_lo_u32 v3, v3, 24
	v_mul_hi_u32 v9, v8, 24
	v_mul_lo_u32 v8, v8, 24
	v_add_u32_e32 v3, v9, v3
	s_waitcnt vmcnt(0)
	v_add_co_u32_e32 v8, vcc, v14, v8
	v_addc_co_u32_e32 v9, vcc, v15, v3, vcc
	v_mov_b32_e32 v2, v12
	global_store_dwordx2 v[8:9], v[12:13], off
	v_mov_b32_e32 v3, v13
	buffer_wbl2
	s_waitcnt vmcnt(0)
	global_atomic_cmpswap_x2 v[2:3], v10, v[0:3], s[10:11] offset:24 glc
	s_waitcnt vmcnt(0)
	v_cmp_ne_u64_e32 vcc, v[2:3], v[12:13]
	s_and_b64 exec, exec, vcc
	s_cbranch_execz .LBB1_251
.LBB1_250:                              ; =>This Inner Loop Header: Depth=1
	s_sleep 1
	global_store_dwordx2 v[8:9], v[2:3], off
	buffer_wbl2
	s_waitcnt vmcnt(0)
	global_atomic_cmpswap_x2 v[12:13], v10, v[0:3], s[10:11] offset:24 glc
	s_waitcnt vmcnt(0)
	v_cmp_eq_u64_e32 vcc, v[12:13], v[2:3]
	s_or_b64 s[4:5], vcc, s[4:5]
	v_pk_mov_b32 v[2:3], v[12:13], v[12:13] op_sel:[0,1]
	s_andn2_b64 exec, exec, s[4:5]
	s_cbranch_execnz .LBB1_250
.LBB1_251:
	s_or_b64 exec, exec, s[12:13]
.LBB1_252:
	v_readfirstlane_b32 s4, v37
	v_cmp_eq_u32_e64 s[4:5], s4, v37
	v_pk_mov_b32 v[10:11], 0, 0
	s_and_saveexec_b64 s[6:7], s[4:5]
	s_cbranch_execz .LBB1_258
; %bb.253:
	s_waitcnt vmcnt(0)
	v_mov_b32_e32 v0, 0
	global_load_dwordx2 v[12:13], v0, s[10:11] offset:24 glc
	s_waitcnt vmcnt(0)
	buffer_invl2
	buffer_wbinvl1_vol
	global_load_dwordx2 v[2:3], v0, s[10:11] offset:40
	global_load_dwordx2 v[8:9], v0, s[10:11]
	s_waitcnt vmcnt(1)
	v_and_b32_e32 v1, v2, v12
	v_and_b32_e32 v2, v3, v13
	v_mul_lo_u32 v2, v2, 24
	v_mul_hi_u32 v3, v1, 24
	v_mul_lo_u32 v1, v1, 24
	v_add_u32_e32 v3, v3, v2
	s_waitcnt vmcnt(0)
	v_add_co_u32_e32 v2, vcc, v8, v1
	v_addc_co_u32_e32 v3, vcc, v9, v3, vcc
	global_load_dwordx2 v[10:11], v[2:3], off glc
	s_waitcnt vmcnt(0)
	global_atomic_cmpswap_x2 v[10:11], v0, v[10:13], s[10:11] offset:24 glc
	s_waitcnt vmcnt(0)
	buffer_invl2
	buffer_wbinvl1_vol
	v_cmp_ne_u64_e32 vcc, v[10:11], v[12:13]
	s_and_saveexec_b64 s[12:13], vcc
	s_cbranch_execz .LBB1_257
; %bb.254:
	s_mov_b64 s[14:15], 0
.LBB1_255:                              ; =>This Inner Loop Header: Depth=1
	s_sleep 1
	global_load_dwordx2 v[2:3], v0, s[10:11] offset:40
	global_load_dwordx2 v[8:9], v0, s[10:11]
	v_pk_mov_b32 v[12:13], v[10:11], v[10:11] op_sel:[0,1]
	s_waitcnt vmcnt(1)
	v_and_b32_e32 v2, v2, v12
	v_and_b32_e32 v1, v3, v13
	s_waitcnt vmcnt(0)
	v_mad_u64_u32 v[2:3], s[16:17], v2, 24, v[8:9]
	v_mov_b32_e32 v8, v3
	v_mad_u64_u32 v[8:9], s[16:17], v1, 24, v[8:9]
	v_mov_b32_e32 v3, v8
	global_load_dwordx2 v[10:11], v[2:3], off glc
	s_waitcnt vmcnt(0)
	global_atomic_cmpswap_x2 v[10:11], v0, v[10:13], s[10:11] offset:24 glc
	s_waitcnt vmcnt(0)
	buffer_invl2
	buffer_wbinvl1_vol
	v_cmp_eq_u64_e32 vcc, v[10:11], v[12:13]
	s_or_b64 s[14:15], vcc, s[14:15]
	s_andn2_b64 exec, exec, s[14:15]
	s_cbranch_execnz .LBB1_255
; %bb.256:
	s_or_b64 exec, exec, s[14:15]
.LBB1_257:
	s_or_b64 exec, exec, s[12:13]
.LBB1_258:
	s_or_b64 exec, exec, s[6:7]
	s_waitcnt vmcnt(0)
	v_mov_b32_e32 v9, 0
	global_load_dwordx2 v[12:13], v9, s[10:11] offset:40
	global_load_dwordx4 v[0:3], v9, s[10:11]
	v_readfirstlane_b32 s6, v10
	v_readfirstlane_b32 s7, v11
	s_mov_b64 s[12:13], exec
	s_waitcnt vmcnt(1)
	v_readfirstlane_b32 s14, v12
	v_readfirstlane_b32 s15, v13
	s_and_b64 s[14:15], s[6:7], s[14:15]
	s_mul_i32 s16, s15, 24
	s_mul_hi_u32 s17, s14, 24
	s_mul_i32 s18, s14, 24
	s_add_i32 s16, s17, s16
	v_mov_b32_e32 v8, s16
	s_waitcnt vmcnt(0)
	v_add_co_u32_e32 v10, vcc, s18, v0
	v_addc_co_u32_e32 v11, vcc, v1, v8, vcc
	s_and_saveexec_b64 s[16:17], s[4:5]
	s_cbranch_execz .LBB1_260
; %bb.259:
	v_pk_mov_b32 v[12:13], s[12:13], s[12:13] op_sel:[0,1]
	v_mov_b32_e32 v14, 2
	v_mov_b32_e32 v15, 1
	global_store_dwordx4 v[10:11], v[12:15], off offset:8
.LBB1_260:
	s_or_b64 exec, exec, s[16:17]
	s_lshl_b64 s[12:13], s[14:15], 12
	v_mov_b32_e32 v8, s13
	v_add_co_u32_e32 v2, vcc, s12, v2
	s_movk_i32 s12, 0xff1f
	v_addc_co_u32_e32 v3, vcc, v3, v8, vcc
	v_and_or_b32 v6, v6, s12, 32
	s_mov_b32 s12, 0
	v_mov_b32_e32 v8, 0x331
	v_readfirstlane_b32 s16, v2
	v_readfirstlane_b32 s17, v3
	s_mov_b32 s13, s12
	v_add_co_u32_e32 v12, vcc, v2, v36
	s_mov_b32 s14, s12
	s_mov_b32 s15, s12
	s_nop 0
	global_store_dwordx4 v36, v[6:9], s[16:17]
	v_addc_co_u32_e32 v13, vcc, 0, v3, vcc
	v_pk_mov_b32 v[6:7], s[12:13], s[12:13] op_sel:[0,1]
	v_pk_mov_b32 v[8:9], s[14:15], s[14:15] op_sel:[0,1]
	global_store_dwordx4 v36, v[6:9], s[16:17] offset:16
	global_store_dwordx4 v36, v[6:9], s[16:17] offset:32
	;; [unrolled: 1-line block ×3, first 2 shown]
	s_and_saveexec_b64 s[12:13], s[4:5]
	s_cbranch_execz .LBB1_268
; %bb.261:
	v_mov_b32_e32 v8, 0
	global_load_dwordx2 v[16:17], v8, s[10:11] offset:32 glc
	global_load_dwordx2 v[2:3], v8, s[10:11] offset:40
	v_mov_b32_e32 v14, s6
	v_mov_b32_e32 v15, s7
	s_waitcnt vmcnt(0)
	v_readfirstlane_b32 s14, v2
	v_readfirstlane_b32 s15, v3
	s_and_b64 s[14:15], s[14:15], s[6:7]
	s_mul_i32 s15, s15, 24
	s_mul_hi_u32 s16, s14, 24
	s_mul_i32 s14, s14, 24
	s_add_i32 s15, s16, s15
	v_mov_b32_e32 v2, s15
	v_add_co_u32_e32 v6, vcc, s14, v0
	v_addc_co_u32_e32 v7, vcc, v1, v2, vcc
	global_store_dwordx2 v[6:7], v[16:17], off
	buffer_wbl2
	s_waitcnt vmcnt(0)
	global_atomic_cmpswap_x2 v[2:3], v8, v[14:17], s[10:11] offset:32 glc
	s_waitcnt vmcnt(0)
	v_cmp_ne_u64_e32 vcc, v[2:3], v[16:17]
	s_and_saveexec_b64 s[14:15], vcc
	s_cbranch_execz .LBB1_264
; %bb.262:
	s_mov_b64 s[16:17], 0
.LBB1_263:                              ; =>This Inner Loop Header: Depth=1
	s_sleep 1
	global_store_dwordx2 v[6:7], v[2:3], off
	v_mov_b32_e32 v0, s6
	v_mov_b32_e32 v1, s7
	buffer_wbl2
	s_waitcnt vmcnt(0)
	global_atomic_cmpswap_x2 v[0:1], v8, v[0:3], s[10:11] offset:32 glc
	s_waitcnt vmcnt(0)
	v_cmp_eq_u64_e32 vcc, v[0:1], v[2:3]
	s_or_b64 s[16:17], vcc, s[16:17]
	v_pk_mov_b32 v[2:3], v[0:1], v[0:1] op_sel:[0,1]
	s_andn2_b64 exec, exec, s[16:17]
	s_cbranch_execnz .LBB1_263
.LBB1_264:
	s_or_b64 exec, exec, s[14:15]
	v_mov_b32_e32 v3, 0
	global_load_dwordx2 v[0:1], v3, s[10:11] offset:16
	s_mov_b64 s[14:15], exec
	v_mbcnt_lo_u32_b32 v2, s14, 0
	v_mbcnt_hi_u32_b32 v2, s15, v2
	v_cmp_eq_u32_e32 vcc, 0, v2
	s_and_saveexec_b64 s[16:17], vcc
	s_cbranch_execz .LBB1_266
; %bb.265:
	s_bcnt1_i32_b64 s14, s[14:15]
	v_mov_b32_e32 v2, s14
	buffer_wbl2
	s_waitcnt vmcnt(0)
	global_atomic_add_x2 v[0:1], v[2:3], off offset:8
.LBB1_266:
	s_or_b64 exec, exec, s[16:17]
	s_waitcnt vmcnt(0)
	global_load_dwordx2 v[2:3], v[0:1], off offset:16
	s_waitcnt vmcnt(0)
	v_cmp_eq_u64_e32 vcc, 0, v[2:3]
	s_cbranch_vccnz .LBB1_268
; %bb.267:
	global_load_dword v0, v[0:1], off offset:24
	v_mov_b32_e32 v1, 0
	buffer_wbl2
	s_waitcnt vmcnt(0)
	global_store_dwordx2 v[2:3], v[0:1], off
	v_and_b32_e32 v0, 0xffffff, v0
	v_readfirstlane_b32 m0, v0
	s_sendmsg sendmsg(MSG_INTERRUPT)
.LBB1_268:
	s_or_b64 exec, exec, s[12:13]
	s_branch .LBB1_272
.LBB1_269:                              ;   in Loop: Header=BB1_272 Depth=1
	s_or_b64 exec, exec, s[12:13]
	v_readfirstlane_b32 s12, v0
	s_cmp_eq_u32 s12, 0
	s_cbranch_scc1 .LBB1_271
; %bb.270:                              ;   in Loop: Header=BB1_272 Depth=1
	s_sleep 1
	s_cbranch_execnz .LBB1_272
	s_branch .LBB1_274
.LBB1_271:
	s_branch .LBB1_274
.LBB1_272:                              ; =>This Inner Loop Header: Depth=1
	v_mov_b32_e32 v0, 1
	s_and_saveexec_b64 s[12:13], s[4:5]
	s_cbranch_execz .LBB1_269
; %bb.273:                              ;   in Loop: Header=BB1_272 Depth=1
	global_load_dword v0, v[10:11], off offset:20 glc
	s_waitcnt vmcnt(0)
	buffer_invl2
	buffer_wbinvl1_vol
	v_and_b32_e32 v0, 1, v0
	s_branch .LBB1_269
.LBB1_274:
	global_load_dwordx2 v[0:1], v[12:13], off
	s_and_saveexec_b64 s[12:13], s[4:5]
	s_cbranch_execz .LBB1_277
; %bb.275:
	v_mov_b32_e32 v10, 0
	global_load_dwordx2 v[2:3], v10, s[10:11] offset:40
	global_load_dwordx2 v[12:13], v10, s[10:11] offset:24 glc
	global_load_dwordx2 v[14:15], v10, s[10:11]
	v_mov_b32_e32 v7, s7
	s_mov_b64 s[4:5], 0
	s_waitcnt vmcnt(2)
	v_add_co_u32_e32 v9, vcc, 1, v2
	v_addc_co_u32_e32 v11, vcc, 0, v3, vcc
	v_add_co_u32_e32 v6, vcc, s6, v9
	v_addc_co_u32_e32 v7, vcc, v11, v7, vcc
	v_cmp_eq_u64_e32 vcc, 0, v[6:7]
	v_cndmask_b32_e32 v7, v7, v11, vcc
	v_cndmask_b32_e32 v6, v6, v9, vcc
	v_and_b32_e32 v3, v7, v3
	v_and_b32_e32 v2, v6, v2
	v_mul_lo_u32 v3, v3, 24
	v_mul_hi_u32 v9, v2, 24
	v_mul_lo_u32 v2, v2, 24
	v_add_u32_e32 v3, v9, v3
	s_waitcnt vmcnt(0)
	v_add_co_u32_e32 v2, vcc, v14, v2
	v_addc_co_u32_e32 v3, vcc, v15, v3, vcc
	v_mov_b32_e32 v8, v12
	global_store_dwordx2 v[2:3], v[12:13], off
	v_mov_b32_e32 v9, v13
	buffer_wbl2
	s_waitcnt vmcnt(0)
	global_atomic_cmpswap_x2 v[8:9], v10, v[6:9], s[10:11] offset:24 glc
	s_waitcnt vmcnt(0)
	v_cmp_ne_u64_e32 vcc, v[8:9], v[12:13]
	s_and_b64 exec, exec, vcc
	s_cbranch_execz .LBB1_277
.LBB1_276:                              ; =>This Inner Loop Header: Depth=1
	s_sleep 1
	global_store_dwordx2 v[2:3], v[8:9], off
	buffer_wbl2
	s_waitcnt vmcnt(0)
	global_atomic_cmpswap_x2 v[12:13], v10, v[6:9], s[10:11] offset:24 glc
	s_waitcnt vmcnt(0)
	v_cmp_eq_u64_e32 vcc, v[12:13], v[8:9]
	s_or_b64 s[4:5], vcc, s[4:5]
	v_pk_mov_b32 v[8:9], v[12:13], v[12:13] op_sel:[0,1]
	s_andn2_b64 exec, exec, s[4:5]
	s_cbranch_execnz .LBB1_276
.LBB1_277:
	s_or_b64 exec, exec, s[12:13]
	s_mov_b64 s[4:5], 0
	v_pk_mov_b32 v[6:7], v[4:5], v[4:5] op_sel:[0,1]
.LBB1_278:                              ; =>This Inner Loop Header: Depth=1
	flat_load_ubyte v8, v[6:7]
	v_add_co_u32_e32 v2, vcc, 1, v6
	v_addc_co_u32_e32 v3, vcc, 0, v7, vcc
	v_pk_mov_b32 v[6:7], v[2:3], v[2:3] op_sel:[0,1]
	s_waitcnt vmcnt(0) lgkmcnt(0)
	v_cmp_eq_u16_e32 vcc, 0, v8
	s_or_b64 s[4:5], vcc, s[4:5]
	s_andn2_b64 exec, exec, s[4:5]
	s_cbranch_execnz .LBB1_278
; %bb.279:
	s_or_b64 exec, exec, s[4:5]
	s_mov_b64 s[6:7], 0
	v_cmp_ne_u64_e32 vcc, 0, v[4:5]
	s_and_saveexec_b64 s[4:5], vcc
	s_xor_b64 s[12:13], exec, s[4:5]
	s_cbranch_execz .LBB1_365
; %bb.280:
	v_sub_u32_e32 v26, v2, v4
	v_ashrrev_i32_e32 v27, 31, v26
	v_and_b32_e32 v28, 2, v0
	v_mov_b32_e32 v31, 0
	v_and_b32_e32 v0, -3, v0
	s_mov_b32 s22, 0
	s_movk_i32 s23, 0xff1f
	v_mov_b32_e32 v8, 2
	v_mov_b32_e32 v9, 1
	s_branch .LBB1_282
.LBB1_281:                              ;   in Loop: Header=BB1_282 Depth=1
	s_or_b64 exec, exec, s[16:17]
	v_sub_co_u32_e32 v26, vcc, v26, v32
	v_subb_co_u32_e32 v27, vcc, v27, v33, vcc
	v_cmp_eq_u64_e32 vcc, 0, v[26:27]
	s_or_b64 s[6:7], vcc, s[6:7]
	v_add_co_u32_e32 v4, vcc, v4, v32
	v_addc_co_u32_e32 v5, vcc, v5, v33, vcc
	s_andn2_b64 exec, exec, s[6:7]
	s_cbranch_execz .LBB1_364
.LBB1_282:                              ; =>This Loop Header: Depth=1
                                        ;     Child Loop BB1_285 Depth 2
                                        ;     Child Loop BB1_293 Depth 2
                                        ;     Child Loop BB1_301 Depth 2
                                        ;     Child Loop BB1_309 Depth 2
                                        ;     Child Loop BB1_317 Depth 2
                                        ;     Child Loop BB1_325 Depth 2
                                        ;     Child Loop BB1_333 Depth 2
                                        ;     Child Loop BB1_341 Depth 2
                                        ;     Child Loop BB1_349 Depth 2
                                        ;     Child Loop BB1_358 Depth 2
                                        ;     Child Loop BB1_363 Depth 2
	v_cmp_gt_u64_e32 vcc, 56, v[26:27]
	v_cndmask_b32_e32 v33, 0, v27, vcc
	v_cndmask_b32_e32 v32, 56, v26, vcc
	v_cmp_gt_u64_e32 vcc, 8, v[26:27]
                                        ; implicit-def: $vgpr2_vgpr3
                                        ; implicit-def: $sgpr14
	s_and_saveexec_b64 s[4:5], vcc
	s_xor_b64 s[4:5], exec, s[4:5]
	s_cbranch_execz .LBB1_288
; %bb.283:                              ;   in Loop: Header=BB1_282 Depth=1
	s_mov_b64 s[16:17], 0
	v_cmp_ne_u64_e32 vcc, 0, v[26:27]
	s_waitcnt vmcnt(0)
	v_pk_mov_b32 v[2:3], 0, 0
	s_and_saveexec_b64 s[14:15], vcc
	s_cbranch_execz .LBB1_287
; %bb.284:                              ;   in Loop: Header=BB1_282 Depth=1
	v_lshlrev_b64 v[6:7], 3, v[32:33]
	v_pk_mov_b32 v[2:3], 0, 0
	v_pk_mov_b32 v[10:11], v[4:5], v[4:5] op_sel:[0,1]
	s_mov_b64 s[18:19], 0
.LBB1_285:                              ;   Parent Loop BB1_282 Depth=1
                                        ; =>  This Inner Loop Header: Depth=2
	flat_load_ubyte v7, v[10:11]
	v_mov_b32_e32 v13, s22
	v_add_co_u32_e32 v10, vcc, 1, v10
	v_addc_co_u32_e32 v11, vcc, 0, v11, vcc
	s_waitcnt vmcnt(0) lgkmcnt(0)
	v_and_b32_e32 v12, 0xffff, v7
	v_lshlrev_b64 v[12:13], s18, v[12:13]
	s_add_u32 s18, s18, 8
	s_addc_u32 s19, s19, 0
	v_cmp_eq_u32_e32 vcc, s18, v6
	v_or_b32_e32 v3, v13, v3
	s_or_b64 s[16:17], vcc, s[16:17]
	v_or_b32_e32 v2, v12, v2
	s_andn2_b64 exec, exec, s[16:17]
	s_cbranch_execnz .LBB1_285
; %bb.286:                              ;   in Loop: Header=BB1_282 Depth=1
	s_or_b64 exec, exec, s[16:17]
.LBB1_287:                              ;   in Loop: Header=BB1_282 Depth=1
	s_or_b64 exec, exec, s[14:15]
	s_mov_b32 s14, 0
.LBB1_288:                              ;   in Loop: Header=BB1_282 Depth=1
	s_or_saveexec_b64 s[4:5], s[4:5]
	v_mov_b32_e32 v12, s14
	v_pk_mov_b32 v[6:7], v[4:5], v[4:5] op_sel:[0,1]
	s_xor_b64 exec, exec, s[4:5]
	s_cbranch_execz .LBB1_290
; %bb.289:                              ;   in Loop: Header=BB1_282 Depth=1
	s_waitcnt vmcnt(0)
	flat_load_dwordx2 v[2:3], v[4:5]
	v_add_u32_e32 v12, -8, v32
	s_waitcnt vmcnt(0) lgkmcnt(0)
	v_and_b32_e32 v6, 0xff, v3
	v_and_b32_e32 v7, 0xff00, v3
	;; [unrolled: 1-line block ×4, first 2 shown]
	v_or_b32_e32 v6, v6, v7
	v_or3_b32 v3, v6, v10, v3
	v_add_co_u32_e32 v6, vcc, 8, v4
	v_or3_b32 v2, v2, 0, 0
	v_addc_co_u32_e32 v7, vcc, 0, v5, vcc
.LBB1_290:                              ;   in Loop: Header=BB1_282 Depth=1
	s_or_b64 exec, exec, s[4:5]
	v_cmp_gt_u32_e32 vcc, 8, v12
                                        ; implicit-def: $vgpr10_vgpr11
                                        ; implicit-def: $sgpr14
	s_and_saveexec_b64 s[4:5], vcc
	s_xor_b64 s[4:5], exec, s[4:5]
	s_cbranch_execz .LBB1_296
; %bb.291:                              ;   in Loop: Header=BB1_282 Depth=1
	v_cmp_ne_u32_e32 vcc, 0, v12
	v_pk_mov_b32 v[10:11], 0, 0
	s_and_saveexec_b64 s[14:15], vcc
	s_cbranch_execz .LBB1_295
; %bb.292:                              ;   in Loop: Header=BB1_282 Depth=1
	s_mov_b64 s[16:17], 0
	v_pk_mov_b32 v[10:11], 0, 0
	s_mov_b64 s[18:19], 0
	s_mov_b64 s[20:21], 0
.LBB1_293:                              ;   Parent Loop BB1_282 Depth=1
                                        ; =>  This Inner Loop Header: Depth=2
	v_mov_b32_e32 v13, s21
	v_add_co_u32_e32 v14, vcc, s20, v6
	v_addc_co_u32_e32 v15, vcc, v7, v13, vcc
	flat_load_ubyte v13, v[14:15]
	s_add_u32 s20, s20, 1
	v_mov_b32_e32 v15, s22
	s_addc_u32 s21, s21, 0
	v_cmp_eq_u32_e32 vcc, s20, v12
	s_waitcnt vmcnt(0) lgkmcnt(0)
	v_and_b32_e32 v14, 0xffff, v13
	v_lshlrev_b64 v[14:15], s18, v[14:15]
	s_add_u32 s18, s18, 8
	s_addc_u32 s19, s19, 0
	v_or_b32_e32 v11, v15, v11
	s_or_b64 s[16:17], vcc, s[16:17]
	v_or_b32_e32 v10, v14, v10
	s_andn2_b64 exec, exec, s[16:17]
	s_cbranch_execnz .LBB1_293
; %bb.294:                              ;   in Loop: Header=BB1_282 Depth=1
	s_or_b64 exec, exec, s[16:17]
.LBB1_295:                              ;   in Loop: Header=BB1_282 Depth=1
	s_or_b64 exec, exec, s[14:15]
	s_mov_b32 s14, 0
                                        ; implicit-def: $vgpr12
.LBB1_296:                              ;   in Loop: Header=BB1_282 Depth=1
	s_or_saveexec_b64 s[4:5], s[4:5]
	v_mov_b32_e32 v14, s14
	s_xor_b64 exec, exec, s[4:5]
	s_cbranch_execz .LBB1_298
; %bb.297:                              ;   in Loop: Header=BB1_282 Depth=1
	flat_load_dwordx2 v[10:11], v[6:7]
	v_add_u32_e32 v14, -8, v12
	v_add_co_u32_e32 v6, vcc, 8, v6
	v_addc_co_u32_e32 v7, vcc, 0, v7, vcc
	s_waitcnt vmcnt(0) lgkmcnt(0)
	v_and_b32_e32 v12, 0xff, v11
	v_and_b32_e32 v13, 0xff00, v11
	;; [unrolled: 1-line block ×4, first 2 shown]
	v_or_b32_e32 v12, v12, v13
	v_or3_b32 v10, v10, 0, 0
	v_or3_b32 v11, v12, v15, v11
.LBB1_298:                              ;   in Loop: Header=BB1_282 Depth=1
	s_or_b64 exec, exec, s[4:5]
	v_cmp_gt_u32_e32 vcc, 8, v14
                                        ; implicit-def: $sgpr14
	s_and_saveexec_b64 s[4:5], vcc
	s_xor_b64 s[4:5], exec, s[4:5]
	s_cbranch_execz .LBB1_304
; %bb.299:                              ;   in Loop: Header=BB1_282 Depth=1
	v_cmp_ne_u32_e32 vcc, 0, v14
	v_pk_mov_b32 v[12:13], 0, 0
	s_and_saveexec_b64 s[14:15], vcc
	s_cbranch_execz .LBB1_303
; %bb.300:                              ;   in Loop: Header=BB1_282 Depth=1
	s_mov_b64 s[16:17], 0
	v_pk_mov_b32 v[12:13], 0, 0
	s_mov_b64 s[18:19], 0
	s_mov_b64 s[20:21], 0
.LBB1_301:                              ;   Parent Loop BB1_282 Depth=1
                                        ; =>  This Inner Loop Header: Depth=2
	v_mov_b32_e32 v15, s21
	v_add_co_u32_e32 v16, vcc, s20, v6
	v_addc_co_u32_e32 v17, vcc, v7, v15, vcc
	flat_load_ubyte v15, v[16:17]
	s_add_u32 s20, s20, 1
	v_mov_b32_e32 v17, s22
	s_addc_u32 s21, s21, 0
	v_cmp_eq_u32_e32 vcc, s20, v14
	s_waitcnt vmcnt(0) lgkmcnt(0)
	v_and_b32_e32 v16, 0xffff, v15
	v_lshlrev_b64 v[16:17], s18, v[16:17]
	s_add_u32 s18, s18, 8
	s_addc_u32 s19, s19, 0
	v_or_b32_e32 v13, v17, v13
	s_or_b64 s[16:17], vcc, s[16:17]
	v_or_b32_e32 v12, v16, v12
	s_andn2_b64 exec, exec, s[16:17]
	s_cbranch_execnz .LBB1_301
; %bb.302:                              ;   in Loop: Header=BB1_282 Depth=1
	s_or_b64 exec, exec, s[16:17]
.LBB1_303:                              ;   in Loop: Header=BB1_282 Depth=1
	s_or_b64 exec, exec, s[14:15]
	s_mov_b32 s14, 0
                                        ; implicit-def: $vgpr14
.LBB1_304:                              ;   in Loop: Header=BB1_282 Depth=1
	s_or_saveexec_b64 s[4:5], s[4:5]
	v_mov_b32_e32 v16, s14
	s_xor_b64 exec, exec, s[4:5]
	s_cbranch_execz .LBB1_306
; %bb.305:                              ;   in Loop: Header=BB1_282 Depth=1
	flat_load_dwordx2 v[12:13], v[6:7]
	v_add_u32_e32 v16, -8, v14
	v_add_co_u32_e32 v6, vcc, 8, v6
	v_addc_co_u32_e32 v7, vcc, 0, v7, vcc
	s_waitcnt vmcnt(0) lgkmcnt(0)
	v_and_b32_e32 v14, 0xff, v13
	v_and_b32_e32 v15, 0xff00, v13
	;; [unrolled: 1-line block ×4, first 2 shown]
	v_or_b32_e32 v14, v14, v15
	v_or3_b32 v12, v12, 0, 0
	v_or3_b32 v13, v14, v17, v13
.LBB1_306:                              ;   in Loop: Header=BB1_282 Depth=1
	s_or_b64 exec, exec, s[4:5]
	v_cmp_gt_u32_e32 vcc, 8, v16
                                        ; implicit-def: $vgpr14_vgpr15
                                        ; implicit-def: $sgpr14
	s_and_saveexec_b64 s[4:5], vcc
	s_xor_b64 s[4:5], exec, s[4:5]
	s_cbranch_execz .LBB1_312
; %bb.307:                              ;   in Loop: Header=BB1_282 Depth=1
	v_cmp_ne_u32_e32 vcc, 0, v16
	v_pk_mov_b32 v[14:15], 0, 0
	s_and_saveexec_b64 s[14:15], vcc
	s_cbranch_execz .LBB1_311
; %bb.308:                              ;   in Loop: Header=BB1_282 Depth=1
	s_mov_b64 s[16:17], 0
	v_pk_mov_b32 v[14:15], 0, 0
	s_mov_b64 s[18:19], 0
	s_mov_b64 s[20:21], 0
.LBB1_309:                              ;   Parent Loop BB1_282 Depth=1
                                        ; =>  This Inner Loop Header: Depth=2
	v_mov_b32_e32 v17, s21
	v_add_co_u32_e32 v18, vcc, s20, v6
	v_addc_co_u32_e32 v19, vcc, v7, v17, vcc
	flat_load_ubyte v17, v[18:19]
	s_add_u32 s20, s20, 1
	v_mov_b32_e32 v19, s22
	s_addc_u32 s21, s21, 0
	v_cmp_eq_u32_e32 vcc, s20, v16
	s_waitcnt vmcnt(0) lgkmcnt(0)
	v_and_b32_e32 v18, 0xffff, v17
	v_lshlrev_b64 v[18:19], s18, v[18:19]
	s_add_u32 s18, s18, 8
	s_addc_u32 s19, s19, 0
	v_or_b32_e32 v15, v19, v15
	s_or_b64 s[16:17], vcc, s[16:17]
	v_or_b32_e32 v14, v18, v14
	s_andn2_b64 exec, exec, s[16:17]
	s_cbranch_execnz .LBB1_309
; %bb.310:                              ;   in Loop: Header=BB1_282 Depth=1
	s_or_b64 exec, exec, s[16:17]
.LBB1_311:                              ;   in Loop: Header=BB1_282 Depth=1
	s_or_b64 exec, exec, s[14:15]
	s_mov_b32 s14, 0
                                        ; implicit-def: $vgpr16
.LBB1_312:                              ;   in Loop: Header=BB1_282 Depth=1
	s_or_saveexec_b64 s[4:5], s[4:5]
	v_mov_b32_e32 v18, s14
	s_xor_b64 exec, exec, s[4:5]
	s_cbranch_execz .LBB1_314
; %bb.313:                              ;   in Loop: Header=BB1_282 Depth=1
	flat_load_dwordx2 v[14:15], v[6:7]
	v_add_u32_e32 v18, -8, v16
	v_add_co_u32_e32 v6, vcc, 8, v6
	v_addc_co_u32_e32 v7, vcc, 0, v7, vcc
	s_waitcnt vmcnt(0) lgkmcnt(0)
	v_and_b32_e32 v16, 0xff, v15
	v_and_b32_e32 v17, 0xff00, v15
	;; [unrolled: 1-line block ×4, first 2 shown]
	v_or_b32_e32 v16, v16, v17
	v_or3_b32 v14, v14, 0, 0
	v_or3_b32 v15, v16, v19, v15
.LBB1_314:                              ;   in Loop: Header=BB1_282 Depth=1
	s_or_b64 exec, exec, s[4:5]
	v_cmp_gt_u32_e32 vcc, 8, v18
                                        ; implicit-def: $sgpr14
	s_and_saveexec_b64 s[4:5], vcc
	s_xor_b64 s[4:5], exec, s[4:5]
	s_cbranch_execz .LBB1_320
; %bb.315:                              ;   in Loop: Header=BB1_282 Depth=1
	v_cmp_ne_u32_e32 vcc, 0, v18
	v_pk_mov_b32 v[16:17], 0, 0
	s_and_saveexec_b64 s[14:15], vcc
	s_cbranch_execz .LBB1_319
; %bb.316:                              ;   in Loop: Header=BB1_282 Depth=1
	s_mov_b64 s[16:17], 0
	v_pk_mov_b32 v[16:17], 0, 0
	s_mov_b64 s[18:19], 0
	s_mov_b64 s[20:21], 0
.LBB1_317:                              ;   Parent Loop BB1_282 Depth=1
                                        ; =>  This Inner Loop Header: Depth=2
	v_mov_b32_e32 v19, s21
	v_add_co_u32_e32 v20, vcc, s20, v6
	v_addc_co_u32_e32 v21, vcc, v7, v19, vcc
	flat_load_ubyte v19, v[20:21]
	s_add_u32 s20, s20, 1
	v_mov_b32_e32 v21, s22
	s_addc_u32 s21, s21, 0
	v_cmp_eq_u32_e32 vcc, s20, v18
	s_waitcnt vmcnt(0) lgkmcnt(0)
	v_and_b32_e32 v20, 0xffff, v19
	v_lshlrev_b64 v[20:21], s18, v[20:21]
	s_add_u32 s18, s18, 8
	s_addc_u32 s19, s19, 0
	v_or_b32_e32 v17, v21, v17
	s_or_b64 s[16:17], vcc, s[16:17]
	v_or_b32_e32 v16, v20, v16
	s_andn2_b64 exec, exec, s[16:17]
	s_cbranch_execnz .LBB1_317
; %bb.318:                              ;   in Loop: Header=BB1_282 Depth=1
	s_or_b64 exec, exec, s[16:17]
.LBB1_319:                              ;   in Loop: Header=BB1_282 Depth=1
	s_or_b64 exec, exec, s[14:15]
	s_mov_b32 s14, 0
                                        ; implicit-def: $vgpr18
.LBB1_320:                              ;   in Loop: Header=BB1_282 Depth=1
	s_or_saveexec_b64 s[4:5], s[4:5]
	v_mov_b32_e32 v20, s14
	s_xor_b64 exec, exec, s[4:5]
	s_cbranch_execz .LBB1_322
; %bb.321:                              ;   in Loop: Header=BB1_282 Depth=1
	flat_load_dwordx2 v[16:17], v[6:7]
	v_add_u32_e32 v20, -8, v18
	v_add_co_u32_e32 v6, vcc, 8, v6
	v_addc_co_u32_e32 v7, vcc, 0, v7, vcc
	s_waitcnt vmcnt(0) lgkmcnt(0)
	v_and_b32_e32 v18, 0xff, v17
	v_and_b32_e32 v19, 0xff00, v17
	;; [unrolled: 1-line block ×4, first 2 shown]
	v_or_b32_e32 v18, v18, v19
	v_or3_b32 v16, v16, 0, 0
	v_or3_b32 v17, v18, v21, v17
.LBB1_322:                              ;   in Loop: Header=BB1_282 Depth=1
	s_or_b64 exec, exec, s[4:5]
	v_cmp_gt_u32_e32 vcc, 8, v20
                                        ; implicit-def: $vgpr18_vgpr19
                                        ; implicit-def: $sgpr14
	s_and_saveexec_b64 s[4:5], vcc
	s_xor_b64 s[4:5], exec, s[4:5]
	s_cbranch_execz .LBB1_328
; %bb.323:                              ;   in Loop: Header=BB1_282 Depth=1
	v_cmp_ne_u32_e32 vcc, 0, v20
	v_pk_mov_b32 v[18:19], 0, 0
	s_and_saveexec_b64 s[14:15], vcc
	s_cbranch_execz .LBB1_327
; %bb.324:                              ;   in Loop: Header=BB1_282 Depth=1
	s_mov_b64 s[16:17], 0
	v_pk_mov_b32 v[18:19], 0, 0
	s_mov_b64 s[18:19], 0
	s_mov_b64 s[20:21], 0
.LBB1_325:                              ;   Parent Loop BB1_282 Depth=1
                                        ; =>  This Inner Loop Header: Depth=2
	v_mov_b32_e32 v21, s21
	v_add_co_u32_e32 v22, vcc, s20, v6
	v_addc_co_u32_e32 v23, vcc, v7, v21, vcc
	flat_load_ubyte v21, v[22:23]
	s_add_u32 s20, s20, 1
	v_mov_b32_e32 v23, s22
	s_addc_u32 s21, s21, 0
	v_cmp_eq_u32_e32 vcc, s20, v20
	s_waitcnt vmcnt(0) lgkmcnt(0)
	v_and_b32_e32 v22, 0xffff, v21
	v_lshlrev_b64 v[22:23], s18, v[22:23]
	s_add_u32 s18, s18, 8
	s_addc_u32 s19, s19, 0
	v_or_b32_e32 v19, v23, v19
	s_or_b64 s[16:17], vcc, s[16:17]
	v_or_b32_e32 v18, v22, v18
	s_andn2_b64 exec, exec, s[16:17]
	s_cbranch_execnz .LBB1_325
; %bb.326:                              ;   in Loop: Header=BB1_282 Depth=1
	s_or_b64 exec, exec, s[16:17]
.LBB1_327:                              ;   in Loop: Header=BB1_282 Depth=1
	s_or_b64 exec, exec, s[14:15]
	s_mov_b32 s14, 0
                                        ; implicit-def: $vgpr20
.LBB1_328:                              ;   in Loop: Header=BB1_282 Depth=1
	s_or_saveexec_b64 s[4:5], s[4:5]
	v_mov_b32_e32 v22, s14
	s_xor_b64 exec, exec, s[4:5]
	s_cbranch_execz .LBB1_330
; %bb.329:                              ;   in Loop: Header=BB1_282 Depth=1
	flat_load_dwordx2 v[18:19], v[6:7]
	v_add_u32_e32 v22, -8, v20
	v_add_co_u32_e32 v6, vcc, 8, v6
	v_addc_co_u32_e32 v7, vcc, 0, v7, vcc
	s_waitcnt vmcnt(0) lgkmcnt(0)
	v_and_b32_e32 v20, 0xff, v19
	v_and_b32_e32 v21, 0xff00, v19
	;; [unrolled: 1-line block ×4, first 2 shown]
	v_or_b32_e32 v20, v20, v21
	v_or3_b32 v18, v18, 0, 0
	v_or3_b32 v19, v20, v23, v19
.LBB1_330:                              ;   in Loop: Header=BB1_282 Depth=1
	s_or_b64 exec, exec, s[4:5]
	v_cmp_gt_u32_e32 vcc, 8, v22
	s_and_saveexec_b64 s[4:5], vcc
	s_xor_b64 s[4:5], exec, s[4:5]
	s_cbranch_execz .LBB1_336
; %bb.331:                              ;   in Loop: Header=BB1_282 Depth=1
	v_cmp_ne_u32_e32 vcc, 0, v22
	v_pk_mov_b32 v[20:21], 0, 0
	s_and_saveexec_b64 s[14:15], vcc
	s_cbranch_execz .LBB1_335
; %bb.332:                              ;   in Loop: Header=BB1_282 Depth=1
	s_mov_b64 s[16:17], 0
	v_pk_mov_b32 v[20:21], 0, 0
	s_mov_b64 s[18:19], 0
.LBB1_333:                              ;   Parent Loop BB1_282 Depth=1
                                        ; =>  This Inner Loop Header: Depth=2
	flat_load_ubyte v23, v[6:7]
	v_mov_b32_e32 v25, s22
	v_add_co_u32_e32 v6, vcc, 1, v6
	v_add_u32_e32 v22, -1, v22
	v_addc_co_u32_e32 v7, vcc, 0, v7, vcc
	v_cmp_eq_u32_e32 vcc, 0, v22
	s_waitcnt vmcnt(0) lgkmcnt(0)
	v_and_b32_e32 v24, 0xffff, v23
	v_lshlrev_b64 v[24:25], s18, v[24:25]
	s_add_u32 s18, s18, 8
	s_addc_u32 s19, s19, 0
	v_or_b32_e32 v21, v25, v21
	s_or_b64 s[16:17], vcc, s[16:17]
	v_or_b32_e32 v20, v24, v20
	s_andn2_b64 exec, exec, s[16:17]
	s_cbranch_execnz .LBB1_333
; %bb.334:                              ;   in Loop: Header=BB1_282 Depth=1
	s_or_b64 exec, exec, s[16:17]
.LBB1_335:                              ;   in Loop: Header=BB1_282 Depth=1
	s_or_b64 exec, exec, s[14:15]
                                        ; implicit-def: $vgpr6_vgpr7
.LBB1_336:                              ;   in Loop: Header=BB1_282 Depth=1
	s_andn2_saveexec_b64 s[4:5], s[4:5]
	s_cbranch_execz .LBB1_338
; %bb.337:                              ;   in Loop: Header=BB1_282 Depth=1
	flat_load_dwordx2 v[6:7], v[6:7]
	s_waitcnt vmcnt(0) lgkmcnt(0)
	v_and_b32_e32 v20, 0xff, v7
	v_and_b32_e32 v21, 0xff00, v7
	;; [unrolled: 1-line block ×4, first 2 shown]
	v_or_b32_e32 v20, v20, v21
	v_or3_b32 v21, v20, v22, v7
	v_or3_b32 v20, v6, 0, 0
.LBB1_338:                              ;   in Loop: Header=BB1_282 Depth=1
	s_or_b64 exec, exec, s[4:5]
	v_readfirstlane_b32 s4, v37
	v_cmp_eq_u32_e64 s[4:5], s4, v37
	v_pk_mov_b32 v[6:7], 0, 0
	s_and_saveexec_b64 s[14:15], s[4:5]
	s_cbranch_execz .LBB1_344
; %bb.339:                              ;   in Loop: Header=BB1_282 Depth=1
	global_load_dwordx2 v[24:25], v31, s[10:11] offset:24 glc
	s_waitcnt vmcnt(0)
	buffer_invl2
	buffer_wbinvl1_vol
	global_load_dwordx2 v[6:7], v31, s[10:11] offset:40
	global_load_dwordx2 v[22:23], v31, s[10:11]
	s_waitcnt vmcnt(1)
	v_and_b32_e32 v6, v6, v24
	v_and_b32_e32 v7, v7, v25
	v_mul_lo_u32 v7, v7, 24
	v_mul_hi_u32 v29, v6, 24
	v_mul_lo_u32 v6, v6, 24
	v_add_u32_e32 v7, v29, v7
	s_waitcnt vmcnt(0)
	v_add_co_u32_e32 v6, vcc, v22, v6
	v_addc_co_u32_e32 v7, vcc, v23, v7, vcc
	global_load_dwordx2 v[22:23], v[6:7], off glc
	s_waitcnt vmcnt(0)
	global_atomic_cmpswap_x2 v[6:7], v31, v[22:25], s[10:11] offset:24 glc
	s_waitcnt vmcnt(0)
	buffer_invl2
	buffer_wbinvl1_vol
	v_cmp_ne_u64_e32 vcc, v[6:7], v[24:25]
	s_and_saveexec_b64 s[16:17], vcc
	s_cbranch_execz .LBB1_343
; %bb.340:                              ;   in Loop: Header=BB1_282 Depth=1
	s_mov_b64 s[18:19], 0
.LBB1_341:                              ;   Parent Loop BB1_282 Depth=1
                                        ; =>  This Inner Loop Header: Depth=2
	s_sleep 1
	global_load_dwordx2 v[22:23], v31, s[10:11] offset:40
	global_load_dwordx2 v[34:35], v31, s[10:11]
	v_pk_mov_b32 v[24:25], v[6:7], v[6:7] op_sel:[0,1]
	s_waitcnt vmcnt(1)
	v_and_b32_e32 v6, v22, v24
	s_waitcnt vmcnt(0)
	v_mad_u64_u32 v[6:7], s[20:21], v6, 24, v[34:35]
	v_and_b32_e32 v23, v23, v25
	v_mov_b32_e32 v22, v7
	v_mad_u64_u32 v[22:23], s[20:21], v23, 24, v[22:23]
	v_mov_b32_e32 v7, v22
	global_load_dwordx2 v[22:23], v[6:7], off glc
	s_waitcnt vmcnt(0)
	global_atomic_cmpswap_x2 v[6:7], v31, v[22:25], s[10:11] offset:24 glc
	s_waitcnt vmcnt(0)
	buffer_invl2
	buffer_wbinvl1_vol
	v_cmp_eq_u64_e32 vcc, v[6:7], v[24:25]
	s_or_b64 s[18:19], vcc, s[18:19]
	s_andn2_b64 exec, exec, s[18:19]
	s_cbranch_execnz .LBB1_341
; %bb.342:                              ;   in Loop: Header=BB1_282 Depth=1
	s_or_b64 exec, exec, s[18:19]
.LBB1_343:                              ;   in Loop: Header=BB1_282 Depth=1
	s_or_b64 exec, exec, s[16:17]
.LBB1_344:                              ;   in Loop: Header=BB1_282 Depth=1
	s_or_b64 exec, exec, s[14:15]
	global_load_dwordx2 v[34:35], v31, s[10:11] offset:40
	global_load_dwordx4 v[22:25], v31, s[10:11]
	v_readfirstlane_b32 s14, v6
	v_readfirstlane_b32 s15, v7
	s_mov_b64 s[16:17], exec
	s_waitcnt vmcnt(1)
	v_readfirstlane_b32 s18, v34
	v_readfirstlane_b32 s19, v35
	s_and_b64 s[18:19], s[14:15], s[18:19]
	s_mul_i32 s20, s19, 24
	s_mul_hi_u32 s21, s18, 24
	s_mul_i32 s24, s18, 24
	s_add_i32 s20, s21, s20
	v_mov_b32_e32 v6, s20
	s_waitcnt vmcnt(0)
	v_add_co_u32_e32 v34, vcc, s24, v22
	v_addc_co_u32_e32 v35, vcc, v23, v6, vcc
	s_and_saveexec_b64 s[20:21], s[4:5]
	s_cbranch_execz .LBB1_346
; %bb.345:                              ;   in Loop: Header=BB1_282 Depth=1
	v_pk_mov_b32 v[6:7], s[16:17], s[16:17] op_sel:[0,1]
	global_store_dwordx4 v[34:35], v[6:9], off offset:8
.LBB1_346:                              ;   in Loop: Header=BB1_282 Depth=1
	s_or_b64 exec, exec, s[20:21]
	s_lshl_b64 s[16:17], s[18:19], 12
	v_mov_b32_e32 v7, s17
	v_add_co_u32_e32 v6, vcc, s16, v24
	v_addc_co_u32_e32 v7, vcc, v25, v7, vcc
	v_or_b32_e32 v24, 0, v1
	v_cmp_lt_u64_e32 vcc, 56, v[26:27]
	v_or_b32_e32 v25, v0, v28
	v_cndmask_b32_e32 v1, v24, v1, vcc
	v_lshl_add_u32 v24, v32, 2, 28
	v_cndmask_b32_e32 v0, v25, v0, vcc
	v_and_b32_e32 v24, 0x1e0, v24
	v_and_or_b32 v0, v0, s23, v24
	v_readfirstlane_b32 s16, v6
	v_readfirstlane_b32 s17, v7
	s_nop 4
	global_store_dwordx4 v36, v[0:3], s[16:17]
	global_store_dwordx4 v36, v[10:13], s[16:17] offset:16
	global_store_dwordx4 v36, v[14:17], s[16:17] offset:32
	;; [unrolled: 1-line block ×3, first 2 shown]
	s_and_saveexec_b64 s[16:17], s[4:5]
	s_cbranch_execz .LBB1_354
; %bb.347:                              ;   in Loop: Header=BB1_282 Depth=1
	global_load_dwordx2 v[14:15], v31, s[10:11] offset:32 glc
	global_load_dwordx2 v[0:1], v31, s[10:11] offset:40
	v_mov_b32_e32 v12, s14
	v_mov_b32_e32 v13, s15
	s_waitcnt vmcnt(0)
	v_readfirstlane_b32 s18, v0
	v_readfirstlane_b32 s19, v1
	s_and_b64 s[18:19], s[18:19], s[14:15]
	s_mul_i32 s19, s19, 24
	s_mul_hi_u32 s20, s18, 24
	s_mul_i32 s18, s18, 24
	s_add_i32 s19, s20, s19
	v_mov_b32_e32 v0, s19
	v_add_co_u32_e32 v10, vcc, s18, v22
	v_addc_co_u32_e32 v11, vcc, v23, v0, vcc
	global_store_dwordx2 v[10:11], v[14:15], off
	buffer_wbl2
	s_waitcnt vmcnt(0)
	global_atomic_cmpswap_x2 v[2:3], v31, v[12:15], s[10:11] offset:32 glc
	s_waitcnt vmcnt(0)
	v_cmp_ne_u64_e32 vcc, v[2:3], v[14:15]
	s_and_saveexec_b64 s[18:19], vcc
	s_cbranch_execz .LBB1_350
; %bb.348:                              ;   in Loop: Header=BB1_282 Depth=1
	s_mov_b64 s[20:21], 0
.LBB1_349:                              ;   Parent Loop BB1_282 Depth=1
                                        ; =>  This Inner Loop Header: Depth=2
	s_sleep 1
	global_store_dwordx2 v[10:11], v[2:3], off
	v_mov_b32_e32 v0, s14
	v_mov_b32_e32 v1, s15
	buffer_wbl2
	s_waitcnt vmcnt(0)
	global_atomic_cmpswap_x2 v[0:1], v31, v[0:3], s[10:11] offset:32 glc
	s_waitcnt vmcnt(0)
	v_cmp_eq_u64_e32 vcc, v[0:1], v[2:3]
	s_or_b64 s[20:21], vcc, s[20:21]
	v_pk_mov_b32 v[2:3], v[0:1], v[0:1] op_sel:[0,1]
	s_andn2_b64 exec, exec, s[20:21]
	s_cbranch_execnz .LBB1_349
.LBB1_350:                              ;   in Loop: Header=BB1_282 Depth=1
	s_or_b64 exec, exec, s[18:19]
	global_load_dwordx2 v[0:1], v31, s[10:11] offset:16
	s_mov_b64 s[20:21], exec
	v_mbcnt_lo_u32_b32 v2, s20, 0
	v_mbcnt_hi_u32_b32 v2, s21, v2
	v_cmp_eq_u32_e32 vcc, 0, v2
	s_and_saveexec_b64 s[18:19], vcc
	s_cbranch_execz .LBB1_352
; %bb.351:                              ;   in Loop: Header=BB1_282 Depth=1
	s_bcnt1_i32_b64 s20, s[20:21]
	v_mov_b32_e32 v30, s20
	buffer_wbl2
	s_waitcnt vmcnt(0)
	global_atomic_add_x2 v[0:1], v[30:31], off offset:8
.LBB1_352:                              ;   in Loop: Header=BB1_282 Depth=1
	s_or_b64 exec, exec, s[18:19]
	s_waitcnt vmcnt(0)
	global_load_dwordx2 v[2:3], v[0:1], off offset:16
	s_waitcnt vmcnt(0)
	v_cmp_eq_u64_e32 vcc, 0, v[2:3]
	s_cbranch_vccnz .LBB1_354
; %bb.353:                              ;   in Loop: Header=BB1_282 Depth=1
	global_load_dword v30, v[0:1], off offset:24
	s_waitcnt vmcnt(0)
	v_and_b32_e32 v0, 0xffffff, v30
	v_readfirstlane_b32 m0, v0
	buffer_wbl2
	global_store_dwordx2 v[2:3], v[30:31], off
	s_sendmsg sendmsg(MSG_INTERRUPT)
.LBB1_354:                              ;   in Loop: Header=BB1_282 Depth=1
	s_or_b64 exec, exec, s[16:17]
	v_add_co_u32_e32 v0, vcc, v6, v36
	v_addc_co_u32_e32 v1, vcc, 0, v7, vcc
	s_branch .LBB1_358
.LBB1_355:                              ;   in Loop: Header=BB1_358 Depth=2
	s_or_b64 exec, exec, s[16:17]
	v_readfirstlane_b32 s16, v2
	s_cmp_eq_u32 s16, 0
	s_cbranch_scc1 .LBB1_357
; %bb.356:                              ;   in Loop: Header=BB1_358 Depth=2
	s_sleep 1
	s_cbranch_execnz .LBB1_358
	s_branch .LBB1_360
.LBB1_357:                              ;   in Loop: Header=BB1_282 Depth=1
	s_branch .LBB1_360
.LBB1_358:                              ;   Parent Loop BB1_282 Depth=1
                                        ; =>  This Inner Loop Header: Depth=2
	v_mov_b32_e32 v2, 1
	s_and_saveexec_b64 s[16:17], s[4:5]
	s_cbranch_execz .LBB1_355
; %bb.359:                              ;   in Loop: Header=BB1_358 Depth=2
	global_load_dword v2, v[34:35], off offset:20 glc
	s_waitcnt vmcnt(0)
	buffer_invl2
	buffer_wbinvl1_vol
	v_and_b32_e32 v2, 1, v2
	s_branch .LBB1_355
.LBB1_360:                              ;   in Loop: Header=BB1_282 Depth=1
	global_load_dwordx4 v[0:3], v[0:1], off
	s_and_saveexec_b64 s[16:17], s[4:5]
	s_cbranch_execz .LBB1_281
; %bb.361:                              ;   in Loop: Header=BB1_282 Depth=1
	global_load_dwordx2 v[2:3], v31, s[10:11] offset:40
	global_load_dwordx2 v[6:7], v31, s[10:11] offset:24 glc
	global_load_dwordx2 v[14:15], v31, s[10:11]
	v_mov_b32_e32 v11, s15
	s_waitcnt vmcnt(2)
	v_add_co_u32_e32 v13, vcc, 1, v2
	v_addc_co_u32_e32 v16, vcc, 0, v3, vcc
	v_add_co_u32_e32 v10, vcc, s14, v13
	v_addc_co_u32_e32 v11, vcc, v16, v11, vcc
	v_cmp_eq_u64_e32 vcc, 0, v[10:11]
	v_cndmask_b32_e32 v11, v11, v16, vcc
	v_cndmask_b32_e32 v10, v10, v13, vcc
	v_and_b32_e32 v3, v11, v3
	v_and_b32_e32 v2, v10, v2
	v_mul_lo_u32 v3, v3, 24
	v_mul_hi_u32 v13, v2, 24
	v_mul_lo_u32 v2, v2, 24
	v_add_u32_e32 v3, v13, v3
	s_waitcnt vmcnt(0)
	v_add_co_u32_e32 v2, vcc, v14, v2
	v_addc_co_u32_e32 v3, vcc, v15, v3, vcc
	v_mov_b32_e32 v12, v6
	global_store_dwordx2 v[2:3], v[6:7], off
	v_mov_b32_e32 v13, v7
	buffer_wbl2
	s_waitcnt vmcnt(0)
	global_atomic_cmpswap_x2 v[12:13], v31, v[10:13], s[10:11] offset:24 glc
	s_waitcnt vmcnt(0)
	v_cmp_ne_u64_e32 vcc, v[12:13], v[6:7]
	s_and_b64 exec, exec, vcc
	s_cbranch_execz .LBB1_281
; %bb.362:                              ;   in Loop: Header=BB1_282 Depth=1
	s_mov_b64 s[4:5], 0
.LBB1_363:                              ;   Parent Loop BB1_282 Depth=1
                                        ; =>  This Inner Loop Header: Depth=2
	s_sleep 1
	global_store_dwordx2 v[2:3], v[12:13], off
	buffer_wbl2
	s_waitcnt vmcnt(0)
	global_atomic_cmpswap_x2 v[6:7], v31, v[10:13], s[10:11] offset:24 glc
	s_waitcnt vmcnt(0)
	v_cmp_eq_u64_e32 vcc, v[6:7], v[12:13]
	s_or_b64 s[4:5], vcc, s[4:5]
	v_pk_mov_b32 v[12:13], v[6:7], v[6:7] op_sel:[0,1]
	s_andn2_b64 exec, exec, s[4:5]
	s_cbranch_execnz .LBB1_363
	s_branch .LBB1_281
.LBB1_364:
	s_or_b64 exec, exec, s[6:7]
                                        ; implicit-def: $vgpr36
                                        ; implicit-def: $vgpr37
.LBB1_365:
	s_andn2_saveexec_b64 s[6:7], s[12:13]
	s_cbranch_execz .LBB1_392
; %bb.366:
	v_readfirstlane_b32 s4, v37
	v_cmp_eq_u32_e64 s[4:5], s4, v37
	v_pk_mov_b32 v[8:9], 0, 0
	s_and_saveexec_b64 s[12:13], s[4:5]
	s_cbranch_execz .LBB1_372
; %bb.367:
	s_waitcnt vmcnt(0)
	v_mov_b32_e32 v2, 0
	global_load_dwordx2 v[6:7], v2, s[10:11] offset:24 glc
	s_waitcnt vmcnt(0)
	buffer_invl2
	buffer_wbinvl1_vol
	global_load_dwordx2 v[4:5], v2, s[10:11] offset:40
	global_load_dwordx2 v[8:9], v2, s[10:11]
	s_waitcnt vmcnt(1)
	v_and_b32_e32 v3, v4, v6
	v_and_b32_e32 v4, v5, v7
	v_mul_lo_u32 v4, v4, 24
	v_mul_hi_u32 v5, v3, 24
	v_mul_lo_u32 v3, v3, 24
	v_add_u32_e32 v5, v5, v4
	s_waitcnt vmcnt(0)
	v_add_co_u32_e32 v4, vcc, v8, v3
	v_addc_co_u32_e32 v5, vcc, v9, v5, vcc
	global_load_dwordx2 v[4:5], v[4:5], off glc
	s_waitcnt vmcnt(0)
	global_atomic_cmpswap_x2 v[8:9], v2, v[4:7], s[10:11] offset:24 glc
	s_waitcnt vmcnt(0)
	buffer_invl2
	buffer_wbinvl1_vol
	v_cmp_ne_u64_e32 vcc, v[8:9], v[6:7]
	s_and_saveexec_b64 s[14:15], vcc
	s_cbranch_execz .LBB1_371
; %bb.368:
	s_mov_b64 s[16:17], 0
.LBB1_369:                              ; =>This Inner Loop Header: Depth=1
	s_sleep 1
	global_load_dwordx2 v[4:5], v2, s[10:11] offset:40
	global_load_dwordx2 v[10:11], v2, s[10:11]
	v_pk_mov_b32 v[6:7], v[8:9], v[8:9] op_sel:[0,1]
	s_waitcnt vmcnt(1)
	v_and_b32_e32 v4, v4, v6
	v_and_b32_e32 v3, v5, v7
	s_waitcnt vmcnt(0)
	v_mad_u64_u32 v[4:5], s[18:19], v4, 24, v[10:11]
	v_mov_b32_e32 v8, v5
	v_mad_u64_u32 v[8:9], s[18:19], v3, 24, v[8:9]
	v_mov_b32_e32 v5, v8
	global_load_dwordx2 v[4:5], v[4:5], off glc
	s_waitcnt vmcnt(0)
	global_atomic_cmpswap_x2 v[8:9], v2, v[4:7], s[10:11] offset:24 glc
	s_waitcnt vmcnt(0)
	buffer_invl2
	buffer_wbinvl1_vol
	v_cmp_eq_u64_e32 vcc, v[8:9], v[6:7]
	s_or_b64 s[16:17], vcc, s[16:17]
	s_andn2_b64 exec, exec, s[16:17]
	s_cbranch_execnz .LBB1_369
; %bb.370:
	s_or_b64 exec, exec, s[16:17]
.LBB1_371:
	s_or_b64 exec, exec, s[14:15]
.LBB1_372:
	s_or_b64 exec, exec, s[12:13]
	s_waitcnt vmcnt(0)
	v_mov_b32_e32 v2, 0
	global_load_dwordx2 v[10:11], v2, s[10:11] offset:40
	global_load_dwordx4 v[4:7], v2, s[10:11]
	v_readfirstlane_b32 s12, v8
	v_readfirstlane_b32 s13, v9
	s_mov_b64 s[14:15], exec
	s_waitcnt vmcnt(1)
	v_readfirstlane_b32 s16, v10
	v_readfirstlane_b32 s17, v11
	s_and_b64 s[16:17], s[12:13], s[16:17]
	s_mul_i32 s18, s17, 24
	s_mul_hi_u32 s19, s16, 24
	s_mul_i32 s20, s16, 24
	s_add_i32 s18, s19, s18
	v_mov_b32_e32 v3, s18
	s_waitcnt vmcnt(0)
	v_add_co_u32_e32 v8, vcc, s20, v4
	v_addc_co_u32_e32 v9, vcc, v5, v3, vcc
	s_and_saveexec_b64 s[18:19], s[4:5]
	s_cbranch_execz .LBB1_374
; %bb.373:
	v_pk_mov_b32 v[10:11], s[14:15], s[14:15] op_sel:[0,1]
	v_mov_b32_e32 v12, 2
	v_mov_b32_e32 v13, 1
	global_store_dwordx4 v[8:9], v[10:13], off offset:8
.LBB1_374:
	s_or_b64 exec, exec, s[18:19]
	s_lshl_b64 s[14:15], s[16:17], 12
	v_mov_b32_e32 v3, s15
	v_add_co_u32_e32 v10, vcc, s14, v6
	v_addc_co_u32_e32 v11, vcc, v7, v3, vcc
	s_movk_i32 s14, 0xff1f
	s_mov_b32 s16, 0
	v_and_or_b32 v0, v0, s14, 32
	v_mov_b32_e32 v3, v2
	v_readfirstlane_b32 s14, v10
	v_readfirstlane_b32 s15, v11
	s_mov_b32 s17, s16
	v_add_co_u32_e32 v6, vcc, v10, v36
	s_mov_b32 s18, s16
	s_mov_b32 s19, s16
	s_nop 0
	global_store_dwordx4 v36, v[0:3], s[14:15]
	v_addc_co_u32_e32 v7, vcc, 0, v11, vcc
	v_pk_mov_b32 v[0:1], s[16:17], s[16:17] op_sel:[0,1]
	v_pk_mov_b32 v[2:3], s[18:19], s[18:19] op_sel:[0,1]
	global_store_dwordx4 v36, v[0:3], s[14:15] offset:16
	global_store_dwordx4 v36, v[0:3], s[14:15] offset:32
	;; [unrolled: 1-line block ×3, first 2 shown]
	s_and_saveexec_b64 s[14:15], s[4:5]
	s_cbranch_execz .LBB1_382
; %bb.375:
	v_mov_b32_e32 v10, 0
	global_load_dwordx2 v[14:15], v10, s[10:11] offset:32 glc
	global_load_dwordx2 v[0:1], v10, s[10:11] offset:40
	v_mov_b32_e32 v12, s12
	v_mov_b32_e32 v13, s13
	s_waitcnt vmcnt(0)
	v_readfirstlane_b32 s16, v0
	v_readfirstlane_b32 s17, v1
	s_and_b64 s[16:17], s[16:17], s[12:13]
	s_mul_i32 s17, s17, 24
	s_mul_hi_u32 s18, s16, 24
	s_mul_i32 s16, s16, 24
	s_add_i32 s17, s18, s17
	v_mov_b32_e32 v0, s17
	v_add_co_u32_e32 v4, vcc, s16, v4
	v_addc_co_u32_e32 v5, vcc, v5, v0, vcc
	global_store_dwordx2 v[4:5], v[14:15], off
	buffer_wbl2
	s_waitcnt vmcnt(0)
	global_atomic_cmpswap_x2 v[2:3], v10, v[12:15], s[10:11] offset:32 glc
	s_waitcnt vmcnt(0)
	v_cmp_ne_u64_e32 vcc, v[2:3], v[14:15]
	s_and_saveexec_b64 s[16:17], vcc
	s_cbranch_execz .LBB1_378
; %bb.376:
	s_mov_b64 s[18:19], 0
.LBB1_377:                              ; =>This Inner Loop Header: Depth=1
	s_sleep 1
	global_store_dwordx2 v[4:5], v[2:3], off
	v_mov_b32_e32 v0, s12
	v_mov_b32_e32 v1, s13
	buffer_wbl2
	s_waitcnt vmcnt(0)
	global_atomic_cmpswap_x2 v[0:1], v10, v[0:3], s[10:11] offset:32 glc
	s_waitcnt vmcnt(0)
	v_cmp_eq_u64_e32 vcc, v[0:1], v[2:3]
	s_or_b64 s[18:19], vcc, s[18:19]
	v_pk_mov_b32 v[2:3], v[0:1], v[0:1] op_sel:[0,1]
	s_andn2_b64 exec, exec, s[18:19]
	s_cbranch_execnz .LBB1_377
.LBB1_378:
	s_or_b64 exec, exec, s[16:17]
	v_mov_b32_e32 v3, 0
	global_load_dwordx2 v[0:1], v3, s[10:11] offset:16
	s_mov_b64 s[16:17], exec
	v_mbcnt_lo_u32_b32 v2, s16, 0
	v_mbcnt_hi_u32_b32 v2, s17, v2
	v_cmp_eq_u32_e32 vcc, 0, v2
	s_and_saveexec_b64 s[18:19], vcc
	s_cbranch_execz .LBB1_380
; %bb.379:
	s_bcnt1_i32_b64 s16, s[16:17]
	v_mov_b32_e32 v2, s16
	buffer_wbl2
	s_waitcnt vmcnt(0)
	global_atomic_add_x2 v[0:1], v[2:3], off offset:8
.LBB1_380:
	s_or_b64 exec, exec, s[18:19]
	s_waitcnt vmcnt(0)
	global_load_dwordx2 v[2:3], v[0:1], off offset:16
	s_waitcnt vmcnt(0)
	v_cmp_eq_u64_e32 vcc, 0, v[2:3]
	s_cbranch_vccnz .LBB1_382
; %bb.381:
	global_load_dword v0, v[0:1], off offset:24
	v_mov_b32_e32 v1, 0
	buffer_wbl2
	s_waitcnt vmcnt(0)
	global_store_dwordx2 v[2:3], v[0:1], off
	v_and_b32_e32 v0, 0xffffff, v0
	v_readfirstlane_b32 m0, v0
	s_sendmsg sendmsg(MSG_INTERRUPT)
.LBB1_382:
	s_or_b64 exec, exec, s[14:15]
	s_branch .LBB1_386
.LBB1_383:                              ;   in Loop: Header=BB1_386 Depth=1
	s_or_b64 exec, exec, s[14:15]
	v_readfirstlane_b32 s14, v0
	s_cmp_eq_u32 s14, 0
	s_cbranch_scc1 .LBB1_385
; %bb.384:                              ;   in Loop: Header=BB1_386 Depth=1
	s_sleep 1
	s_cbranch_execnz .LBB1_386
	s_branch .LBB1_388
.LBB1_385:
	s_branch .LBB1_388
.LBB1_386:                              ; =>This Inner Loop Header: Depth=1
	v_mov_b32_e32 v0, 1
	s_and_saveexec_b64 s[14:15], s[4:5]
	s_cbranch_execz .LBB1_383
; %bb.387:                              ;   in Loop: Header=BB1_386 Depth=1
	global_load_dword v0, v[8:9], off offset:20 glc
	s_waitcnt vmcnt(0)
	buffer_invl2
	buffer_wbinvl1_vol
	v_and_b32_e32 v0, 1, v0
	s_branch .LBB1_383
.LBB1_388:
	global_load_dwordx2 v[0:1], v[6:7], off
	s_and_saveexec_b64 s[14:15], s[4:5]
	s_cbranch_execz .LBB1_391
; %bb.389:
	v_mov_b32_e32 v8, 0
	global_load_dwordx2 v[6:7], v8, s[10:11] offset:40
	global_load_dwordx2 v[10:11], v8, s[10:11] offset:24 glc
	global_load_dwordx2 v[12:13], v8, s[10:11]
	v_mov_b32_e32 v3, s13
	s_mov_b64 s[4:5], 0
	s_waitcnt vmcnt(2)
	v_add_co_u32_e32 v5, vcc, 1, v6
	v_addc_co_u32_e32 v9, vcc, 0, v7, vcc
	v_add_co_u32_e32 v2, vcc, s12, v5
	v_addc_co_u32_e32 v3, vcc, v9, v3, vcc
	v_cmp_eq_u64_e32 vcc, 0, v[2:3]
	v_cndmask_b32_e32 v3, v3, v9, vcc
	v_cndmask_b32_e32 v2, v2, v5, vcc
	v_and_b32_e32 v5, v3, v7
	v_and_b32_e32 v6, v2, v6
	v_mul_lo_u32 v5, v5, 24
	v_mul_hi_u32 v7, v6, 24
	v_mul_lo_u32 v6, v6, 24
	v_add_u32_e32 v5, v7, v5
	s_waitcnt vmcnt(0)
	v_add_co_u32_e32 v6, vcc, v12, v6
	v_addc_co_u32_e32 v7, vcc, v13, v5, vcc
	v_mov_b32_e32 v4, v10
	global_store_dwordx2 v[6:7], v[10:11], off
	v_mov_b32_e32 v5, v11
	buffer_wbl2
	s_waitcnt vmcnt(0)
	global_atomic_cmpswap_x2 v[4:5], v8, v[2:5], s[10:11] offset:24 glc
	s_waitcnt vmcnt(0)
	v_cmp_ne_u64_e32 vcc, v[4:5], v[10:11]
	s_and_b64 exec, exec, vcc
	s_cbranch_execz .LBB1_391
.LBB1_390:                              ; =>This Inner Loop Header: Depth=1
	s_sleep 1
	global_store_dwordx2 v[6:7], v[4:5], off
	buffer_wbl2
	s_waitcnt vmcnt(0)
	global_atomic_cmpswap_x2 v[10:11], v8, v[2:5], s[10:11] offset:24 glc
	s_waitcnt vmcnt(0)
	v_cmp_eq_u64_e32 vcc, v[10:11], v[4:5]
	s_or_b64 s[4:5], vcc, s[4:5]
	v_pk_mov_b32 v[4:5], v[10:11], v[10:11] op_sel:[0,1]
	s_andn2_b64 exec, exec, s[4:5]
	s_cbranch_execnz .LBB1_390
.LBB1_391:
	s_or_b64 exec, exec, s[14:15]
.LBB1_392:
	s_or_b64 exec, exec, s[6:7]
	s_getpc_b64 s[4:5]
	s_add_u32 s4, s4, .str.1@rel32@lo+4
	s_addc_u32 s5, s5, .str.1@rel32@hi+12
	s_getpc_b64 s[6:7]
	s_add_u32 s6, s6, .str.1@rel32@lo+32
	s_addc_u32 s7, s7, .str.1@rel32@hi+40
	s_sub_i32 s10, s6, s4
	s_ashr_i32 s11, s10, 31
	s_waitcnt vmcnt(0)
	v_mov_b32_e32 v2, s4
	v_mov_b32_e32 v3, s5
	;; [unrolled: 1-line block ×5, first 2 shown]
	s_getpc_b64 s[6:7]
	s_add_u32 s6, s6, __ockl_fprintf_append_string_n@rel32@lo+4
	s_addc_u32 s7, s7, __ockl_fprintf_append_string_n@rel32@hi+12
	s_swappc_b64 s[30:31], s[6:7]
	s_trap 2
.Lfunc_end1:
	.size	__assert_fail, .Lfunc_end1-__assert_fail
                                        ; -- End function
	.section	.AMDGPU.csdata,"",@progbits
; Function info:
; codeLenInByte = 15360
; NumSgprs: 38
; NumVgprs: 41
; NumAgprs: 0
; TotalNumVgprs: 41
; ScratchSize: 64
; MemoryBound: 0
	.text
	.p2align	2                               ; -- Begin function _ZN12_GLOBAL__N_17runRingI14__hip_fp8_e4m37FuncSumIS1_E11ProtoSimpleILi2ELi2ELi0ELi1ELi0ELi0EELi0ELi0ELi1ELi0EEEviiP15ncclDevWorkColl
	.type	_ZN12_GLOBAL__N_17runRingI14__hip_fp8_e4m37FuncSumIS1_E11ProtoSimpleILi2ELi2ELi0ELi1ELi0ELi0EELi0ELi0ELi1ELi0EEEviiP15ncclDevWorkColl,@function
_ZN12_GLOBAL__N_17runRingI14__hip_fp8_e4m37FuncSumIS1_E11ProtoSimpleILi2ELi2ELi0ELi1ELi0ELi0EELi0ELi0ELi1ELi0EEEviiP15ncclDevWorkColl: ; @_ZN12_GLOBAL__N_17runRingI14__hip_fp8_e4m37FuncSumIS1_E11ProtoSimpleILi2ELi2ELi0ELi1ELi0ELi0EELi0ELi0ELi1ELi0EEEviiP15ncclDevWorkColl
; %bb.0:
	s_waitcnt vmcnt(0) expcnt(0) lgkmcnt(0)
	s_mov_b32 s4, s33
	s_mov_b32 s33, s32
	s_or_saveexec_b64 s[6:7], -1
	buffer_store_dword v63, off, s[0:3], s33 offset:188 ; 4-byte Folded Spill
	buffer_store_dword v62, off, s[0:3], s33 offset:192 ; 4-byte Folded Spill
	s_mov_b64 exec, s[6:7]
	v_writelane_b32 v62, s4, 2
	s_addk_i32 s32, 0x3400
	buffer_store_dword v40, off, s[0:3], s33 offset:172 ; 4-byte Folded Spill
	buffer_store_dword v41, off, s[0:3], s33 offset:168 ; 4-byte Folded Spill
	;; [unrolled: 1-line block ×43, first 2 shown]
	buffer_store_dword a61, off, s[0:3], s33 ; 4-byte Folded Spill
	v_writelane_b32 v63, s34, 0
	v_writelane_b32 v63, s35, 1
	;; [unrolled: 1-line block ×66, first 2 shown]
	v_mov_b32_e32 v18, v1
	s_trap 2
	flat_load_dword v1, v[2:3]
	ds_read_b32 v6, v0
	v_accvgpr_write_b32 a3, v0
                                        ; implicit-def: $vgpr4_vgpr5
                                        ; implicit-def: $agpr4_agpr5
                                        ; implicit-def: $agpr6_agpr7
	s_waitcnt lgkmcnt(0)
	v_readfirstlane_b32 s76, v6
	s_waitcnt vmcnt(0)
	v_cmp_ne_u32_sdwa s[4:5], v1, v6 src0_sel:BYTE_0 src1_sel:DWORD
	s_and_saveexec_b64 s[6:7], s[4:5]
	s_xor_b64 s[4:5], exec, s[6:7]
	s_cbranch_execz .LBB2_6
; %bb.1:
	v_not_b32_sdwa v0, v1 dst_sel:DWORD dst_unused:UNUSED_PAD src0_sel:BYTE_0
	v_cmp_ne_u32_sdwa s[6:7], v1, v6 src0_sel:BYTE_1 src1_sel:DWORD
                                        ; implicit-def: $vgpr4_vgpr5
                                        ; implicit-def: $agpr4_agpr5
                                        ; implicit-def: $agpr6_agpr7
	s_and_saveexec_b64 s[10:11], s[6:7]
	s_xor_b64 s[6:7], exec, s[10:11]
	s_cbranch_execz .LBB2_3
; %bb.2:
	flat_load_dwordx4 v[8:11], v[2:3] offset:72
	flat_load_dwordx2 v[4:5], v[2:3] offset:96
	v_add_u32_e32 v0, v6, v0
	v_ashrrev_i32_e32 v1, 31, v0
	s_waitcnt vmcnt(0) lgkmcnt(0)
	v_mul_lo_u32 v1, v10, v1
	v_mad_u64_u32 v[6:7], s[10:11], v10, v0, v[8:9]
	v_mul_lo_u32 v0, v11, v0
	v_add3_u32 v7, v0, v7, v1
	v_accvgpr_write_b32 a4, v6
	v_accvgpr_write_b32 a6, v10
	v_lshrrev_b64 v[4:5], 12, v[4:5]
	v_accvgpr_write_b32 a5, v7
	v_accvgpr_write_b32 a7, v11
                                        ; implicit-def: $vgpr1
                                        ; implicit-def: $vgpr0
.LBB2_3:
	s_andn2_saveexec_b64 s[6:7], s[6:7]
	s_cbranch_execz .LBB2_5
; %bb.4:
	flat_load_dwordx4 v[4:7], v[2:3] offset:72
	flat_load_dwordx4 v[8:11], v[2:3] offset:88
	v_add_u32_sdwa v0, v1, v0 dst_sel:DWORD dst_unused:UNUSED_PAD src0_sel:BYTE_1 src1_sel:DWORD
	v_ashrrev_i32_e32 v1, 31, v0
	s_waitcnt vmcnt(0) lgkmcnt(0)
	v_mul_lo_u32 v1, v6, v1
	v_mad_u64_u32 v[4:5], s[10:11], v6, v0, v[4:5]
	v_mul_lo_u32 v0, v7, v0
	v_add3_u32 v5, v0, v5, v1
	v_accvgpr_write_b32 a4, v4
	v_accvgpr_write_b32 a6, v8
	;; [unrolled: 1-line block ×4, first 2 shown]
	v_lshrrev_b32_e32 v4, 1, v11
.LBB2_5:
	s_or_b64 exec, exec, s[6:7]
.LBB2_6:
	s_andn2_saveexec_b64 s[4:5], s[4:5]
	s_cbranch_execz .LBB2_8
; %bb.7:
	flat_load_dwordx2 v[0:1], v[2:3] offset:96
	flat_load_dwordx2 a[6:7], v[2:3] offset:72
	s_waitcnt vmcnt(0) lgkmcnt(0)
	v_lshlrev_b64 v[4:5], 9, v[0:1]
	v_pk_mov_b32 v[0:1], 0, 0
	v_accvgpr_write_b32 a5, v1
	v_accvgpr_write_b32 a4, v0
.LBB2_8:
	s_or_b64 exec, exec, s[4:5]
	s_trap 2
	ds_read_b64 v[0:1], v0
	s_waitcnt lgkmcnt(0)
	v_cmp_ne_u32_e32 vcc, -1, v0
	v_cndmask_b32_e64 v0, 0, 1, vcc
	v_cmp_ne_u32_e32 vcc, -1, v1
	v_addc_co_u32_e64 v1, s[4:5], 0, v0, vcc
	v_lshlrev_b32_e32 v5, 1, v1
	v_cmp_le_i32_e64 s[4:5], v5, v18
	s_and_saveexec_b64 s[6:7], s[4:5]
	s_xor_b64 s[38:39], exec, s[6:7]
	s_cbranch_execnz .LBB2_9
; %bb.5125:
	s_getpc_b64 s[100:101]
.Lpost_getpc0:
	s_add_u32 s100, s100, (.LBB2_5122-.Lpost_getpc0)&4294967295
	s_addc_u32 s101, s101, (.LBB2_5122-.Lpost_getpc0)>>32
	s_setpc_b64 s[100:101]
.LBB2_9:
	flat_load_dwordx2 v[14:15], v[2:3] offset:104
	flat_load_dwordx4 v[10:13], v[2:3] offset:16
	flat_load_ushort v7, v[2:3] offset:8
	flat_load_dword v6, v[2:3] offset:4
	s_trap 2
	s_load_dword s4, s[8:9], 0x0
	v_mov_b32_e32 v5, 0
	v_mov_b32_e32 v57, 4
	s_waitcnt lgkmcnt(0)
	s_cmp_lt_u32 s12, s4
	s_cselect_b32 s4, 12, 18
	s_add_u32 s4, s8, s4
	s_addc_u32 s5, s9, 0
	global_load_ushort a2, v5, s[4:5]
	ds_read_b32 v5, v0
	s_waitcnt lgkmcnt(0)
	v_readfirstlane_b32 s24, v5
	v_accvgpr_read_b32 v5, a3
	v_cmp_ge_i32_e64 s[4:5], v5, v0
	s_and_saveexec_b64 s[6:7], s[4:5]
	s_cbranch_execz .LBB2_19
; %bb.10:
	v_accvgpr_read_b32 v5, a3
	v_cmp_le_u32_e64 s[4:5], v1, v5
                                        ; implicit-def: $vgpr57
	s_and_saveexec_b64 s[10:11], s[4:5]
	s_xor_b64 s[4:5], exec, s[10:11]
	s_cbranch_execz .LBB2_16
; %bb.11:
	v_cndmask_b32_e64 v5, 0, 1, vcc
	v_sub_u32_e32 v5, v18, v5
	v_accvgpr_read_b32 v8, a3
	v_cmp_ge_u32_e32 vcc, v8, v5
                                        ; implicit-def: $sgpr12
	s_and_saveexec_b64 s[10:11], vcc
	s_xor_b64 s[10:11], exec, s[10:11]
; %bb.12:
	s_mov_b32 s12, 16
                                        ; implicit-def: $vgpr1
; %bb.13:
	s_or_saveexec_b64 s[10:11], s[10:11]
	v_mov_b32_e32 v57, s12
	s_xor_b64 exec, exec, s[10:11]
; %bb.14:
	v_sub_u32_e32 v1, v18, v1
	v_accvgpr_read_b32 v5, a3
	v_cmp_ge_i32_e32 vcc, v5, v1
	v_cndmask_b32_e64 v1, 0, 1, vcc
	v_lshlrev_b32_e32 v57, 5, v1
; %bb.15:
	s_or_b64 exec, exec, s[10:11]
.LBB2_16:
	s_andn2_saveexec_b64 s[4:5], s[4:5]
; %bb.17:
	v_mov_b32_e32 v57, 8
; %bb.18:
	s_or_b64 exec, exec, s[4:5]
.LBB2_19:
	s_or_b64 exec, exec, s[6:7]
	v_and_b32_e32 v1, 36, v57
	v_cmp_ne_u32_e32 vcc, 0, v1
	v_mov_b32_e32 v8, -1
	s_and_saveexec_b64 s[4:5], vcc
	s_cbranch_execz .LBB2_21
; %bb.20:
	s_trap 2
	ds_read_b32 v8, v0
.LBB2_21:
	s_or_b64 exec, exec, s[4:5]
	v_and_b32_e32 v1, 24, v57
	v_cmp_ne_u32_e64 s[4:5], 0, v1
	s_and_saveexec_b64 s[6:7], s[4:5]
	s_cbranch_execz .LBB2_23
; %bb.22:
	s_trap 2
	s_waitcnt lgkmcnt(0)
	ds_read_b32 v8, v0
.LBB2_23:
	s_or_b64 exec, exec, s[6:7]
	v_pk_mov_b32 v[20:21], 0, 0
	s_waitcnt vmcnt(0)
	v_lshrrev_b64 v[6:7], 31, v[6:7]
	v_accvgpr_write_b32 a12, v20
	v_and_b32_e32 v1, 3, v6
	v_accvgpr_write_b32 a13, v21
                                        ; implicit-def: $agpr8_agpr9
                                        ; implicit-def: $agpr16
                                        ; implicit-def: $vgpr44_vgpr45
                                        ; implicit-def: $agpr18_agpr19
                                        ; implicit-def: $vgpr50_vgpr51
                                        ; implicit-def: $vgpr48_vgpr49
	s_and_saveexec_b64 s[4:5], vcc
	s_cbranch_execz .LBB2_33
; %bb.24:
	s_trap 2
	ds_read_b64 v[6:7], v0
	s_waitcnt lgkmcnt(1)
	v_ashrrev_i32_e32 v9, 31, v8
	v_lshlrev_b64 v[16:17], 3, v[8:9]
	v_and_b32_e32 v5, 0xffff, v1
	s_movk_i32 s6, 0xa8
	s_waitcnt lgkmcnt(0)
	v_add_co_u32_e32 v6, vcc, v6, v16
	v_addc_co_u32_e32 v7, vcc, v7, v17, vcc
	flat_load_dwordx2 v[6:7], v[6:7]
                                        ; implicit-def: $agpr8_agpr9
	s_waitcnt vmcnt(0) lgkmcnt(0)
	v_mad_u64_u32 v[6:7], s[6:7], v5, s6, v[6:7]
	flat_load_dword v5, v[6:7] offset:640
	v_add_co_u32_e32 v20, vcc, 0x1f8, v6
	v_addc_co_u32_e32 v21, vcc, 0, v7, vcc
	s_waitcnt vmcnt(0) lgkmcnt(0)
	v_cmp_eq_u32_e32 vcc, 1, v5
	s_and_saveexec_b64 s[6:7], vcc
	s_cbranch_execz .LBB2_26
; %bb.25:
	flat_load_dwordx2 v[16:17], v[20:21] offset:144
	v_or_b32_e32 v57, 0x2000, v57
	s_waitcnt vmcnt(0) lgkmcnt(0)
	flat_load_dwordx2 v[6:7], v[16:17]
	s_trap 2
	v_accvgpr_write_b32 a8, v16
	v_accvgpr_write_b32 a9, v17
	s_waitcnt vmcnt(0) lgkmcnt(0)
	ds_write_b64 v0, v[6:7]
	flat_load_dwordx2 v[6:7], v[16:17] offset:8
	s_waitcnt vmcnt(0) lgkmcnt(0)
	ds_write_b64 v0, v[6:7]
	flat_load_dwordx2 v[6:7], v[16:17] offset:16
	s_waitcnt vmcnt(0) lgkmcnt(0)
	ds_write_b64 v0, v[6:7]
.LBB2_26:
	s_or_b64 exec, exec, s[6:7]
	flat_load_dwordx2 v[6:7], v[20:21] offset:104
	v_and_b32_e32 v5, 32, v57
                                        ; implicit-def: $vgpr48_vgpr49
	s_waitcnt vmcnt(0) lgkmcnt(0)
	v_add_co_u32_e32 v6, vcc, 3, v6
	v_addc_co_u32_e32 v45, vcc, 0, v7, vcc
	v_and_b32_e32 v44, -4, v6
	v_cmp_ne_u32_e32 vcc, 0, v5
	s_and_saveexec_b64 s[6:7], vcc
	s_cbranch_execz .LBB2_28
; %bb.27:
	flat_load_dwordx2 v[48:49], v[20:21] offset:56
	s_waitcnt vmcnt(0) lgkmcnt(0)
	flat_store_dwordx2 v[48:49], v[44:45]
.LBB2_28:
	s_or_b64 exec, exec, s[6:7]
	v_pk_mov_b32 v[6:7], 0, 0
	v_and_b32_e32 v5, 4, v57
	v_accvgpr_write_b32 a13, v7
	v_cmp_ne_u32_e32 vcc, 0, v5
	v_accvgpr_write_b32 a12, v6
                                        ; implicit-def: $agpr16
                                        ; implicit-def: $agpr18_agpr19
                                        ; implicit-def: $vgpr50_vgpr51
	s_and_saveexec_b64 s[6:7], vcc
	s_cbranch_execz .LBB2_32
; %bb.29:
	v_and_b32_e32 v5, 0x800, v57
	v_cmp_eq_u32_e32 vcc, 0, v5
	s_and_saveexec_b64 s[10:11], vcc
	s_cbranch_execz .LBB2_31
; %bb.30:
	s_trap 2
	ds_write_b64 v0, v[20:21]
.LBB2_31:
	s_or_b64 exec, exec, s[10:11]
	flat_load_dwordx2 v[48:49], v[20:21] offset:48
	v_or_b32_e32 v5, 0x100, v57
	s_waitcnt vmcnt(0) lgkmcnt(0)
	flat_load_dwordx2 v[50:51], v[48:49] glc
	flat_load_dwordx2 v[6:7], v[20:21] offset:96
	flat_load_dword a16, v[20:21] offset:72
	flat_load_dwordx2 a[18:19], v[20:21] offset:16
	s_waitcnt vmcnt(0) lgkmcnt(0)
	v_accvgpr_write_b32 a13, v7
	v_cmp_eq_u64_e32 vcc, 0, v[6:7]
	v_accvgpr_write_b32 a12, v6
	v_cndmask_b32_e32 v57, v5, v57, vcc
.LBB2_32:
	s_or_b64 exec, exec, s[6:7]
.LBB2_33:
	s_or_b64 exec, exec, s[4:5]
	v_and_b32_e32 v5, 24, v57
	v_cmp_ne_u32_e32 vcc, 0, v5
                                        ; implicit-def: $agpr20_agpr21
	s_and_saveexec_b64 s[4:5], vcc
	s_cbranch_execz .LBB2_41
; %bb.34:
	s_trap 2
	ds_read_b64 v[6:7], v0
	s_waitcnt lgkmcnt(0)
	v_ashrrev_i32_e32 v9, 31, v8
	v_lshlrev_b64 v[8:9], 3, v[8:9]
	v_and_b32_e32 v1, 0xffff, v1
	s_movk_i32 s6, 0xa8
	v_add_co_u32_e32 v6, vcc, v6, v8
	v_addc_co_u32_e32 v7, vcc, v7, v9, vcc
	flat_load_dwordx2 v[6:7], v[6:7]
                                        ; implicit-def: $agpr20_agpr21
	s_waitcnt vmcnt(0) lgkmcnt(0)
	v_mad_u64_u32 v[20:21], s[6:7], v1, s6, v[6:7]
	flat_load_dwordx4 v[6:9], v[20:21] offset:96
	v_or_b32_e32 v1, 0x100, v57
	s_waitcnt vmcnt(0) lgkmcnt(0)
	v_cmp_eq_u64_e32 vcc, 0, v[6:7]
	v_cndmask_b32_e32 v57, v1, v57, vcc
	v_accvgpr_write_b32 a15, v9
	v_and_b32_e32 v1, 16, v57
	v_accvgpr_write_b32 a14, v8
	v_accvgpr_write_b32 a13, v7
	;; [unrolled: 1-line block ×3, first 2 shown]
	v_cmp_ne_u32_e32 vcc, 0, v1
	s_and_saveexec_b64 s[6:7], vcc
	s_cbranch_execz .LBB2_36
; %bb.35:
	flat_load_dwordx2 a[20:21], v[20:21] offset:120
	flat_load_dwordx2 v[48:49], v[20:21] offset:48
	;; [unrolled: 1-line block ×3, first 2 shown]
.LBB2_36:
	s_or_b64 exec, exec, s[6:7]
	v_accvgpr_read_b32 v6, a12
	v_accvgpr_read_b32 v8, a14
	;; [unrolled: 1-line block ×3, first 2 shown]
	v_add_co_u32_e32 v1, vcc, 3, v8
	v_addc_co_u32_e32 v45, vcc, 0, v9, vcc
	v_and_b32_e32 v44, -4, v1
	v_and_b32_e32 v1, 8, v57
	v_cmp_ne_u32_e32 vcc, 0, v1
	v_accvgpr_read_b32 v7, a13
	s_and_saveexec_b64 s[6:7], vcc
	s_cbranch_execz .LBB2_40
; %bb.37:
	v_and_b32_e32 v1, 0x800, v57
	v_cmp_eq_u32_e32 vcc, 0, v1
	s_and_saveexec_b64 s[10:11], vcc
	s_cbranch_execz .LBB2_39
; %bb.38:
	s_trap 2
	ds_write_b64 v0, v[20:21]
.LBB2_39:
	s_or_b64 exec, exec, s[10:11]
	s_waitcnt vmcnt(0) lgkmcnt(0)
	flat_load_dwordx2 v[48:49], v[20:21] offset:56
	s_waitcnt vmcnt(0) lgkmcnt(0)
	flat_load_dwordx2 v[50:51], v[48:49] glc
	flat_load_dword a16, v[20:21] offset:72
	flat_load_dwordx2 a[18:19], v[20:21] offset:16
.LBB2_40:
	s_or_b64 exec, exec, s[6:7]
.LBB2_41:
	s_or_b64 exec, exec, s[4:5]
	v_accvgpr_read_b32 v1, a3
	v_cmp_eq_u32_e64 s[4:5], 0, v1
	s_and_saveexec_b64 s[6:7], s[4:5]
	s_cbranch_execz .LBB2_43
; %bb.42:
	flat_load_dwordx2 v[6:7], v[2:3] offset:32
	s_waitcnt lgkmcnt(0)
	v_mov_b32_e32 v8, v12
	v_mov_b32_e32 v9, v13
	ds_write2_b64 v0, v[8:9], v[10:11] offset1:1
	s_trap 2
	s_waitcnt vmcnt(0)
	ds_write_b64 v0, v[6:7]
	ds_write_b64 v0, v[14:15]
.LBB2_43:
	s_or_b64 exec, exec, s[6:7]
	v_accvgpr_read_b32 v6, a6
	v_accvgpr_read_b32 v7, a7
	v_cmp_lt_i64_e32 vcc, 0, v[6:7]
	v_pk_mov_b32 v[6:7], 0, 0
	v_accvgpr_write_b32 a15, v7
	s_mov_b64 s[42:43], 0
	v_accvgpr_write_b32 a14, v6
	s_and_saveexec_b64 s[40:41], vcc
	s_cbranch_execnz .LBB2_44
; %bb.5127:
	s_getpc_b64 s[100:101]
.Lpost_getpc1:
	s_add_u32 s100, s100, (.LBB2_5086-.Lpost_getpc1)&4294967295
	s_addc_u32 s101, s101, (.LBB2_5086-.Lpost_getpc1)>>32
	s_setpc_b64 s[100:101]
.LBB2_44:
	flat_load_dword v1, v[2:3] offset:4
	v_and_b32_e32 v60, 0x3ffffe00, v4
	s_waitcnt vmcnt(0) lgkmcnt(0)
	v_accvgpr_read_b32 v4, a16
	v_ashrrev_i32_e32 v3, 31, v4
	v_accvgpr_read_b32 v8, a20
	v_accvgpr_read_b32 v7, a3
	v_accvgpr_write_b32 a17, v3
	v_accvgpr_read_b32 v3, a2
	v_accvgpr_read_b32 v9, a21
	v_and_b32_e32 v2, 63, v31
	v_cmp_ne_u32_sdwa s[46:47], v3, v18 src0_sel:WORD_0 src1_sel:DWORD
	v_lshrrev_b32_e32 v10, 6, v18
	v_ashrrev_i32_e32 v3, 31, v7
	v_lshlrev_b32_e32 v12, 4, v7
	v_mov_b32_e32 v4, 0xfffffe00
	v_cmp_eq_u64_e64 s[12:13], 0, v[8:9]
	v_cmp_ne_u64_e64 s[14:15], 0, v[8:9]
	v_mad_i64_i32 v[8:9], s[16:17], v60, s76, 0
	s_movk_i32 s18, 0x200
	v_mov_b32_e32 v5, 0xfffff800
	v_cmp_eq_u32_e64 s[16:17], 0, v2
	v_lshrrev_b32_e32 v2, 26, v3
	v_ashrrev_i32_e32 v13, 31, v12
	v_lshl_add_u32 v3, v10, 9, v4
	v_and_b32_e32 v6, 0xffffffc0, v18
	v_accvgpr_write_b32 a25, v13
	v_lshl_add_u32 v4, v10, 11, v5
	v_ashrrev_i32_e32 v5, 31, v3
	v_add_co_u32_e64 v3, s[18:19], s18, v3
	v_accvgpr_write_b32 a24, v12
	v_lshlrev_b32_e32 v11, 10, v10
	v_subrev_u32_e32 v12, 64, v6
	v_accvgpr_write_b32 a34, v3
	v_addc_co_u32_e64 v3, s[18:19], 0, v5, s[18:19]
	v_accvgpr_write_b32 a28, v11
	v_add_u32_e32 v14, 0xfffffc00, v11
	v_ashrrev_i32_e32 v11, 31, v12
	v_accvgpr_write_b32 a35, v3
	v_add_co_u32_e64 v3, s[18:19], 64, v12
	s_ashr_i32 s77, s76, 31
	s_movk_i32 s21, 0x800
	v_accvgpr_write_b32 a36, v3
	v_addc_co_u32_e64 v3, s[18:19], 0, v11, s[18:19]
	s_add_u32 s79, s76, -1
	v_accvgpr_write_b32 a23, v6
	v_add_u32_e32 v2, v7, v2
	v_ashrrev_i32_e32 v6, 31, v4
	v_accvgpr_write_b32 a37, v3
	v_add_co_u32_e64 v3, s[18:19], s21, v4
	s_addc_u32 s80, s77, -1
	s_add_i32 s81, s76, s76
	s_not_b32 s22, s76
	v_ashrrev_i32_e32 v13, 6, v2
	v_and_b32_e32 v2, 0xffffffc0, v2
	v_accvgpr_write_b32 a38, v3
	v_addc_co_u32_e64 v3, s[18:19], 0, v6, s[18:19]
	s_movk_i32 s20, 0x400
	s_cmp_gt_i32 s76, 0
	v_accvgpr_write_b32 a39, v3
	v_sub_u32_e32 v3, v7, v2
	v_sub_u32_e32 v2, 0, v13
	v_ashrrev_i32_e32 v15, 31, v14
	s_cselect_b32 s21, s22, -1
	s_ashr_i32 s22, s24, 31
	v_accvgpr_write_b32 a41, v2
	v_add_co_u32_e64 v6, s[18:19], s20, v14
	v_lshlrev_b32_e32 v2, 11, v13
	v_cmp_ge_i32_e32 vcc, v7, v18
	v_addc_co_u32_e64 v7, s[18:19], 0, v15, s[18:19]
	s_add_i32 s82, s21, s81
	s_lshr_b32 s25, s22, 25
	v_cmp_lt_i32_e64 s[20:21], v3, v0
	v_cmp_le_i32_e64 s[22:23], v3, v0
	v_lshl_add_u32 v0, v3, 4, v2
	v_cmp_gt_i32_e64 s[18:19], 1, v3
	v_accvgpr_write_b32 a40, v3
	s_add_i32 s24, s24, s25
	v_accvgpr_write_b32 a44, v0
	v_ashrrev_i32_e32 v3, 31, v0
	v_and_b32_e32 v0, 1, v1
	s_ashr_i32 s84, s24, 7
	v_cmp_eq_u32_e64 s[24:25], 1, v0
	v_mov_b32_e32 v0, 0xffffff00
	v_lshl_add_u32 v0, v10, 8, v0
	s_movk_i32 s26, 0x100
	s_ashr_i32 s83, s82, 31
	v_ashrrev_i32_e32 v1, 31, v0
	v_add_co_u32_e64 v0, s[26:27], s26, v0
	s_cmp_gt_i32 s76, 2
	v_accvgpr_write_b32 a46, v0
	v_addc_co_u32_e64 v0, s[26:27], 0, v1, s[26:27]
	s_cselect_b64 s[48:49], -1, 0
	s_xor_b64 s[50:51], s[24:25], -1
	s_add_i32 s26, s76, 1
	s_cmp_le_i32 s76, s26
	v_pk_mov_b32 v[4:5], v[8:9], v[8:9] op_sel:[0,1]
	s_cselect_b32 s27, s76, 0
	v_pk_mov_b32 v[8:9], 0, 0
	v_accvgpr_write_b32 a10, v20
	v_mov_b32_e32 v61, 0
	s_mov_b32 s44, -1
	v_accvgpr_write_b32 a45, v3
	s_sub_i32 s86, s26, s27
	v_accvgpr_write_b32 a50, v60
	v_accvgpr_write_b32 a15, v9
	v_accvgpr_read_b32 v2, a6
	v_accvgpr_write_b32 a11, v21
	s_mov_b32 s45, 0xffffff
	v_accvgpr_write_b32 a1, v31
	v_cmp_eq_u32_e64 s[6:7], 64, v18
	v_cmp_ne_u32_e64 s[10:11], 64, v18
	s_movk_i32 s78, 0xffc0
	v_accvgpr_write_b32 a0, v18
	v_accvgpr_write_b32 a30, v12
	;; [unrolled: 1-line block ×6, first 2 shown]
	s_movk_i32 s85, 0xff00
	v_accvgpr_write_b32 a47, v0
	s_ashr_i32 s87, s86, 31
	s_add_i32 s88, s76, -2
	s_xor_b64 s[52:53], vcc, -1
	s_movk_i32 s89, 0x270e
	s_movk_i32 s90, 0x108
	;; [unrolled: 1-line block ×4, first 2 shown]
	s_mov_b64 s[54:55], 0x7f800000
	s_mov_b64 s[56:57], 0x43e00001
	s_movk_i32 s93, 0x7a
	s_mov_b64 s[58:59], 0xffffff
	s_mov_b32 s94, 0xc0c0500
	v_bfrev_b32_e32 v0, 60
	v_accvgpr_write_b32 a51, v61
	v_accvgpr_write_b32 a14, v8
	v_accvgpr_read_b32 v3, a7
	v_accvgpr_write_b32 a22, v10
	v_accvgpr_write_b32 a42, v6
	v_accvgpr_write_b32 a43, v7
	s_trap 2
	s_branch .LBB2_47
.LBB2_45:                               ;   in Loop: Header=BB2_47 Depth=1
	s_or_b64 exec, exec, s[30:31]
.LBB2_46:                               ;   in Loop: Header=BB2_47 Depth=1
	s_or_b64 exec, exec, s[28:29]
	v_accvgpr_read_b32 v4, a26
	v_accvgpr_read_b32 v8, a48
	;; [unrolled: 1-line block ×4, first 2 shown]
	v_add_co_u32_e32 v8, vcc, v8, v4
	v_accvgpr_read_b32 v2, a6
	v_addc_co_u32_e32 v9, vcc, v9, v5, vcc
	v_accvgpr_read_b32 v3, a7
	v_cmp_ge_i64_e32 vcc, v[8:9], v[2:3]
	s_or_b64 s[42:43], vcc, s[42:43]
	s_andn2_b64 exec, exec, s[42:43]
	s_cbranch_execnz .LBB2_47
; %bb.5129:
	s_getpc_b64 s[100:101]
.Lpost_getpc2:
	s_add_u32 s100, s100, (.LBB2_5085-.Lpost_getpc2)&4294967295
	s_addc_u32 s101, s101, (.LBB2_5085-.Lpost_getpc2)>>32
	s_setpc_b64 s[100:101]
.LBB2_47:                               ; =>This Loop Header: Depth=1
                                        ;     Child Loop BB2_57 Depth 2
                                        ;       Child Loop BB2_65 Depth 3
                                        ;       Child Loop BB2_89 Depth 3
                                        ;       Child Loop BB2_108 Depth 3
                                        ;       Child Loop BB2_143 Depth 3
                                        ;       Child Loop BB2_148 Depth 3
                                        ;       Child Loop BB2_128 Depth 3
                                        ;       Child Loop BB2_133 Depth 3
                                        ;       Child Loop BB2_162 Depth 3
                                        ;       Child Loop BB2_181 Depth 3
                                        ;     Child Loop BB2_199 Depth 2
                                        ;       Child Loop BB2_205 Depth 3
                                        ;       Child Loop BB2_234 Depth 3
	;; [unrolled: 1-line block ×3, first 2 shown]
                                        ;     Child Loop BB2_271 Depth 2
                                        ;       Child Loop BB2_274 Depth 3
                                        ;         Child Loop BB2_282 Depth 4
                                        ;         Child Loop BB2_308 Depth 4
	;; [unrolled: 1-line block ×9, first 2 shown]
                                        ;       Child Loop BB2_1710 Depth 3
                                        ;         Child Loop BB2_1716 Depth 4
                                        ;         Child Loop BB2_1754 Depth 4
                                        ;         Child Loop BB2_1742 Depth 4
                                        ;     Child Loop BB2_1783 Depth 2
                                        ;       Child Loop BB2_1791 Depth 3
                                        ;       Child Loop BB2_1817 Depth 3
	;; [unrolled: 1-line block ×9, first 2 shown]
                                        ;         Child Loop BB2_3063 Depth 4
                                        ;       Child Loop BB2_3073 Depth 3
                                        ;       Child Loop BB2_3189 Depth 3
                                        ;         Child Loop BB2_3218 Depth 4
                                        ;       Child Loop BB2_1864 Depth 3
                                        ;       Child Loop BB2_2659 Depth 3
                                        ;     Child Loop BB2_4545 Depth 2
                                        ;       Child Loop BB2_4551 Depth 3
                                        ;       Child Loop BB2_4581 Depth 3
	;; [unrolled: 1-line block ×3, first 2 shown]
                                        ;     Child Loop BB2_4619 Depth 2
                                        ;       Child Loop BB2_4622 Depth 3
                                        ;         Child Loop BB2_4630 Depth 4
                                        ;         Child Loop BB2_4656 Depth 4
	;; [unrolled: 1-line block ×4, first 2 shown]
                                        ;           Child Loop BB2_4697 Depth 5
                                        ;         Child Loop BB2_4703 Depth 4
                                        ;           Child Loop BB2_4704 Depth 5
                                        ;         Child Loop BB2_4713 Depth 4
                                        ;         Child Loop BB2_4718 Depth 4
                                        ;           Child Loop BB2_4719 Depth 5
                                        ;         Child Loop BB2_4732 Depth 4
                                        ;         Child Loop BB2_4737 Depth 4
	;; [unrolled: 1-line block ×6, first 2 shown]
                                        ;       Child Loop BB2_4802 Depth 3
                                        ;         Child Loop BB2_4808 Depth 4
                                        ;         Child Loop BB2_4838 Depth 4
	;; [unrolled: 1-line block ×3, first 2 shown]
                                        ;     Child Loop BB2_4879 Depth 2
                                        ;       Child Loop BB2_4887 Depth 3
                                        ;       Child Loop BB2_4911 Depth 3
	;; [unrolled: 1-line block ×9, first 2 shown]
                                        ;     Child Loop BB2_5019 Depth 2
                                        ;       Child Loop BB2_5025 Depth 3
                                        ;       Child Loop BB2_5049 Depth 3
	;; [unrolled: 1-line block ×3, first 2 shown]
	v_sub_co_u32_e32 v2, vcc, v2, v8
	v_subb_co_u32_e32 v3, vcc, v3, v9, vcc
	v_accvgpr_write_b32 a27, v5
	v_accvgpr_write_b32 a53, v3
	;; [unrolled: 1-line block ×4, first 2 shown]
	v_cmp_lt_i64_e32 vcc, v[2:3], v[4:5]
	s_and_saveexec_b64 s[28:29], vcc
	s_cbranch_execz .LBB2_53
; %bb.48:                               ;   in Loop: Header=BB2_47 Depth=1
	v_accvgpr_read_b32 v4, a52
	v_mov_b32_e32 v2, s80
	v_accvgpr_read_b32 v5, a53
	v_add_co_u32_e32 v1, vcc, s79, v4
	v_addc_co_u32_e32 v4, vcc, v2, v5, vcc
	v_or_b32_e32 v3, s77, v4
	v_mov_b32_e32 v2, v61
	v_cmp_ne_u64_e32 vcc, 0, v[2:3]
                                        ; implicit-def: $vgpr2_vgpr3
	s_and_saveexec_b64 s[26:27], vcc
	s_xor_b64 s[30:31], exec, s[26:27]
	s_cbranch_execz .LBB2_50
; %bb.49:                               ;   in Loop: Header=BB2_47 Depth=1
	s_add_u32 s26, s76, s77
	s_mov_b32 s34, s77
	s_mov_b32 s35, s77
	s_addc_u32 s27, s77, s77
	s_xor_b64 s[36:37], s[26:27], s[34:35]
	v_cvt_f32_u32_e32 v2, s36
	v_cvt_f32_u32_e32 v3, s37
	s_sub_u32 s26, 0, s36
	s_subb_u32 s27, 0, s37
	v_pk_mov_b32 v[12:13], v[8:9], v[8:9] op_sel:[0,1]
	v_mac_f32_e32 v2, 0x4f800000, v3
	v_rcp_f32_e32 v2, v2
	v_mul_f32_e32 v2, 0x5f7ffffc, v2
	v_mul_f32_e32 v3, 0x2f800000, v2
	v_trunc_f32_e32 v3, v3
	v_mac_f32_e32 v2, 0xcf800000, v3
	v_cvt_u32_f32_e32 v3, v3
	v_cvt_u32_f32_e32 v2, v2
	v_mul_lo_u32 v5, s26, v3
	v_mul_hi_u32 v7, s26, v2
	v_mul_lo_u32 v6, s27, v2
	v_add_u32_e32 v5, v7, v5
	v_mul_lo_u32 v8, s26, v2
	v_add_u32_e32 v5, v5, v6
	v_mul_lo_u32 v7, v2, v5
	v_mul_hi_u32 v9, v2, v8
	v_mul_hi_u32 v6, v2, v5
	v_add_co_u32_e32 v7, vcc, v9, v7
	v_addc_co_u32_e32 v6, vcc, 0, v6, vcc
	v_mul_hi_u32 v10, v3, v8
	v_mul_lo_u32 v8, v3, v8
	v_add_co_u32_e32 v7, vcc, v7, v8
	v_mul_hi_u32 v9, v3, v5
	v_addc_co_u32_e32 v6, vcc, v6, v10, vcc
	v_addc_co_u32_e32 v7, vcc, 0, v9, vcc
	v_mul_lo_u32 v5, v3, v5
	v_add_co_u32_e32 v5, vcc, v6, v5
	v_addc_co_u32_e32 v6, vcc, 0, v7, vcc
	v_add_co_u32_e32 v2, vcc, v2, v5
	v_addc_co_u32_e32 v3, vcc, v3, v6, vcc
	v_mul_lo_u32 v5, s26, v3
	v_mul_hi_u32 v6, s26, v2
	v_add_u32_e32 v5, v6, v5
	v_mul_lo_u32 v6, s27, v2
	v_add_u32_e32 v5, v5, v6
	v_mul_lo_u32 v7, s26, v2
	v_mul_hi_u32 v8, v3, v7
	v_mul_lo_u32 v9, v3, v7
	v_mul_lo_u32 v11, v2, v5
	v_mul_hi_u32 v7, v2, v7
	v_mul_hi_u32 v10, v2, v5
	v_add_co_u32_e32 v7, vcc, v7, v11
	v_addc_co_u32_e32 v10, vcc, 0, v10, vcc
	v_add_co_u32_e32 v7, vcc, v7, v9
	v_mul_hi_u32 v6, v3, v5
	v_addc_co_u32_e32 v7, vcc, v10, v8, vcc
	v_addc_co_u32_e32 v6, vcc, 0, v6, vcc
	v_mul_lo_u32 v5, v3, v5
	v_add_co_u32_e32 v5, vcc, v7, v5
	v_addc_co_u32_e32 v6, vcc, 0, v6, vcc
	v_add_co_u32_e32 v5, vcc, v2, v5
	v_addc_co_u32_e32 v6, vcc, v3, v6, vcc
	v_ashrrev_i32_e32 v7, 31, v4
	v_add_co_u32_e32 v1, vcc, v1, v7
	v_addc_co_u32_e32 v2, vcc, v4, v7, vcc
	v_xor_b32_e32 v1, v1, v7
	v_xor_b32_e32 v8, v2, v7
	v_mad_u64_u32 v[2:3], s[26:27], v1, v6, 0
	v_mul_hi_u32 v4, v1, v5
	v_add_co_u32_e32 v9, vcc, v4, v2
	v_addc_co_u32_e32 v10, vcc, 0, v3, vcc
	v_mad_u64_u32 v[4:5], s[26:27], v8, v5, 0
	v_add_co_u32_e32 v4, vcc, v9, v4
	v_mad_u64_u32 v[2:3], s[26:27], v8, v6, 0
	v_addc_co_u32_e32 v4, vcc, v10, v5, vcc
	v_addc_co_u32_e32 v3, vcc, 0, v3, vcc
	v_add_co_u32_e32 v4, vcc, v4, v2
	v_addc_co_u32_e32 v5, vcc, 0, v3, vcc
	v_mul_lo_u32 v6, s37, v4
	v_mul_lo_u32 v9, s36, v5
	v_mad_u64_u32 v[2:3], s[26:27], s36, v4, 0
	v_add3_u32 v3, v3, v9, v6
	v_sub_u32_e32 v6, v8, v3
	v_mov_b32_e32 v9, s37
	v_sub_co_u32_e32 v1, vcc, v1, v2
	v_subb_co_u32_e64 v2, s[26:27], v6, v9, vcc
	v_subrev_co_u32_e64 v6, s[26:27], s36, v1
	v_subbrev_co_u32_e64 v2, s[26:27], 0, v2, s[26:27]
	v_cmp_le_u32_e64 s[26:27], s37, v2
	v_cndmask_b32_e64 v9, 0, -1, s[26:27]
	v_cmp_le_u32_e64 s[26:27], s36, v6
	v_cndmask_b32_e64 v6, 0, -1, s[26:27]
	v_cmp_eq_u32_e64 s[26:27], s37, v2
	v_cndmask_b32_e64 v2, v9, v6, s[26:27]
	v_add_co_u32_e64 v6, s[26:27], 2, v4
	v_subb_co_u32_e32 v3, vcc, v8, v3, vcc
	v_addc_co_u32_e64 v9, s[26:27], 0, v5, s[26:27]
	v_cmp_le_u32_e32 vcc, s37, v3
	v_add_co_u32_e64 v10, s[26:27], 1, v4
	v_cndmask_b32_e64 v8, 0, -1, vcc
	v_cmp_le_u32_e32 vcc, s36, v1
	v_addc_co_u32_e64 v11, s[26:27], 0, v5, s[26:27]
	v_cndmask_b32_e64 v1, 0, -1, vcc
	v_cmp_eq_u32_e32 vcc, s37, v3
	v_cmp_ne_u32_e64 s[26:27], 0, v2
	v_cndmask_b32_e32 v1, v8, v1, vcc
	v_cndmask_b32_e64 v2, v11, v9, s[26:27]
	v_cmp_ne_u32_e32 vcc, 0, v1
	v_cndmask_b32_e32 v1, v5, v2, vcc
	v_cndmask_b32_e64 v2, v10, v6, s[26:27]
	v_cndmask_b32_e32 v2, v4, v2, vcc
	v_xor_b32_e32 v4, s34, v7
	v_xor_b32_e32 v3, s35, v7
	;; [unrolled: 1-line block ×4, first 2 shown]
	v_sub_co_u32_e32 v2, vcc, v2, v4
	v_pk_mov_b32 v[8:9], v[12:13], v[12:13] op_sel:[0,1]
	v_subb_co_u32_e32 v3, vcc, v1, v3, vcc
                                        ; implicit-def: $vgpr1
.LBB2_50:                               ;   in Loop: Header=BB2_47 Depth=1
	s_andn2_saveexec_b64 s[26:27], s[30:31]
	s_cbranch_execz .LBB2_52
; %bb.51:                               ;   in Loop: Header=BB2_47 Depth=1
	v_cvt_f32_u32_e32 v2, s76
	s_sub_i32 vcc_lo, 0, s76
	v_rcp_iflag_f32_e32 v2, v2
	v_mul_f32_e32 v2, 0x4f7ffffe, v2
	v_cvt_u32_f32_e32 v2, v2
	v_mul_lo_u32 v3, vcc_lo, v2
	v_mul_hi_u32 v3, v2, v3
	v_add_u32_e32 v2, v2, v3
	v_mul_hi_u32 v2, v1, v2
	v_mul_lo_u32 v3, v2, s76
	v_sub_u32_e32 v1, v1, v3
	v_add_u32_e32 v4, 1, v2
	v_subrev_u32_e32 v3, s76, v1
	v_cmp_le_u32_e32 vcc, s76, v1
	v_cndmask_b32_e32 v1, v1, v3, vcc
	v_cndmask_b32_e32 v2, v2, v4, vcc
	v_add_u32_e32 v3, 1, v2
	v_cmp_le_u32_e32 vcc, s76, v1
	v_cndmask_b32_e32 v60, v2, v3, vcc
	v_pk_mov_b32 v[2:3], v[60:61], v[60:61] op_sel:[0,1]
.LBB2_52:                               ;   in Loop: Header=BB2_47 Depth=1
	s_or_b64 exec, exec, s[26:27]
	v_add_co_u32_e32 v1, vcc, 15, v2
	v_addc_co_u32_e32 v3, vcc, 0, v3, vcc
	v_and_b32_e32 v2, -16, v1
	v_accvgpr_write_b32 a51, v3
	v_accvgpr_write_b32 a50, v2
.LBB2_53:                               ;   in Loop: Header=BB2_47 Depth=1
	s_or_b64 exec, exec, s[28:29]
	v_accvgpr_read_b32 v6, a50
	v_accvgpr_read_b32 v7, a51
	v_mul_lo_u32 v1, v7, s82
	v_mul_lo_u32 v2, v6, s83
	v_mad_u64_u32 v[4:5], s[26:27], v6, s82, 0
	v_add3_u32 v5, v5, v2, v1
	v_accvgpr_read_b32 v2, a4
	v_accvgpr_read_b32 v3, a5
	v_add_co_u32_e32 v1, vcc, v8, v2
	v_accvgpr_write_b32 a54, v1
	v_addc_co_u32_e32 v1, vcc, v9, v3, vcc
	v_accvgpr_read_b32 v2, a52
	v_accvgpr_read_b32 v3, a53
	v_sub_co_u32_e32 v2, vcc, v2, v4
	v_subb_co_u32_e32 v3, vcc, v3, v5, vcc
	v_cmp_lt_i64_e32 vcc, v[6:7], v[2:3]
	v_accvgpr_write_b32 a55, v1
	v_cndmask_b32_e32 v1, v2, v6, vcc
	v_max_i32_e32 v6, 0, v1
	v_add_u32_e32 v2, 31, v6
	v_lshrrev_b32_e32 v2, 1, v2
	v_accvgpr_write_b32 a49, v9
	v_and_b32_e32 v2, 0x3ffffff0, v2
	v_cmp_lt_i32_e32 vcc, 0, v1
	v_accvgpr_write_b32 a48, v8
	v_max_i32_e32 v2, s84, v2
	s_and_b64 s[26:27], s[52:53], vcc
	v_mov_b32_e32 v1, 0
	v_mov_b32_e32 v7, 0
	s_and_saveexec_b64 s[28:29], s[26:27]
	s_cbranch_execz .LBB2_195
; %bb.54:                               ;   in Loop: Header=BB2_47 Depth=1
	s_mov_b32 s74, 1
	s_mov_b64 s[34:35], -1
	s_mov_b64 s[30:31], 0
	v_mov_b32_e32 v7, 0
	s_branch .LBB2_57
.LBB2_55:                               ;   in Loop: Header=BB2_57 Depth=2
	s_or_b64 exec, exec, vcc
	v_add_co_u32_e32 v44, vcc, 2, v44
	v_addc_co_u32_e32 v45, vcc, 0, v45, vcc
	flat_store_dwordx2 v[48:49], v[44:45]
.LBB2_56:                               ;   in Loop: Header=BB2_57 Depth=2
	s_or_b64 exec, exec, s[26:27]
	v_add_u32_e32 v7, v2, v7
	v_cmp_ge_i32_e32 vcc, v7, v6
	s_xor_b64 s[26:27], s[34:35], -1
	s_or_b64 s[26:27], s[26:27], vcc
	s_and_b64 s[26:27], exec, s[26:27]
	s_or_b64 s[30:31], s[26:27], s[30:31]
	s_mov_b64 s[34:35], 0
	v_mov_b32_e32 v1, s74
	s_mov_b32 s74, 2
	s_andn2_b64 exec, exec, s[30:31]
	s_cbranch_execz .LBB2_194
.LBB2_57:                               ;   Parent Loop BB2_47 Depth=1
                                        ; =>  This Loop Header: Depth=2
                                        ;       Child Loop BB2_65 Depth 3
                                        ;       Child Loop BB2_89 Depth 3
                                        ;       Child Loop BB2_108 Depth 3
                                        ;       Child Loop BB2_143 Depth 3
                                        ;       Child Loop BB2_148 Depth 3
                                        ;       Child Loop BB2_128 Depth 3
                                        ;       Child Loop BB2_133 Depth 3
                                        ;       Child Loop BB2_162 Depth 3
                                        ;       Child Loop BB2_181 Depth 3
	s_and_saveexec_b64 s[26:27], s[4:5]
	s_cbranch_execz .LBB2_59
; %bb.58:                               ;   in Loop: Header=BB2_57 Depth=2
	s_trap 2
	ds_read_b64 v[8:9], v0
	v_accvgpr_read_b32 v1, a54
	v_accvgpr_read_b32 v3, a55
	v_mov_b32_e32 v60, v61
	ds_write_b64 v0, v[60:61]
	s_waitcnt lgkmcnt(0)
	v_add_co_u32_e32 v1, vcc, v8, v1
	v_addc_co_u32_e32 v3, vcc, v9, v3, vcc
	v_add_co_u32_e32 v1, vcc, v1, v4
	v_addc_co_u32_e32 v3, vcc, v3, v5, vcc
	v_ashrrev_i32_e32 v9, 31, v7
	v_add_co_u32_e32 v8, vcc, v1, v7
	v_addc_co_u32_e32 v9, vcc, v3, v9, vcc
	ds_write_b64 v0, v[8:9]
.LBB2_59:                               ;   in Loop: Header=BB2_57 Depth=2
	s_or_b64 exec, exec, s[26:27]
	v_and_b32_e32 v1, 8, v57
	v_cmp_ne_u32_e32 vcc, 0, v1
	s_mov_b64 s[36:37], -1
	s_and_saveexec_b64 s[26:27], vcc
	s_cbranch_execz .LBB2_71
; %bb.60:                               ;   in Loop: Header=BB2_57 Depth=2
	v_add_co_u32_e32 v10, vcc, 8, v50
	v_addc_co_u32_e32 v11, vcc, 0, v51, vcc
	v_add_co_u32_e32 v8, vcc, 2, v44
	v_addc_co_u32_e32 v9, vcc, 0, v45, vcc
	v_cmp_lt_u64_e32 vcc, v[10:11], v[8:9]
	v_mov_b32_e32 v1, 1
	s_and_saveexec_b64 s[36:37], vcc
	s_cbranch_execz .LBB2_70
; %bb.61:                               ;   in Loop: Header=BB2_57 Depth=2
	s_mov_b64 s[60:61], 0
	v_mov_b32_e32 v1, 0
                                        ; implicit-def: $sgpr62_sgpr63
	s_branch .LBB2_65
.LBB2_62:                               ;   in Loop: Header=BB2_65 Depth=3
	s_or_b64 exec, exec, s[70:71]
	v_mov_b32_e32 v3, 0
	s_orn2_b64 s[68:69], s[68:69], exec
.LBB2_63:                               ;   in Loop: Header=BB2_65 Depth=3
	s_or_b64 exec, exec, s[66:67]
	s_andn2_b64 vcc, s[62:63], exec
	s_and_b64 s[62:63], s[68:69], exec
	s_or_b64 s[62:63], vcc, s[62:63]
	v_mov_b32_e32 v1, v3
.LBB2_64:                               ;   in Loop: Header=BB2_65 Depth=3
	s_or_b64 exec, exec, s[64:65]
	s_waitcnt vmcnt(0) lgkmcnt(0)
	v_add_co_u32_e32 v10, vcc, 8, v50
	v_addc_co_u32_e32 v11, vcc, 0, v51, vcc
	v_cmp_ge_u64_e32 vcc, v[10:11], v[8:9]
	s_xor_b64 s[64:65], s[62:63], -1
	s_or_b64 vcc, s[64:65], vcc
	s_and_b64 vcc, exec, vcc
	s_or_b64 s[60:61], vcc, s[60:61]
	s_andn2_b64 exec, exec, s[60:61]
	s_cbranch_execz .LBB2_69
.LBB2_65:                               ;   Parent Loop BB2_47 Depth=1
                                        ;     Parent Loop BB2_57 Depth=2
                                        ; =>    This Inner Loop Header: Depth=3
	s_sleep 1
	flat_load_dwordx2 v[50:51], v[48:49] glc
	v_and_b32_e32 v3, 64, v57
	v_cmp_eq_u32_e32 vcc, 0, v3
	s_andn2_b64 s[62:63], s[62:63], exec
	s_and_saveexec_b64 s[64:65], vcc
	s_cbranch_execz .LBB2_64
; %bb.66:                               ;   in Loop: Header=BB2_65 Depth=3
	v_add_u32_e32 v3, 1, v1
	v_cmp_lt_i32_e32 vcc, s89, v1
	s_mov_b64 s[68:69], -1
	s_and_saveexec_b64 s[66:67], vcc
	s_cbranch_execz .LBB2_63
; %bb.67:                               ;   in Loop: Header=BB2_65 Depth=3
	s_trap 2
	ds_read_b64 v[10:11], v0
	s_waitcnt vmcnt(0) lgkmcnt(0)
	flat_load_dword v1, v[10:11] glc
	s_waitcnt vmcnt(0) lgkmcnt(0)
	buffer_invl2
	buffer_wbinvl1_vol
	v_cmp_ne_u32_e32 vcc, 0, v1
	s_and_saveexec_b64 s[70:71], vcc
	s_cbranch_execz .LBB2_62
; %bb.68:                               ;   in Loop: Header=BB2_65 Depth=3
	v_or_b32_e32 v57, 64, v57
	s_xor_b64 s[68:69], exec, -1
	ds_write_b32 v0, v1
	s_trap 2
	s_branch .LBB2_62
.LBB2_69:                               ;   in Loop: Header=BB2_57 Depth=2
	s_or_b64 exec, exec, s[60:61]
	v_and_b32_e32 v1, 8, v57
.LBB2_70:                               ;   in Loop: Header=BB2_57 Depth=2
	s_or_b64 exec, exec, s[36:37]
	v_cmp_eq_u32_e32 vcc, 0, v1
	s_orn2_b64 s[36:37], vcc, exec
	;;#ASMSTART
	s_wakeup
	;;#ASMEND
.LBB2_71:                               ;   in Loop: Header=BB2_57 Depth=2
	s_or_b64 exec, exec, s[26:27]
	v_sub_u32_e32 v1, v6, v7
	s_xor_b64 s[26:27], s[36:37], -1
	v_min_i32_e32 v2, v2, v1
	s_and_saveexec_b64 s[36:37], s[26:27]
	s_cbranch_execz .LBB2_81
; %bb.72:                               ;   in Loop: Header=BB2_57 Depth=2
	v_and_b32_e32 v1, 0x100, v57
	v_cmp_ne_u32_e32 vcc, 0, v1
	v_and_b32_e32 v1, 7, v44
	s_mov_b64 s[26:27], -1
                                        ; implicit-def: $vgpr8_vgpr9
	s_and_saveexec_b64 s[60:61], vcc
	s_cbranch_execz .LBB2_76
; %bb.73:                               ;   in Loop: Header=BB2_57 Depth=2
	v_accvgpr_read_b32 v8, a12
	v_accvgpr_read_b32 v9, a13
	v_mad_u64_u32 v[10:11], s[26:27], v1, 24, v[8:9]
	flat_load_dword v8, v[10:11]
	v_ashrrev_i32_e32 v3, 31, v2
	flat_store_dwordx2 v[10:11], v[2:3] offset:8
	s_waitcnt vmcnt(0) lgkmcnt(0)
	v_cmp_ne_u32_e32 vcc, 1, v8
	v_cmp_eq_u32_e64 s[26:27], 1, v8
                                        ; implicit-def: $vgpr8_vgpr9
	s_and_saveexec_b64 s[62:63], s[26:27]
	s_cbranch_execz .LBB2_75
; %bb.74:                               ;   in Loop: Header=BB2_57 Depth=2
	flat_load_dword v8, v[10:11] offset:4 glc
	s_waitcnt vmcnt(0) lgkmcnt(0)
	v_ashrrev_i32_e32 v9, 31, v8
.LBB2_75:                               ;   in Loop: Header=BB2_57 Depth=2
	s_or_b64 exec, exec, s[62:63]
	s_orn2_b64 s[26:27], vcc, exec
.LBB2_76:                               ;   in Loop: Header=BB2_57 Depth=2
	s_or_b64 exec, exec, s[60:61]
	s_and_saveexec_b64 vcc, s[26:27]
; %bb.77:                               ;   in Loop: Header=BB2_57 Depth=2
	v_accvgpr_read_b32 v8, a16
	v_mad_i64_i32 v[8:9], s[26:27], v1, v8, 0
; %bb.78:                               ;   in Loop: Header=BB2_57 Depth=2
	s_or_b64 exec, exec, vcc
	v_accvgpr_read_b32 v10, a18
	v_accvgpr_read_b32 v11, a19
	v_add_co_u32_e32 v8, vcc, v10, v8
	v_addc_co_u32_e32 v9, vcc, v11, v9, vcc
	v_and_b32_e32 v1, 0x2000, v57
	v_cmp_ne_u32_e32 vcc, 0, v1
	ds_write_b64 v0, v[8:9] offset:784
	s_and_saveexec_b64 s[26:27], vcc
	s_cbranch_execz .LBB2_80
; %bb.79:                               ;   in Loop: Header=BB2_57 Depth=2
	ds_read_b64 v[8:9], v0 offset:584
	s_waitcnt lgkmcnt(0)
	v_add_co_u32_e32 v8, vcc, 1, v8
	v_addc_co_u32_e32 v9, vcc, 0, v9, vcc
	ds_write_b64 v0, v[8:9] offset:584
.LBB2_80:                               ;   in Loop: Header=BB2_57 Depth=2
	s_or_b64 exec, exec, s[26:27]
	v_add_co_u32_e32 v44, vcc, 2, v44
	v_addc_co_u32_e32 v45, vcc, 0, v45, vcc
.LBB2_81:                               ;   in Loop: Header=BB2_57 Depth=2
	s_or_b64 exec, exec, s[36:37]
	s_and_saveexec_b64 s[26:27], s[10:11]
	s_cbranch_execz .LBB2_100
; %bb.82:                               ;   in Loop: Header=BB2_57 Depth=2
	s_and_saveexec_b64 vcc, s[46:47]
	s_xor_b64 s[36:37], exec, vcc
	s_cbranch_execz .LBB2_97
; %bb.83:                               ;   in Loop: Header=BB2_57 Depth=2
	s_and_saveexec_b64 s[60:61], s[16:17]
	s_cbranch_execz .LBB2_96
; %bb.84:                               ;   in Loop: Header=BB2_57 Depth=2
	s_mov_b64 s[64:65], exec
	v_mbcnt_lo_u32_b32 v1, s64, 0
	v_mbcnt_hi_u32_b32 v1, s65, v1
	v_cmp_eq_u32_e32 vcc, 0, v1
	s_waitcnt vmcnt(0) lgkmcnt(0)
	buffer_wbinvl1_vol
	s_and_saveexec_b64 s[62:63], vcc
	s_cbranch_execz .LBB2_86
; %bb.85:                               ;   in Loop: Header=BB2_57 Depth=2
	s_bcnt1_i32_b64 vcc_lo, s[64:65]
	v_mov_b32_e32 v60, vcc_lo
	ds_add_u64 v0, v[60:61]
	s_trap 2
.LBB2_86:                               ;   in Loop: Header=BB2_57 Depth=2
	s_or_b64 exec, exec, s[62:63]
	s_trap 2
	ds_read_b64 v[8:9], v0
	v_accvgpr_read_b32 v10, a14
	v_accvgpr_read_b32 v12, a22
	;; [unrolled: 1-line block ×3, first 2 shown]
	v_add_co_u32_e32 v10, vcc, v10, v12
	v_addc_co_u32_e32 v11, vcc, 0, v11, vcc
	v_accvgpr_write_b32 a15, v11
	v_accvgpr_write_b32 a14, v10
	s_waitcnt lgkmcnt(0)
	v_cmp_lt_u64_e32 vcc, v[8:9], v[10:11]
	s_and_saveexec_b64 s[62:63], vcc
	s_cbranch_execz .LBB2_95
; %bb.87:                               ;   in Loop: Header=BB2_57 Depth=2
	s_mov_b32 s75, 0
	s_mov_b64 s[64:65], 0
                                        ; implicit-def: $sgpr66_sgpr67
                                        ; implicit-def: $sgpr68_sgpr69
	s_branch .LBB2_89
.LBB2_88:                               ;   in Loop: Header=BB2_89 Depth=3
	s_or_b64 exec, exec, s[72:73]
	s_and_b64 vcc, exec, vcc
	s_or_b64 s[64:65], vcc, s[64:65]
	s_andn2_b64 vcc, s[66:67], exec
	s_and_b64 s[66:67], s[68:69], exec
	s_or_b64 s[66:67], vcc, s[66:67]
	s_andn2_b64 exec, exec, s[64:65]
	s_cbranch_execz .LBB2_93
.LBB2_89:                               ;   Parent Loop BB2_47 Depth=1
                                        ;     Parent Loop BB2_57 Depth=2
                                        ; =>    This Inner Loop Header: Depth=3
	s_add_i32 s75, s75, 1
	s_cmpk_lg_i32 s75, 0x2710
	s_cselect_b64 s[70:71], -1, 0
	s_and_b64 vcc, exec, s[70:71]
                                        ; implicit-def: $sgpr72_sgpr73
	s_cbranch_vccnz .LBB2_91
; %bb.90:                               ;   in Loop: Header=BB2_89 Depth=3
	s_trap 2
	ds_read_b64 v[8:9], v0
	s_andn2_b64 s[70:71], s[70:71], exec
	s_mov_b32 s75, 0
	s_mov_b64 s[72:73], -1
	s_waitcnt lgkmcnt(0)
	flat_load_dword v1, v[8:9] glc
	s_waitcnt vmcnt(0) lgkmcnt(0)
	buffer_invl2
	buffer_wbinvl1_vol
	v_cmp_eq_u32_e32 vcc, 0, v1
	s_and_b64 vcc, vcc, exec
	s_or_b64 s[70:71], s[70:71], vcc
.LBB2_91:                               ;   in Loop: Header=BB2_89 Depth=3
	s_andn2_b64 s[68:69], s[68:69], exec
	s_and_b64 s[72:73], s[72:73], exec
	s_mov_b64 vcc, -1
	s_or_b64 s[68:69], s[68:69], s[72:73]
	s_and_saveexec_b64 s[72:73], s[70:71]
	s_cbranch_execz .LBB2_88
; %bb.92:                               ;   in Loop: Header=BB2_89 Depth=3
	s_sleep 1
	s_trap 2
	ds_read_b64 v[8:9], v0
	v_accvgpr_read_b32 v10, a14
	v_accvgpr_read_b32 v11, a15
	s_andn2_b64 s[68:69], s[68:69], exec
	s_waitcnt lgkmcnt(0)
	v_cmp_ge_u64_e32 vcc, v[8:9], v[10:11]
	s_orn2_b64 vcc, vcc, exec
	s_branch .LBB2_88
.LBB2_93:                               ;   in Loop: Header=BB2_57 Depth=2
	s_or_b64 exec, exec, s[64:65]
	s_and_saveexec_b64 vcc, s[66:67]
	s_xor_b64 vcc, exec, vcc
	s_cbranch_execz .LBB2_95
; %bb.94:                               ;   in Loop: Header=BB2_57 Depth=2
	v_mov_b32_e32 v1, 1
	ds_write_b32 v0, v1
	s_trap 2
.LBB2_95:                               ;   in Loop: Header=BB2_57 Depth=2
	s_or_b64 exec, exec, s[62:63]
	;;#ASMSTART
	s_wakeup
	;;#ASMEND
.LBB2_96:                               ;   in Loop: Header=BB2_57 Depth=2
	s_or_b64 exec, exec, s[60:61]
.LBB2_97:                               ;   in Loop: Header=BB2_57 Depth=2
	s_andn2_saveexec_b64 vcc, s[36:37]
	s_cbranch_execz .LBB2_99
; %bb.98:                               ;   in Loop: Header=BB2_57 Depth=2
	s_waitcnt vmcnt(0) lgkmcnt(0)
	buffer_wbinvl1_vol
	s_barrier
.LBB2_99:                               ;   in Loop: Header=BB2_57 Depth=2
	s_or_b64 exec, exec, vcc
.LBB2_100:                              ;   in Loop: Header=BB2_57 Depth=2
	s_or_b64 exec, exec, s[26:27]
	s_trap 2
	ds_read_b32 v3, v0
	v_and_b32_e32 v1, 0x4000, v57
	v_cmp_ne_u32_e32 vcc, 0, v1
	s_xor_b64 s[26:27], s[6:7], -1
	s_and_b64 vcc, s[26:27], vcc
	s_and_saveexec_b64 s[26:27], vcc
	s_cbranch_execz .LBB2_119
; %bb.101:                              ;   in Loop: Header=BB2_57 Depth=2
	s_and_saveexec_b64 vcc, s[46:47]
	s_xor_b64 s[36:37], exec, vcc
	s_cbranch_execz .LBB2_116
; %bb.102:                              ;   in Loop: Header=BB2_57 Depth=2
	s_and_saveexec_b64 s[60:61], s[16:17]
	s_cbranch_execz .LBB2_115
; %bb.103:                              ;   in Loop: Header=BB2_57 Depth=2
	s_mov_b64 s[64:65], exec
	v_mbcnt_lo_u32_b32 v1, s64, 0
	v_mbcnt_hi_u32_b32 v1, s65, v1
	v_cmp_eq_u32_e32 vcc, 0, v1
	s_waitcnt vmcnt(0) lgkmcnt(0)
	buffer_wbinvl1_vol
	s_and_saveexec_b64 s[62:63], vcc
	s_cbranch_execz .LBB2_105
; %bb.104:                              ;   in Loop: Header=BB2_57 Depth=2
	s_bcnt1_i32_b64 vcc_lo, s[64:65]
	v_mov_b32_e32 v60, vcc_lo
	ds_add_u64 v0, v[60:61]
	s_trap 2
.LBB2_105:                              ;   in Loop: Header=BB2_57 Depth=2
	s_or_b64 exec, exec, s[62:63]
	s_trap 2
	ds_read_b64 v[8:9], v0
	v_accvgpr_read_b32 v10, a14
	v_accvgpr_read_b32 v12, a22
	;; [unrolled: 1-line block ×3, first 2 shown]
	v_add_co_u32_e32 v10, vcc, v10, v12
	v_addc_co_u32_e32 v11, vcc, 0, v11, vcc
	v_accvgpr_write_b32 a15, v11
	v_accvgpr_write_b32 a14, v10
	s_waitcnt lgkmcnt(0)
	v_cmp_lt_u64_e32 vcc, v[8:9], v[10:11]
	s_and_saveexec_b64 s[62:63], vcc
	s_cbranch_execz .LBB2_114
; %bb.106:                              ;   in Loop: Header=BB2_57 Depth=2
	s_mov_b32 s75, 0
	s_mov_b64 s[64:65], 0
                                        ; implicit-def: $sgpr66_sgpr67
                                        ; implicit-def: $sgpr68_sgpr69
	s_branch .LBB2_108
.LBB2_107:                              ;   in Loop: Header=BB2_108 Depth=3
	s_or_b64 exec, exec, s[72:73]
	s_and_b64 vcc, exec, vcc
	s_or_b64 s[64:65], vcc, s[64:65]
	s_andn2_b64 vcc, s[66:67], exec
	s_and_b64 s[66:67], s[68:69], exec
	s_or_b64 s[66:67], vcc, s[66:67]
	s_andn2_b64 exec, exec, s[64:65]
	s_cbranch_execz .LBB2_112
.LBB2_108:                              ;   Parent Loop BB2_47 Depth=1
                                        ;     Parent Loop BB2_57 Depth=2
                                        ; =>    This Inner Loop Header: Depth=3
	s_add_i32 s75, s75, 1
	s_cmpk_lg_i32 s75, 0x2710
	s_cselect_b64 s[70:71], -1, 0
	s_and_b64 vcc, exec, s[70:71]
                                        ; implicit-def: $sgpr72_sgpr73
	s_cbranch_vccnz .LBB2_110
; %bb.109:                              ;   in Loop: Header=BB2_108 Depth=3
	s_trap 2
	ds_read_b64 v[8:9], v0
	s_andn2_b64 s[70:71], s[70:71], exec
	s_mov_b32 s75, 0
	s_mov_b64 s[72:73], -1
	s_waitcnt lgkmcnt(0)
	flat_load_dword v1, v[8:9] glc
	s_waitcnt vmcnt(0) lgkmcnt(0)
	buffer_invl2
	buffer_wbinvl1_vol
	v_cmp_eq_u32_e32 vcc, 0, v1
	s_and_b64 vcc, vcc, exec
	s_or_b64 s[70:71], s[70:71], vcc
.LBB2_110:                              ;   in Loop: Header=BB2_108 Depth=3
	s_andn2_b64 s[68:69], s[68:69], exec
	s_and_b64 s[72:73], s[72:73], exec
	s_mov_b64 vcc, -1
	s_or_b64 s[68:69], s[68:69], s[72:73]
	s_and_saveexec_b64 s[72:73], s[70:71]
	s_cbranch_execz .LBB2_107
; %bb.111:                              ;   in Loop: Header=BB2_108 Depth=3
	s_sleep 1
	s_trap 2
	ds_read_b64 v[8:9], v0
	v_accvgpr_read_b32 v10, a14
	v_accvgpr_read_b32 v11, a15
	s_andn2_b64 s[68:69], s[68:69], exec
	s_waitcnt lgkmcnt(0)
	v_cmp_ge_u64_e32 vcc, v[8:9], v[10:11]
	s_orn2_b64 vcc, vcc, exec
	s_branch .LBB2_107
.LBB2_112:                              ;   in Loop: Header=BB2_57 Depth=2
	s_or_b64 exec, exec, s[64:65]
	s_and_saveexec_b64 vcc, s[66:67]
	s_xor_b64 vcc, exec, vcc
	s_cbranch_execz .LBB2_114
; %bb.113:                              ;   in Loop: Header=BB2_57 Depth=2
	v_mov_b32_e32 v1, 1
	ds_write_b32 v0, v1
	s_trap 2
.LBB2_114:                              ;   in Loop: Header=BB2_57 Depth=2
	s_or_b64 exec, exec, s[62:63]
	;;#ASMSTART
	s_wakeup
	;;#ASMEND
.LBB2_115:                              ;   in Loop: Header=BB2_57 Depth=2
	s_or_b64 exec, exec, s[60:61]
.LBB2_116:                              ;   in Loop: Header=BB2_57 Depth=2
	s_andn2_saveexec_b64 vcc, s[36:37]
	s_cbranch_execz .LBB2_118
; %bb.117:                              ;   in Loop: Header=BB2_57 Depth=2
	s_waitcnt vmcnt(0) lgkmcnt(0)
	buffer_wbinvl1_vol
	s_barrier
.LBB2_118:                              ;   in Loop: Header=BB2_57 Depth=2
	s_or_b64 exec, exec, vcc
.LBB2_119:                              ;   in Loop: Header=BB2_57 Depth=2
	s_or_b64 exec, exec, s[26:27]
	s_trap 2
	ds_read_b64 v[8:9], v0
	v_mov_b32_e32 v1, 0
	s_waitcnt lgkmcnt(0)
	v_readfirstlane_b32 s26, v8
	v_readfirstlane_b32 s27, v9
	s_cmp_eq_u64 s[26:27], 0
	s_cselect_b64 s[26:27], -1, 0
	s_or_b64 s[26:27], s[26:27], s[26:27]
	s_and_b64 vcc, exec, s[26:27]
	s_cbranch_vccnz .LBB2_140
; %bb.120:                              ;   in Loop: Header=BB2_57 Depth=2
	s_mov_b64 s[26:27], -1
	s_and_saveexec_b64 s[36:37], s[18:19]
	s_cbranch_execz .LBB2_122
; %bb.121:                              ;   in Loop: Header=BB2_57 Depth=2
	ds_read_b32 v1, v0 offset:720
	s_waitcnt lgkmcnt(0)
	v_and_b32_e32 v1, 15, v1
	v_cmp_eq_u32_e32 vcc, 0, v1
	s_orn2_b64 s[26:27], vcc, exec
.LBB2_122:                              ;   in Loop: Header=BB2_57 Depth=2
	s_or_b64 exec, exec, s[36:37]
	s_and_saveexec_b64 s[36:37], s[20:21]
	s_cbranch_execz .LBB2_124
; %bb.123:                              ;   in Loop: Header=BB2_57 Depth=2
	ds_read_b32 v1, v0 offset:784
	s_waitcnt lgkmcnt(0)
	v_and_b32_e32 v1, 15, v1
	v_cmp_eq_u32_e32 vcc, 0, v1
	s_and_b64 vcc, s[26:27], vcc
	s_andn2_b64 s[26:27], s[26:27], exec
	s_and_b64 vcc, vcc, exec
	s_or_b64 s[26:27], s[26:27], vcc
.LBB2_124:                              ;   in Loop: Header=BB2_57 Depth=2
	s_or_b64 exec, exec, s[36:37]
	s_xor_b64 s[26:27], s[26:27], -1
	v_cmp_eq_u32_e32 vcc, 0, v3
	v_cndmask_b32_e64 v3, 0, 1, s[26:27]
	v_cndmask_b32_e32 v1, 0, v2, vcc
	;;#ASMSTART
	;;#ASMEND
	v_mov_b32_e32 v11, 0
	s_mov_b64 s[60:61], -1
	v_cmp_ne_u32_e32 vcc, 0, v3
	v_mov_b32_e32 v14, v1
	v_accvgpr_read_b32 v15, a3
	v_accvgpr_read_b32 v3, a31
	s_cbranch_vccz .LBB2_141
; %bb.125:                              ;   in Loop: Header=BB2_57 Depth=2
	s_and_saveexec_b64 s[26:27], s[60:61]
	s_cbranch_execz .LBB2_154
.LBB2_126:                              ;   in Loop: Header=BB2_57 Depth=2
	v_ashrrev_i32_e32 v8, 31, v14
	v_lshrrev_b32_e32 v8, 23, v8
	v_add_u32_e32 v8, v14, v8
	v_ashrrev_i32_e32 v18, 9, v8
	v_sub_u32_e32 v16, v18, v3
	v_ashrrev_i32_e32 v8, 31, v15
	v_cmp_lt_i32_e32 vcc, 0, v16
	v_lshrrev_b32_e32 v17, 26, v8
	s_and_saveexec_b64 s[36:37], vcc
	s_cbranch_execz .LBB2_130
; %bb.127:                              ;   in Loop: Header=BB2_57 Depth=2
	s_trap 2
	ds_read_b64 v[8:9], v0
	v_add_u32_e32 v10, v15, v17
	v_and_b32_e32 v10, 0xffffffc0, v10
	v_sub_u32_e32 v10, v15, v10
	v_lshlrev_b32_e32 v3, 9, v3
	v_add3_u32 v10, v11, v10, v3
	v_ashrrev_i32_e32 v3, 31, v10
	s_mov_b64 s[60:61], 0
	s_waitcnt lgkmcnt(0)
	v_pk_mov_b32 v[12:13], v[8:9], v[8:9] op_sel:[0,1]
	v_accvgpr_read_b32 v30, a22
	v_accvgpr_read_b32 v29, a34
	;; [unrolled: 1-line block ×3, first 2 shown]
.LBB2_128:                              ;   Parent Loop BB2_47 Depth=1
                                        ;     Parent Loop BB2_57 Depth=2
                                        ; =>    This Inner Loop Header: Depth=3
	v_add_co_u32_e32 v20, vcc, v10, v12
	v_addc_co_u32_e32 v21, vcc, v3, v13, vcc
	flat_load_ubyte v19, v[20:21] glc slc
	flat_load_ubyte v22, v[20:21] offset:64 glc slc
	flat_load_ubyte v23, v[20:21] offset:128 glc slc
	;; [unrolled: 1-line block ×7, first 2 shown]
	v_add_co_u32_e32 v20, vcc, v10, v8
	v_addc_co_u32_e32 v21, vcc, v3, v9, vcc
	v_add_co_u32_e32 v12, vcc, v12, v29
	v_addc_co_u32_e32 v13, vcc, v13, v31, vcc
	v_add_co_u32_e32 v8, vcc, v8, v29
	v_sub_u32_e32 v16, v16, v30
	v_addc_co_u32_e32 v9, vcc, v9, v31, vcc
	v_cmp_gt_i32_e32 vcc, 1, v16
	s_or_b64 s[60:61], vcc, s[60:61]
	s_waitcnt vmcnt(0) lgkmcnt(0)
	flat_store_byte v[20:21], v19 glc slc
	flat_store_byte v[20:21], v22 offset:64 glc slc
	flat_store_byte v[20:21], v23 offset:128 glc slc
	flat_store_byte v[20:21], v24 offset:192 glc slc
	flat_store_byte v[20:21], v25 offset:256 glc slc
	flat_store_byte v[20:21], v26 offset:320 glc slc
	flat_store_byte v[20:21], v27 offset:384 glc slc
	flat_store_byte v[20:21], v28 offset:448 glc slc
	s_andn2_b64 exec, exec, s[60:61]
	s_cbranch_execnz .LBB2_128
; %bb.129:                              ;   in Loop: Header=BB2_57 Depth=2
	s_or_b64 exec, exec, s[60:61]
.LBB2_130:                              ;   in Loop: Header=BB2_57 Depth=2
	s_or_b64 exec, exec, s[36:37]
	v_lshlrev_b32_e32 v3, 9, v18
	v_cmp_ne_u32_e32 vcc, v14, v3
	s_mov_b64 s[36:37], exec
	s_and_b64 vcc, s[36:37], vcc
	v_accvgpr_read_b32 v13, a23
	v_accvgpr_read_b32 v18, a36
	;; [unrolled: 1-line block ×3, first 2 shown]
	s_mov_b64 exec, vcc
	s_cbranch_execz .LBB2_134
; %bb.131:                              ;   in Loop: Header=BB2_57 Depth=2
	v_add_u32_e32 v8, v15, v17
	v_and_b32_e32 v8, 0xffffffc0, v8
	v_sub_u32_e32 v8, v15, v8
	v_lshlrev_b32_e32 v9, 6, v16
	v_sub_u32_e32 v8, v8, v9
	v_add_u32_e32 v3, v3, v8
	v_sub_u32_e32 v12, v14, v3
	v_cmp_lt_i32_e32 vcc, 0, v12
	s_and_b64 exec, exec, vcc
	s_cbranch_execz .LBB2_134
; %bb.132:                              ;   in Loop: Header=BB2_57 Depth=2
	s_trap 2
	ds_read_b64 v[8:9], v0
	v_add_u32_e32 v10, v3, v11
	v_ashrrev_i32_e32 v3, 31, v10
	s_mov_b64 s[60:61], 0
.LBB2_133:                              ;   Parent Loop BB2_47 Depth=1
                                        ;     Parent Loop BB2_57 Depth=2
                                        ; =>    This Inner Loop Header: Depth=3
	s_waitcnt lgkmcnt(0)
	v_add_co_u32_e32 v14, vcc, v8, v10
	v_addc_co_u32_e32 v15, vcc, v9, v3, vcc
	flat_load_ubyte v11, v[14:15] glc slc
	v_add_co_u32_e32 v10, vcc, v10, v18
	v_sub_u32_e32 v12, v12, v13
	v_addc_co_u32_e32 v3, vcc, v3, v19, vcc
	v_cmp_gt_i32_e32 vcc, 1, v12
	s_or_b64 s[60:61], vcc, s[60:61]
	s_waitcnt vmcnt(0) lgkmcnt(0)
	flat_store_byte v[14:15], v11 glc slc
	s_andn2_b64 exec, exec, s[60:61]
	s_cbranch_execnz .LBB2_133
.LBB2_134:                              ;   in Loop: Header=BB2_57 Depth=2
	s_or_b64 exec, exec, s[36:37]
	s_or_b64 exec, exec, s[26:27]
	s_and_saveexec_b64 s[26:27], s[10:11]
	s_cbranch_execnz .LBB2_155
.LBB2_135:                              ;   in Loop: Header=BB2_57 Depth=2
	s_or_b64 exec, exec, s[26:27]
                                        ; implicit-def: $vgpr3
	s_and_saveexec_b64 s[26:27], s[24:25]
	s_xor_b64 s[36:37], exec, s[26:27]
	s_cbranch_execz .LBB2_173
.LBB2_136:                              ;   in Loop: Header=BB2_57 Depth=2
	v_cmp_lt_i32_e32 vcc, 0, v1
	v_and_b32_e32 v1, 16, v57
	v_cmp_ne_u32_e64 s[26:27], 0, v1
	v_and_b32_e32 v3, 16, v57
	s_and_b64 vcc, s[26:27], vcc
	s_and_saveexec_b64 s[26:27], vcc
	s_cbranch_execz .LBB2_138
; %bb.137:                              ;   in Loop: Header=BB2_57 Depth=2
	v_mov_b32_e32 v3, 1
	s_waitcnt vmcnt(0) lgkmcnt(0)
	buffer_wbinvl1_vol
.LBB2_138:                              ;   in Loop: Header=BB2_57 Depth=2
	s_or_b64 exec, exec, s[26:27]
	s_andn2_saveexec_b64 s[26:27], s[36:37]
	s_cbranch_execnz .LBB2_174
.LBB2_139:                              ;   in Loop: Header=BB2_57 Depth=2
	s_or_b64 exec, exec, s[26:27]
	v_cmp_ne_u32_e32 vcc, 0, v3
	s_and_saveexec_b64 s[26:27], vcc
	s_cbranch_execz .LBB2_56
	s_branch .LBB2_192
.LBB2_140:                              ;   in Loop: Header=BB2_57 Depth=2
	s_and_saveexec_b64 s[26:27], s[10:11]
	s_cbranch_execnz .LBB2_155
	s_branch .LBB2_135
.LBB2_141:                              ;   in Loop: Header=BB2_57 Depth=2
	v_accvgpr_read_b32 v8, a24
	v_sub_u32_e32 v3, v1, v8
	v_ashrrev_i32_e32 v8, 31, v1
	v_lshrrev_b32_e32 v8, 22, v8
	v_add_u32_e32 v8, v1, v8
	v_and_b32_e32 v12, 0xfffffc00, v8
	v_accvgpr_read_b32 v9, a25
	v_sub_u32_e32 v17, v1, v12
	v_ashrrev_i32_e32 v9, 10, v8
	v_cmp_lt_i32_e32 vcc, 15, v17
	v_accvgpr_read_b32 v8, a41
	v_addc_co_u32_e64 v16, s[26:27], v9, v8, vcc
	v_cmp_lt_i32_e64 s[26:27], 15, v3
	s_and_saveexec_b64 s[36:37], s[26:27]
	s_cbranch_execz .LBB2_145
; %bb.142:                              ;   in Loop: Header=BB2_57 Depth=2
	s_trap 2
	ds_read_b64 v[8:9], v0
	v_accvgpr_read_b32 v10, a24
	s_mov_b64 s[60:61], 0
	v_accvgpr_read_b32 v11, a25
	v_accvgpr_read_b32 v22, a22
	;; [unrolled: 1-line block ×5, first 2 shown]
.LBB2_143:                              ;   Parent Loop BB2_47 Depth=1
                                        ;     Parent Loop BB2_57 Depth=2
                                        ; =>    This Inner Loop Header: Depth=3
	s_waitcnt lgkmcnt(0)
	v_add_co_u32_e64 v14, s[26:27], v8, v10
	v_addc_co_u32_e64 v15, s[26:27], v9, v11, s[26:27]
	global_load_dwordx4 v[18:21], v[14:15], off glc slc
	v_add_co_u32_e64 v10, s[26:27], v10, v23
	v_sub_u32_e32 v3, v3, v13
	v_addc_co_u32_e64 v11, s[26:27], v11, v24, s[26:27]
	v_cmp_gt_i32_e64 s[26:27], 16, v3
	v_sub_u32_e32 v16, v16, v22
	s_or_b64 s[60:61], s[26:27], s[60:61]
	s_waitcnt vmcnt(0)
	global_store_dwordx4 v[14:15], v[18:21], off glc slc
	s_andn2_b64 exec, exec, s[60:61]
	s_cbranch_execnz .LBB2_143
; %bb.144:                              ;   in Loop: Header=BB2_57 Depth=2
	s_or_b64 exec, exec, s[60:61]
.LBB2_145:                              ;   in Loop: Header=BB2_57 Depth=2
	s_or_b64 exec, exec, s[36:37]
	v_and_b32_e32 v8, 15, v1
	v_cndmask_b32_e32 v13, v17, v8, vcc
	v_cmp_ne_u32_e64 s[26:27], 0, v13
	s_mov_b64 s[60:61], 0
	v_mov_b32_e32 v11, 0
                                        ; implicit-def: $vgpr14
                                        ; implicit-def: $vgpr15
                                        ; implicit-def: $vgpr3
	s_and_saveexec_b64 s[36:37], s[26:27]
	s_cbranch_execz .LBB2_153
; %bb.146:                              ;   in Loop: Header=BB2_57 Depth=2
	v_sub_u32_e32 v3, v17, v8
	v_cndmask_b32_e32 v3, 0, v3, vcc
	v_cmp_lt_i32_e32 vcc, 0, v16
	v_accvgpr_read_b32 v8, a22
	v_add_u32_e32 v12, v3, v12
	v_cndmask_b32_e32 v3, 0, v8, vcc
	v_sub_u32_e32 v3, v3, v16
	v_accvgpr_read_b32 v8, a40
	v_lshl_add_u32 v3, v3, 6, v8
	v_ashrrev_i32_e32 v8, 31, v3
	v_lshrrev_b32_e32 v8, 26, v8
	v_add_u32_e32 v8, v3, v8
	v_ashrrev_i32_e32 v9, 6, v8
	v_and_b32_e32 v8, 0xffffffc0, v8
	v_sub_u32_e32 v16, v3, v8
	v_ashrrev_i32_e32 v8, 31, v13
	v_lshrrev_b32_e32 v8, 22, v8
	v_add_u32_e32 v8, v13, v8
	v_and_b32_e32 v17, 0xfffffc00, v8
	v_lshlrev_b32_e32 v3, 4, v16
	v_sub_u32_e32 v19, v13, v17
	v_lshl_add_u32 v3, v9, 10, v3
	v_ashrrev_i32_e32 v10, 10, v8
	v_cmp_lt_i32_e32 vcc, 15, v19
	v_sub_u32_e32 v11, v13, v3
	v_addc_co_u32_e64 v8, s[26:27], 0, v10, vcc
	v_sub_u32_e32 v18, v8, v9
	v_cmp_lt_i32_e64 s[26:27], 15, v11
	s_and_saveexec_b64 s[60:61], s[26:27]
	s_cbranch_execz .LBB2_150
; %bb.147:                              ;   in Loop: Header=BB2_57 Depth=2
	s_trap 2
	ds_read_b64 v[8:9], v0
	v_add_u32_e32 v10, v3, v12
	v_ashrrev_i32_e32 v3, 31, v10
	s_mov_b64 s[62:63], 0
	v_accvgpr_read_b32 v24, a22
	v_accvgpr_read_b32 v25, a28
	;; [unrolled: 1-line block ×4, first 2 shown]
.LBB2_148:                              ;   Parent Loop BB2_47 Depth=1
                                        ;     Parent Loop BB2_57 Depth=2
                                        ; =>    This Inner Loop Header: Depth=3
	s_waitcnt lgkmcnt(0)
	v_add_co_u32_e64 v14, s[26:27], v8, v10
	v_addc_co_u32_e64 v15, s[26:27], v9, v3, s[26:27]
	global_load_dwordx4 v[20:23], v[14:15], off glc slc
	v_add_co_u32_e64 v10, s[26:27], v10, v26
	v_sub_u32_e32 v11, v11, v25
	v_addc_co_u32_e64 v3, s[26:27], v3, v27, s[26:27]
	v_cmp_gt_i32_e64 s[26:27], 16, v11
	v_sub_u32_e32 v18, v18, v24
	s_or_b64 s[62:63], s[26:27], s[62:63]
	s_waitcnt vmcnt(0)
	global_store_dwordx4 v[14:15], v[20:23], off glc slc
	s_andn2_b64 exec, exec, s[62:63]
	s_cbranch_execnz .LBB2_148
; %bb.149:                              ;   in Loop: Header=BB2_57 Depth=2
	s_or_b64 exec, exec, s[62:63]
.LBB2_150:                              ;   in Loop: Header=BB2_57 Depth=2
	s_or_b64 exec, exec, s[60:61]
	v_and_b32_e32 v8, 15, v13
	v_cndmask_b32_e32 v14, v19, v8, vcc
	v_cmp_ne_u32_e64 s[26:27], 0, v14
	s_mov_b64 s[60:61], 0
	v_mov_b32_e32 v11, 0
                                        ; implicit-def: $vgpr15
                                        ; implicit-def: $vgpr3
	s_and_saveexec_b64 s[62:63], s[26:27]
	s_cbranch_execz .LBB2_152
; %bb.151:                              ;   in Loop: Header=BB2_57 Depth=2
	v_sub_u32_e32 v3, v19, v8
	v_cndmask_b32_e32 v3, 0, v3, vcc
	v_cmp_lt_i32_e32 vcc, 0, v18
	v_accvgpr_read_b32 v8, a22
	v_add3_u32 v11, v17, v12, v3
	v_cndmask_b32_e32 v3, 0, v8, vcc
	v_sub_u32_e32 v3, v3, v18
	v_lshl_add_u32 v15, v3, 6, v16
	v_ashrrev_i32_e32 v3, 31, v15
	v_lshrrev_b32_e32 v3, 26, v3
	v_add_u32_e32 v3, v15, v3
	s_mov_b64 s[60:61], exec
	v_ashrrev_i32_e32 v3, 6, v3
.LBB2_152:                              ;   in Loop: Header=BB2_57 Depth=2
	s_or_b64 exec, exec, s[62:63]
	s_and_b64 s[60:61], s[60:61], exec
.LBB2_153:                              ;   in Loop: Header=BB2_57 Depth=2
	s_or_b64 exec, exec, s[36:37]
	s_and_saveexec_b64 s[26:27], s[60:61]
	s_cbranch_execnz .LBB2_126
.LBB2_154:                              ;   in Loop: Header=BB2_57 Depth=2
	s_or_b64 exec, exec, s[26:27]
	s_and_saveexec_b64 s[26:27], s[10:11]
	s_cbranch_execz .LBB2_135
.LBB2_155:                              ;   in Loop: Header=BB2_57 Depth=2
	s_and_saveexec_b64 vcc, s[46:47]
	s_xor_b64 s[36:37], exec, vcc
	s_cbranch_execz .LBB2_170
; %bb.156:                              ;   in Loop: Header=BB2_57 Depth=2
	s_and_saveexec_b64 s[60:61], s[16:17]
	s_cbranch_execz .LBB2_169
; %bb.157:                              ;   in Loop: Header=BB2_57 Depth=2
	s_mov_b64 s[64:65], exec
	v_mbcnt_lo_u32_b32 v3, s64, 0
	v_mbcnt_hi_u32_b32 v3, s65, v3
	v_cmp_eq_u32_e32 vcc, 0, v3
	s_waitcnt vmcnt(0) lgkmcnt(0)
	buffer_wbinvl1_vol
	s_and_saveexec_b64 s[62:63], vcc
	s_cbranch_execz .LBB2_159
; %bb.158:                              ;   in Loop: Header=BB2_57 Depth=2
	s_bcnt1_i32_b64 vcc_lo, s[64:65]
	v_mov_b32_e32 v60, vcc_lo
	ds_add_u64 v0, v[60:61]
	s_trap 2
.LBB2_159:                              ;   in Loop: Header=BB2_57 Depth=2
	s_or_b64 exec, exec, s[62:63]
	s_trap 2
	ds_read_b64 v[8:9], v0
	v_accvgpr_read_b32 v10, a14
	v_accvgpr_read_b32 v12, a22
	;; [unrolled: 1-line block ×3, first 2 shown]
	v_add_co_u32_e32 v10, vcc, v10, v12
	v_addc_co_u32_e32 v11, vcc, 0, v11, vcc
	v_accvgpr_write_b32 a15, v11
	v_accvgpr_write_b32 a14, v10
	s_waitcnt lgkmcnt(0)
	v_cmp_lt_u64_e32 vcc, v[8:9], v[10:11]
	s_and_saveexec_b64 s[62:63], vcc
	s_cbranch_execz .LBB2_168
; %bb.160:                              ;   in Loop: Header=BB2_57 Depth=2
	s_mov_b32 s75, 0
	s_mov_b64 s[64:65], 0
                                        ; implicit-def: $sgpr66_sgpr67
                                        ; implicit-def: $sgpr68_sgpr69
	s_branch .LBB2_162
.LBB2_161:                              ;   in Loop: Header=BB2_162 Depth=3
	s_or_b64 exec, exec, s[72:73]
	s_and_b64 vcc, exec, vcc
	s_or_b64 s[64:65], vcc, s[64:65]
	s_andn2_b64 vcc, s[66:67], exec
	s_and_b64 s[66:67], s[68:69], exec
	s_or_b64 s[66:67], vcc, s[66:67]
	s_andn2_b64 exec, exec, s[64:65]
	s_cbranch_execz .LBB2_166
.LBB2_162:                              ;   Parent Loop BB2_47 Depth=1
                                        ;     Parent Loop BB2_57 Depth=2
                                        ; =>    This Inner Loop Header: Depth=3
	s_add_i32 s75, s75, 1
	s_cmpk_lg_i32 s75, 0x2710
	s_cselect_b64 s[70:71], -1, 0
	s_and_b64 vcc, exec, s[70:71]
                                        ; implicit-def: $sgpr72_sgpr73
	s_cbranch_vccnz .LBB2_164
; %bb.163:                              ;   in Loop: Header=BB2_162 Depth=3
	s_trap 2
	ds_read_b64 v[8:9], v0
	s_andn2_b64 s[70:71], s[70:71], exec
	s_mov_b32 s75, 0
	s_mov_b64 s[72:73], -1
	s_waitcnt lgkmcnt(0)
	flat_load_dword v3, v[8:9] glc
	s_waitcnt vmcnt(0) lgkmcnt(0)
	buffer_invl2
	buffer_wbinvl1_vol
	v_cmp_eq_u32_e32 vcc, 0, v3
	s_and_b64 vcc, vcc, exec
	s_or_b64 s[70:71], s[70:71], vcc
.LBB2_164:                              ;   in Loop: Header=BB2_162 Depth=3
	s_andn2_b64 s[68:69], s[68:69], exec
	s_and_b64 s[72:73], s[72:73], exec
	s_mov_b64 vcc, -1
	s_or_b64 s[68:69], s[68:69], s[72:73]
	s_and_saveexec_b64 s[72:73], s[70:71]
	s_cbranch_execz .LBB2_161
; %bb.165:                              ;   in Loop: Header=BB2_162 Depth=3
	s_sleep 1
	s_trap 2
	ds_read_b64 v[8:9], v0
	v_accvgpr_read_b32 v10, a14
	v_accvgpr_read_b32 v11, a15
	s_andn2_b64 s[68:69], s[68:69], exec
	s_waitcnt lgkmcnt(0)
	v_cmp_ge_u64_e32 vcc, v[8:9], v[10:11]
	s_orn2_b64 vcc, vcc, exec
	s_branch .LBB2_161
.LBB2_166:                              ;   in Loop: Header=BB2_57 Depth=2
	s_or_b64 exec, exec, s[64:65]
	s_and_saveexec_b64 vcc, s[66:67]
	s_xor_b64 vcc, exec, vcc
	s_cbranch_execz .LBB2_168
; %bb.167:                              ;   in Loop: Header=BB2_57 Depth=2
	v_mov_b32_e32 v3, 1
	ds_write_b32 v0, v3
	s_trap 2
.LBB2_168:                              ;   in Loop: Header=BB2_57 Depth=2
	s_or_b64 exec, exec, s[62:63]
	;;#ASMSTART
	s_wakeup
	;;#ASMEND
.LBB2_169:                              ;   in Loop: Header=BB2_57 Depth=2
	s_or_b64 exec, exec, s[60:61]
.LBB2_170:                              ;   in Loop: Header=BB2_57 Depth=2
	s_andn2_saveexec_b64 vcc, s[36:37]
	s_cbranch_execz .LBB2_172
; %bb.171:                              ;   in Loop: Header=BB2_57 Depth=2
	s_waitcnt vmcnt(0) lgkmcnt(0)
	buffer_wbinvl1_vol
	s_barrier
.LBB2_172:                              ;   in Loop: Header=BB2_57 Depth=2
	s_or_b64 exec, exec, vcc
	s_or_b64 exec, exec, s[26:27]
                                        ; implicit-def: $vgpr3
	s_and_saveexec_b64 s[26:27], s[24:25]
	s_xor_b64 s[36:37], exec, s[26:27]
	s_cbranch_execnz .LBB2_136
.LBB2_173:                              ;   in Loop: Header=BB2_57 Depth=2
	s_andn2_saveexec_b64 s[26:27], s[36:37]
	s_cbranch_execz .LBB2_139
.LBB2_174:                              ;   in Loop: Header=BB2_57 Depth=2
	s_and_saveexec_b64 vcc, s[46:47]
	s_xor_b64 s[36:37], exec, vcc
	s_cbranch_execz .LBB2_189
; %bb.175:                              ;   in Loop: Header=BB2_57 Depth=2
	s_and_saveexec_b64 s[60:61], s[16:17]
	s_cbranch_execz .LBB2_188
; %bb.176:                              ;   in Loop: Header=BB2_57 Depth=2
	s_mov_b64 s[64:65], exec
	v_mbcnt_lo_u32_b32 v1, s64, 0
	v_mbcnt_hi_u32_b32 v1, s65, v1
	v_cmp_eq_u32_e32 vcc, 0, v1
	;;#ASMSTART
	s_waitcnt lgkmcnt(0) vmcnt(0)
	;;#ASMEND
	s_and_saveexec_b64 s[62:63], vcc
	s_cbranch_execz .LBB2_178
; %bb.177:                              ;   in Loop: Header=BB2_57 Depth=2
	s_bcnt1_i32_b64 vcc_lo, s[64:65]
	v_mov_b32_e32 v60, vcc_lo
	ds_add_u64 v0, v[60:61]
	s_trap 2
.LBB2_178:                              ;   in Loop: Header=BB2_57 Depth=2
	s_or_b64 exec, exec, s[62:63]
	s_trap 2
	ds_read_b64 v[8:9], v0
	v_accvgpr_read_b32 v10, a14
	v_accvgpr_read_b32 v12, a22
	;; [unrolled: 1-line block ×3, first 2 shown]
	v_add_co_u32_e32 v10, vcc, v10, v12
	v_addc_co_u32_e32 v11, vcc, 0, v11, vcc
	v_accvgpr_write_b32 a15, v11
	v_accvgpr_write_b32 a14, v10
	s_waitcnt lgkmcnt(0)
	v_cmp_lt_u64_e32 vcc, v[8:9], v[10:11]
	s_and_saveexec_b64 s[62:63], vcc
	s_cbranch_execz .LBB2_187
; %bb.179:                              ;   in Loop: Header=BB2_57 Depth=2
	s_mov_b32 s75, 0
	s_mov_b64 s[64:65], 0
                                        ; implicit-def: $sgpr66_sgpr67
                                        ; implicit-def: $sgpr68_sgpr69
	s_branch .LBB2_181
.LBB2_180:                              ;   in Loop: Header=BB2_181 Depth=3
	s_or_b64 exec, exec, s[72:73]
	s_and_b64 vcc, exec, vcc
	s_or_b64 s[64:65], vcc, s[64:65]
	s_andn2_b64 vcc, s[66:67], exec
	s_and_b64 s[66:67], s[68:69], exec
	s_or_b64 s[66:67], vcc, s[66:67]
	s_andn2_b64 exec, exec, s[64:65]
	s_cbranch_execz .LBB2_185
.LBB2_181:                              ;   Parent Loop BB2_47 Depth=1
                                        ;     Parent Loop BB2_57 Depth=2
                                        ; =>    This Inner Loop Header: Depth=3
	s_add_i32 s75, s75, 1
	s_cmpk_lg_i32 s75, 0x2710
	s_cselect_b64 s[70:71], -1, 0
	s_and_b64 vcc, exec, s[70:71]
                                        ; implicit-def: $sgpr72_sgpr73
	s_cbranch_vccnz .LBB2_183
; %bb.182:                              ;   in Loop: Header=BB2_181 Depth=3
	s_trap 2
	ds_read_b64 v[8:9], v0
	s_andn2_b64 s[70:71], s[70:71], exec
	s_mov_b32 s75, 0
	s_mov_b64 s[72:73], -1
	s_waitcnt vmcnt(0) lgkmcnt(0)
	flat_load_dword v1, v[8:9] glc
	s_waitcnt vmcnt(0) lgkmcnt(0)
	buffer_invl2
	buffer_wbinvl1_vol
	v_cmp_eq_u32_e32 vcc, 0, v1
	s_and_b64 vcc, vcc, exec
	s_or_b64 s[70:71], s[70:71], vcc
.LBB2_183:                              ;   in Loop: Header=BB2_181 Depth=3
	s_andn2_b64 s[68:69], s[68:69], exec
	s_and_b64 s[72:73], s[72:73], exec
	s_mov_b64 vcc, -1
	s_or_b64 s[68:69], s[68:69], s[72:73]
	s_and_saveexec_b64 s[72:73], s[70:71]
	s_cbranch_execz .LBB2_180
; %bb.184:                              ;   in Loop: Header=BB2_181 Depth=3
	s_sleep 1
	s_trap 2
	ds_read_b64 v[8:9], v0
	v_accvgpr_read_b32 v10, a14
	v_accvgpr_read_b32 v11, a15
	s_andn2_b64 s[68:69], s[68:69], exec
	s_waitcnt lgkmcnt(0)
	v_cmp_ge_u64_e32 vcc, v[8:9], v[10:11]
	s_orn2_b64 vcc, vcc, exec
	s_branch .LBB2_180
.LBB2_185:                              ;   in Loop: Header=BB2_57 Depth=2
	s_or_b64 exec, exec, s[64:65]
	s_and_saveexec_b64 vcc, s[66:67]
	s_xor_b64 vcc, exec, vcc
	s_cbranch_execz .LBB2_187
; %bb.186:                              ;   in Loop: Header=BB2_57 Depth=2
	v_mov_b32_e32 v1, 1
	ds_write_b32 v0, v1
	s_trap 2
.LBB2_187:                              ;   in Loop: Header=BB2_57 Depth=2
	s_or_b64 exec, exec, s[62:63]
	;;#ASMSTART
	s_wakeup
	;;#ASMEND
.LBB2_188:                              ;   in Loop: Header=BB2_57 Depth=2
	s_or_b64 exec, exec, s[60:61]
.LBB2_189:                              ;   in Loop: Header=BB2_57 Depth=2
	s_andn2_saveexec_b64 vcc, s[36:37]
	s_cbranch_execz .LBB2_191
; %bb.190:                              ;   in Loop: Header=BB2_57 Depth=2
	;;#ASMSTART
	s_waitcnt lgkmcnt(0) vmcnt(0)
	;;#ASMEND
	s_barrier
.LBB2_191:                              ;   in Loop: Header=BB2_57 Depth=2
	s_or_b64 exec, exec, vcc
	v_and_b32_e32 v3, 16, v57
	s_or_b64 exec, exec, s[26:27]
	v_cmp_ne_u32_e32 vcc, 0, v3
	s_and_saveexec_b64 s[26:27], vcc
	s_cbranch_execz .LBB2_56
.LBB2_192:                              ;   in Loop: Header=BB2_57 Depth=2
	s_and_saveexec_b64 vcc, s[14:15]
	s_cbranch_execz .LBB2_55
; %bb.193:                              ;   in Loop: Header=BB2_57 Depth=2
	v_accvgpr_read_b32 v8, a20
	v_accvgpr_read_b32 v9, a21
	v_mov_b32_e32 v1, 1
	flat_store_dword v[8:9], v1
	s_branch .LBB2_55
.LBB2_194:                              ;   in Loop: Header=BB2_47 Depth=1
	s_or_b64 exec, exec, s[30:31]
.LBB2_195:                              ;   in Loop: Header=BB2_47 Depth=1
	s_or_b64 exec, exec, s[28:29]
	v_cmp_gt_i32_e32 vcc, 2, v1
	s_and_saveexec_b64 s[28:29], vcc
	s_cbranch_execz .LBB2_267
; %bb.196:                              ;   in Loop: Header=BB2_47 Depth=1
	v_cmp_eq_u32_e64 s[26:27], 0, v1
	s_mov_b64 s[30:31], 0
	s_branch .LBB2_199
.LBB2_197:                              ;   in Loop: Header=BB2_199 Depth=2
	s_or_b64 exec, exec, vcc
	v_add_co_u32_e32 v44, vcc, 2, v44
	v_addc_co_u32_e32 v45, vcc, 0, v45, vcc
	flat_store_dwordx2 v[48:49], v[44:45]
.LBB2_198:                              ;   in Loop: Header=BB2_199 Depth=2
	s_or_b64 exec, exec, s[26:27]
	v_add_u32_e32 v7, v2, v7
	s_mov_b64 s[26:27], 0
	s_andn2_b64 exec, exec, s[30:31]
	s_cbranch_execz .LBB2_266
.LBB2_199:                              ;   Parent Loop BB2_47 Depth=1
                                        ; =>  This Loop Header: Depth=2
                                        ;       Child Loop BB2_205 Depth 3
                                        ;       Child Loop BB2_234 Depth 3
                                        ;       Child Loop BB2_253 Depth 3
	v_and_b32_e32 v1, 8, v57
	s_mov_b64 s[36:37], -1
	v_cmp_ne_u32_e32 vcc, 0, v1
	s_and_saveexec_b64 s[34:35], vcc
	s_cbranch_execz .LBB2_211
; %bb.200:                              ;   in Loop: Header=BB2_199 Depth=2
	v_add_co_u32_e32 v8, vcc, 8, v50
	v_addc_co_u32_e32 v9, vcc, 0, v51, vcc
	v_add_co_u32_e32 v4, vcc, 2, v44
	v_addc_co_u32_e32 v5, vcc, 0, v45, vcc
	v_cmp_lt_u64_e32 vcc, v[8:9], v[4:5]
	v_mov_b32_e32 v1, 1
	s_and_saveexec_b64 s[36:37], vcc
	s_cbranch_execz .LBB2_210
; %bb.201:                              ;   in Loop: Header=BB2_199 Depth=2
	s_mov_b64 s[60:61], 0
	v_mov_b32_e32 v1, 0
                                        ; implicit-def: $sgpr62_sgpr63
	s_branch .LBB2_205
.LBB2_202:                              ;   in Loop: Header=BB2_205 Depth=3
	s_or_b64 exec, exec, s[70:71]
	v_mov_b32_e32 v3, 0
	s_orn2_b64 s[68:69], s[68:69], exec
.LBB2_203:                              ;   in Loop: Header=BB2_205 Depth=3
	s_or_b64 exec, exec, s[66:67]
	s_andn2_b64 vcc, s[62:63], exec
	s_and_b64 s[62:63], s[68:69], exec
	s_or_b64 s[62:63], vcc, s[62:63]
	v_mov_b32_e32 v1, v3
.LBB2_204:                              ;   in Loop: Header=BB2_205 Depth=3
	s_or_b64 exec, exec, s[64:65]
	s_waitcnt vmcnt(0) lgkmcnt(0)
	v_add_co_u32_e32 v8, vcc, 8, v50
	v_addc_co_u32_e32 v9, vcc, 0, v51, vcc
	v_cmp_ge_u64_e32 vcc, v[8:9], v[4:5]
	s_xor_b64 s[64:65], s[62:63], -1
	s_or_b64 vcc, s[64:65], vcc
	s_and_b64 vcc, exec, vcc
	s_or_b64 s[60:61], vcc, s[60:61]
	s_andn2_b64 exec, exec, s[60:61]
	s_cbranch_execz .LBB2_209
.LBB2_205:                              ;   Parent Loop BB2_47 Depth=1
                                        ;     Parent Loop BB2_199 Depth=2
                                        ; =>    This Inner Loop Header: Depth=3
	s_sleep 1
	flat_load_dwordx2 v[50:51], v[48:49] glc
	v_and_b32_e32 v3, 64, v57
	v_cmp_eq_u32_e32 vcc, 0, v3
	s_andn2_b64 s[62:63], s[62:63], exec
	s_and_saveexec_b64 s[64:65], vcc
	s_cbranch_execz .LBB2_204
; %bb.206:                              ;   in Loop: Header=BB2_205 Depth=3
	v_add_u32_e32 v3, 1, v1
	v_cmp_lt_i32_e32 vcc, s89, v1
	s_mov_b64 s[68:69], -1
	s_and_saveexec_b64 s[66:67], vcc
	s_cbranch_execz .LBB2_203
; %bb.207:                              ;   in Loop: Header=BB2_205 Depth=3
	s_trap 2
	ds_read_b64 v[8:9], v0
	s_waitcnt vmcnt(0) lgkmcnt(0)
	flat_load_dword v1, v[8:9] glc
	s_waitcnt vmcnt(0) lgkmcnt(0)
	buffer_invl2
	buffer_wbinvl1_vol
	v_cmp_ne_u32_e32 vcc, 0, v1
	s_and_saveexec_b64 s[70:71], vcc
	s_cbranch_execz .LBB2_202
; %bb.208:                              ;   in Loop: Header=BB2_205 Depth=3
	v_or_b32_e32 v57, 64, v57
	s_xor_b64 s[68:69], exec, -1
	ds_write_b32 v0, v1
	s_trap 2
	s_branch .LBB2_202
.LBB2_209:                              ;   in Loop: Header=BB2_199 Depth=2
	s_or_b64 exec, exec, s[60:61]
	v_and_b32_e32 v1, 8, v57
.LBB2_210:                              ;   in Loop: Header=BB2_199 Depth=2
	s_or_b64 exec, exec, s[36:37]
	v_cmp_eq_u32_e32 vcc, 0, v1
	s_orn2_b64 s[36:37], vcc, exec
	;;#ASMSTART
	s_wakeup
	;;#ASMEND
.LBB2_211:                              ;   in Loop: Header=BB2_199 Depth=2
	s_or_b64 exec, exec, s[34:35]
	s_xor_b64 s[26:27], s[26:27], -1
	s_and_b64 s[26:27], exec, s[26:27]
	s_or_b64 s[30:31], s[26:27], s[30:31]
	v_sub_u32_e32 v1, v6, v7
	s_xor_b64 s[26:27], s[36:37], -1
	v_min_i32_e32 v2, v2, v1
	s_and_saveexec_b64 s[34:35], s[26:27]
	s_cbranch_execz .LBB2_226
; %bb.212:                              ;   in Loop: Header=BB2_199 Depth=2
	v_and_b32_e32 v1, 0x100, v57
	v_cmp_ne_u32_e32 vcc, 0, v1
	v_and_b32_e32 v1, 7, v44
	s_mov_b64 s[26:27], -1
                                        ; implicit-def: $vgpr4_vgpr5
	s_and_saveexec_b64 s[36:37], vcc
	s_cbranch_execz .LBB2_216
; %bb.213:                              ;   in Loop: Header=BB2_199 Depth=2
	v_accvgpr_read_b32 v4, a12
	v_accvgpr_read_b32 v5, a13
	v_mad_u64_u32 v[8:9], s[26:27], v1, 24, v[4:5]
	flat_load_dword v4, v[8:9]
	v_ashrrev_i32_e32 v3, 31, v2
	flat_store_dwordx2 v[8:9], v[2:3] offset:8
	s_waitcnt vmcnt(0) lgkmcnt(0)
	v_cmp_ne_u32_e32 vcc, 1, v4
	v_cmp_eq_u32_e64 s[26:27], 1, v4
                                        ; implicit-def: $vgpr4_vgpr5
	s_and_saveexec_b64 s[60:61], s[26:27]
	s_cbranch_execz .LBB2_215
; %bb.214:                              ;   in Loop: Header=BB2_199 Depth=2
	flat_load_dword v4, v[8:9] offset:4 glc
	s_waitcnt vmcnt(0) lgkmcnt(0)
	v_ashrrev_i32_e32 v5, 31, v4
.LBB2_215:                              ;   in Loop: Header=BB2_199 Depth=2
	s_or_b64 exec, exec, s[60:61]
	s_orn2_b64 s[26:27], vcc, exec
.LBB2_216:                              ;   in Loop: Header=BB2_199 Depth=2
	s_or_b64 exec, exec, s[36:37]
	s_and_saveexec_b64 vcc, s[26:27]
; %bb.217:                              ;   in Loop: Header=BB2_199 Depth=2
	v_accvgpr_read_b32 v4, a16
	v_mad_i64_i32 v[4:5], s[26:27], v1, v4, 0
; %bb.218:                              ;   in Loop: Header=BB2_199 Depth=2
	s_or_b64 exec, exec, vcc
	v_accvgpr_read_b32 v8, a18
	v_accvgpr_read_b32 v9, a19
	v_add_co_u32_e32 v4, vcc, v8, v4
	v_addc_co_u32_e32 v5, vcc, v9, v5, vcc
	v_and_b32_e32 v1, 0x2000, v57
	v_cmp_ne_u32_e32 vcc, 0, v1
	ds_write_b64 v0, v[4:5] offset:784
	s_and_saveexec_b64 s[26:27], vcc
	s_cbranch_execz .LBB2_220
; %bb.219:                              ;   in Loop: Header=BB2_199 Depth=2
	ds_read_b64 v[4:5], v0 offset:584
	s_waitcnt lgkmcnt(0)
	v_add_co_u32_e32 v4, vcc, 1, v4
	v_addc_co_u32_e32 v5, vcc, 0, v5, vcc
	ds_write_b64 v0, v[4:5] offset:584
.LBB2_220:                              ;   in Loop: Header=BB2_199 Depth=2
	s_or_b64 exec, exec, s[26:27]
	v_add_co_u32_e32 v44, vcc, 2, v44
	v_addc_co_u32_e32 v45, vcc, 0, v45, vcc
	s_or_b64 exec, exec, s[34:35]
	s_and_saveexec_b64 s[26:27], s[10:11]
	s_cbranch_execnz .LBB2_227
.LBB2_221:                              ;   in Loop: Header=BB2_199 Depth=2
	s_or_b64 exec, exec, s[26:27]
                                        ; implicit-def: $vgpr1
	s_and_saveexec_b64 s[26:27], s[24:25]
	s_xor_b64 s[26:27], exec, s[26:27]
	s_cbranch_execz .LBB2_245
.LBB2_222:                              ;   in Loop: Header=BB2_199 Depth=2
	s_trap 2
	ds_read_b32 v3, v0
	v_cmp_lt_i32_e32 vcc, 0, v2
	v_and_b32_e32 v4, 16, v57
	v_and_b32_e32 v1, 16, v57
	s_waitcnt lgkmcnt(0)
	v_readfirstlane_b32 s34, v3
	s_cmp_eq_u32 s34, 0
	s_cselect_b64 s[34:35], -1, 0
	s_and_b64 s[34:35], vcc, s[34:35]
	v_cmp_ne_u32_e32 vcc, 0, v4
	s_and_b64 s[34:35], vcc, s[34:35]
	s_and_saveexec_b64 vcc, s[34:35]
	s_cbranch_execz .LBB2_224
; %bb.223:                              ;   in Loop: Header=BB2_199 Depth=2
	v_mov_b32_e32 v1, 1
	s_waitcnt vmcnt(0)
	buffer_wbinvl1_vol
.LBB2_224:                              ;   in Loop: Header=BB2_199 Depth=2
	s_or_b64 exec, exec, vcc
	s_andn2_saveexec_b64 s[26:27], s[26:27]
	s_cbranch_execnz .LBB2_246
.LBB2_225:                              ;   in Loop: Header=BB2_199 Depth=2
	s_or_b64 exec, exec, s[26:27]
	v_cmp_ne_u32_e32 vcc, 0, v1
	s_and_saveexec_b64 s[26:27], vcc
	s_cbranch_execz .LBB2_198
	s_branch .LBB2_264
.LBB2_226:                              ;   in Loop: Header=BB2_199 Depth=2
	s_or_b64 exec, exec, s[34:35]
	s_and_saveexec_b64 s[26:27], s[10:11]
	s_cbranch_execz .LBB2_221
.LBB2_227:                              ;   in Loop: Header=BB2_199 Depth=2
	s_and_saveexec_b64 vcc, s[46:47]
	s_xor_b64 s[34:35], exec, vcc
	s_cbranch_execz .LBB2_242
; %bb.228:                              ;   in Loop: Header=BB2_199 Depth=2
	s_and_saveexec_b64 s[36:37], s[16:17]
	s_cbranch_execz .LBB2_241
; %bb.229:                              ;   in Loop: Header=BB2_199 Depth=2
	s_mov_b64 s[62:63], exec
	v_mbcnt_lo_u32_b32 v1, s62, 0
	v_mbcnt_hi_u32_b32 v1, s63, v1
	v_cmp_eq_u32_e32 vcc, 0, v1
	s_waitcnt vmcnt(0) lgkmcnt(0)
	buffer_wbinvl1_vol
	s_and_saveexec_b64 s[60:61], vcc
	s_cbranch_execz .LBB2_231
; %bb.230:                              ;   in Loop: Header=BB2_199 Depth=2
	s_bcnt1_i32_b64 vcc_lo, s[62:63]
	v_mov_b32_e32 v60, vcc_lo
	ds_add_u64 v0, v[60:61]
	s_trap 2
.LBB2_231:                              ;   in Loop: Header=BB2_199 Depth=2
	s_or_b64 exec, exec, s[60:61]
	s_trap 2
	ds_read_b64 v[4:5], v0
	v_accvgpr_read_b32 v8, a14
	v_accvgpr_read_b32 v10, a22
	;; [unrolled: 1-line block ×3, first 2 shown]
	v_add_co_u32_e32 v8, vcc, v8, v10
	v_addc_co_u32_e32 v9, vcc, 0, v9, vcc
	v_accvgpr_write_b32 a15, v9
	v_accvgpr_write_b32 a14, v8
	s_waitcnt lgkmcnt(0)
	v_cmp_lt_u64_e32 vcc, v[4:5], v[8:9]
	s_and_saveexec_b64 s[60:61], vcc
	s_cbranch_execz .LBB2_240
; %bb.232:                              ;   in Loop: Header=BB2_199 Depth=2
	s_mov_b32 s72, 0
	s_mov_b64 s[62:63], 0
                                        ; implicit-def: $sgpr64_sgpr65
                                        ; implicit-def: $sgpr66_sgpr67
	s_branch .LBB2_234
.LBB2_233:                              ;   in Loop: Header=BB2_234 Depth=3
	s_or_b64 exec, exec, s[70:71]
	s_and_b64 vcc, exec, vcc
	s_or_b64 s[62:63], vcc, s[62:63]
	s_andn2_b64 vcc, s[64:65], exec
	s_and_b64 s[64:65], s[66:67], exec
	s_or_b64 s[64:65], vcc, s[64:65]
	s_andn2_b64 exec, exec, s[62:63]
	s_cbranch_execz .LBB2_238
.LBB2_234:                              ;   Parent Loop BB2_47 Depth=1
                                        ;     Parent Loop BB2_199 Depth=2
                                        ; =>    This Inner Loop Header: Depth=3
	s_add_i32 s72, s72, 1
	s_cmpk_lg_i32 s72, 0x2710
	s_cselect_b64 s[68:69], -1, 0
	s_and_b64 vcc, exec, s[68:69]
                                        ; implicit-def: $sgpr70_sgpr71
	s_cbranch_vccnz .LBB2_236
; %bb.235:                              ;   in Loop: Header=BB2_234 Depth=3
	s_trap 2
	ds_read_b64 v[4:5], v0
	s_andn2_b64 s[68:69], s[68:69], exec
	s_mov_b32 s72, 0
	s_mov_b64 s[70:71], -1
	s_waitcnt lgkmcnt(0)
	flat_load_dword v1, v[4:5] glc
	s_waitcnt vmcnt(0) lgkmcnt(0)
	buffer_invl2
	buffer_wbinvl1_vol
	v_cmp_eq_u32_e32 vcc, 0, v1
	s_and_b64 vcc, vcc, exec
	s_or_b64 s[68:69], s[68:69], vcc
.LBB2_236:                              ;   in Loop: Header=BB2_234 Depth=3
	s_andn2_b64 s[66:67], s[66:67], exec
	s_and_b64 s[70:71], s[70:71], exec
	s_mov_b64 vcc, -1
	s_or_b64 s[66:67], s[66:67], s[70:71]
	s_and_saveexec_b64 s[70:71], s[68:69]
	s_cbranch_execz .LBB2_233
; %bb.237:                              ;   in Loop: Header=BB2_234 Depth=3
	s_sleep 1
	s_trap 2
	ds_read_b64 v[4:5], v0
	v_accvgpr_read_b32 v8, a14
	v_accvgpr_read_b32 v9, a15
	s_andn2_b64 s[66:67], s[66:67], exec
	s_waitcnt lgkmcnt(0)
	v_cmp_ge_u64_e32 vcc, v[4:5], v[8:9]
	s_orn2_b64 vcc, vcc, exec
	s_branch .LBB2_233
.LBB2_238:                              ;   in Loop: Header=BB2_199 Depth=2
	s_or_b64 exec, exec, s[62:63]
	s_and_saveexec_b64 vcc, s[64:65]
	s_xor_b64 vcc, exec, vcc
	s_cbranch_execz .LBB2_240
; %bb.239:                              ;   in Loop: Header=BB2_199 Depth=2
	v_mov_b32_e32 v1, 1
	ds_write_b32 v0, v1
	s_trap 2
.LBB2_240:                              ;   in Loop: Header=BB2_199 Depth=2
	s_or_b64 exec, exec, s[60:61]
	;;#ASMSTART
	s_wakeup
	;;#ASMEND
.LBB2_241:                              ;   in Loop: Header=BB2_199 Depth=2
	s_or_b64 exec, exec, s[36:37]
.LBB2_242:                              ;   in Loop: Header=BB2_199 Depth=2
	s_andn2_saveexec_b64 vcc, s[34:35]
	s_cbranch_execz .LBB2_244
; %bb.243:                              ;   in Loop: Header=BB2_199 Depth=2
	s_waitcnt vmcnt(0) lgkmcnt(0)
	buffer_wbinvl1_vol
	s_barrier
.LBB2_244:                              ;   in Loop: Header=BB2_199 Depth=2
	s_or_b64 exec, exec, vcc
	s_or_b64 exec, exec, s[26:27]
                                        ; implicit-def: $vgpr1
	s_and_saveexec_b64 s[26:27], s[24:25]
	s_xor_b64 s[26:27], exec, s[26:27]
	s_cbranch_execnz .LBB2_222
.LBB2_245:                              ;   in Loop: Header=BB2_199 Depth=2
	s_andn2_saveexec_b64 s[26:27], s[26:27]
	s_cbranch_execz .LBB2_225
.LBB2_246:                              ;   in Loop: Header=BB2_199 Depth=2
	s_and_saveexec_b64 vcc, s[46:47]
	s_xor_b64 s[34:35], exec, vcc
	s_cbranch_execz .LBB2_261
; %bb.247:                              ;   in Loop: Header=BB2_199 Depth=2
	s_and_saveexec_b64 s[36:37], s[16:17]
	s_cbranch_execz .LBB2_260
; %bb.248:                              ;   in Loop: Header=BB2_199 Depth=2
	s_mov_b64 s[62:63], exec
	v_mbcnt_lo_u32_b32 v1, s62, 0
	v_mbcnt_hi_u32_b32 v1, s63, v1
	v_cmp_eq_u32_e32 vcc, 0, v1
	;;#ASMSTART
	s_waitcnt lgkmcnt(0) vmcnt(0)
	;;#ASMEND
	s_and_saveexec_b64 s[60:61], vcc
	s_cbranch_execz .LBB2_250
; %bb.249:                              ;   in Loop: Header=BB2_199 Depth=2
	s_bcnt1_i32_b64 vcc_lo, s[62:63]
	v_mov_b32_e32 v60, vcc_lo
	ds_add_u64 v0, v[60:61]
	s_trap 2
.LBB2_250:                              ;   in Loop: Header=BB2_199 Depth=2
	s_or_b64 exec, exec, s[60:61]
	s_trap 2
	ds_read_b64 v[4:5], v0
	v_accvgpr_read_b32 v8, a14
	v_accvgpr_read_b32 v10, a22
	;; [unrolled: 1-line block ×3, first 2 shown]
	v_add_co_u32_e32 v8, vcc, v8, v10
	v_addc_co_u32_e32 v9, vcc, 0, v9, vcc
	v_accvgpr_write_b32 a15, v9
	v_accvgpr_write_b32 a14, v8
	s_waitcnt lgkmcnt(0)
	v_cmp_lt_u64_e32 vcc, v[4:5], v[8:9]
	s_and_saveexec_b64 s[60:61], vcc
	s_cbranch_execz .LBB2_259
; %bb.251:                              ;   in Loop: Header=BB2_199 Depth=2
	s_mov_b32 s72, 0
	s_mov_b64 s[62:63], 0
                                        ; implicit-def: $sgpr64_sgpr65
                                        ; implicit-def: $sgpr66_sgpr67
	s_branch .LBB2_253
.LBB2_252:                              ;   in Loop: Header=BB2_253 Depth=3
	s_or_b64 exec, exec, s[70:71]
	s_and_b64 vcc, exec, vcc
	s_or_b64 s[62:63], vcc, s[62:63]
	s_andn2_b64 vcc, s[64:65], exec
	s_and_b64 s[64:65], s[66:67], exec
	s_or_b64 s[64:65], vcc, s[64:65]
	s_andn2_b64 exec, exec, s[62:63]
	s_cbranch_execz .LBB2_257
.LBB2_253:                              ;   Parent Loop BB2_47 Depth=1
                                        ;     Parent Loop BB2_199 Depth=2
                                        ; =>    This Inner Loop Header: Depth=3
	s_add_i32 s72, s72, 1
	s_cmpk_lg_i32 s72, 0x2710
	s_cselect_b64 s[68:69], -1, 0
	s_and_b64 vcc, exec, s[68:69]
                                        ; implicit-def: $sgpr70_sgpr71
	s_cbranch_vccnz .LBB2_255
; %bb.254:                              ;   in Loop: Header=BB2_253 Depth=3
	s_trap 2
	ds_read_b64 v[4:5], v0
	s_andn2_b64 s[68:69], s[68:69], exec
	s_mov_b32 s72, 0
	s_mov_b64 s[70:71], -1
	s_waitcnt vmcnt(0) lgkmcnt(0)
	flat_load_dword v1, v[4:5] glc
	s_waitcnt vmcnt(0) lgkmcnt(0)
	buffer_invl2
	buffer_wbinvl1_vol
	v_cmp_eq_u32_e32 vcc, 0, v1
	s_and_b64 vcc, vcc, exec
	s_or_b64 s[68:69], s[68:69], vcc
.LBB2_255:                              ;   in Loop: Header=BB2_253 Depth=3
	s_andn2_b64 s[66:67], s[66:67], exec
	s_and_b64 s[70:71], s[70:71], exec
	s_mov_b64 vcc, -1
	s_or_b64 s[66:67], s[66:67], s[70:71]
	s_and_saveexec_b64 s[70:71], s[68:69]
	s_cbranch_execz .LBB2_252
; %bb.256:                              ;   in Loop: Header=BB2_253 Depth=3
	s_sleep 1
	s_trap 2
	ds_read_b64 v[4:5], v0
	v_accvgpr_read_b32 v8, a14
	v_accvgpr_read_b32 v9, a15
	s_andn2_b64 s[66:67], s[66:67], exec
	s_waitcnt lgkmcnt(0)
	v_cmp_ge_u64_e32 vcc, v[4:5], v[8:9]
	s_orn2_b64 vcc, vcc, exec
	s_branch .LBB2_252
.LBB2_257:                              ;   in Loop: Header=BB2_199 Depth=2
	s_or_b64 exec, exec, s[62:63]
	s_and_saveexec_b64 vcc, s[64:65]
	s_xor_b64 vcc, exec, vcc
	s_cbranch_execz .LBB2_259
; %bb.258:                              ;   in Loop: Header=BB2_199 Depth=2
	v_mov_b32_e32 v1, 1
	ds_write_b32 v0, v1
	s_trap 2
.LBB2_259:                              ;   in Loop: Header=BB2_199 Depth=2
	s_or_b64 exec, exec, s[60:61]
	;;#ASMSTART
	s_wakeup
	;;#ASMEND
.LBB2_260:                              ;   in Loop: Header=BB2_199 Depth=2
	s_or_b64 exec, exec, s[36:37]
.LBB2_261:                              ;   in Loop: Header=BB2_199 Depth=2
	s_andn2_saveexec_b64 vcc, s[34:35]
	s_cbranch_execz .LBB2_263
; %bb.262:                              ;   in Loop: Header=BB2_199 Depth=2
	;;#ASMSTART
	s_waitcnt lgkmcnt(0) vmcnt(0)
	;;#ASMEND
	s_barrier
.LBB2_263:                              ;   in Loop: Header=BB2_199 Depth=2
	s_or_b64 exec, exec, vcc
	v_and_b32_e32 v1, 16, v57
	s_or_b64 exec, exec, s[26:27]
	v_cmp_ne_u32_e32 vcc, 0, v1
	s_and_saveexec_b64 s[26:27], vcc
	s_cbranch_execz .LBB2_198
.LBB2_264:                              ;   in Loop: Header=BB2_199 Depth=2
	s_and_saveexec_b64 vcc, s[14:15]
	s_cbranch_execz .LBB2_197
; %bb.265:                              ;   in Loop: Header=BB2_199 Depth=2
	v_accvgpr_read_b32 v4, a20
	v_accvgpr_read_b32 v5, a21
	v_mov_b32_e32 v1, 1
	flat_store_dword v[4:5], v1
	s_branch .LBB2_197
.LBB2_266:                              ;   in Loop: Header=BB2_47 Depth=1
	s_or_b64 exec, exec, s[30:31]
.LBB2_267:                              ;   in Loop: Header=BB2_47 Depth=1
	s_or_b64 exec, exec, s[28:29]
	v_cndmask_b32_e64 v1, 0, 1, s[48:49]
	v_cmp_ne_u32_e64 s[26:27], 1, v1
	s_andn2_b64 vcc, exec, s[48:49]
	s_cbranch_vccnz .LBB2_1780
; %bb.268:                              ;   in Loop: Header=BB2_47 Depth=1
	s_mov_b32 s95, 2
	s_branch .LBB2_271
.LBB2_269:                              ;   in Loop: Header=BB2_271 Depth=2
	s_or_b64 exec, exec, s[34:35]
.LBB2_270:                              ;   in Loop: Header=BB2_271 Depth=2
	s_or_b64 exec, exec, s[30:31]
	s_add_i32 s95, s95, 1
	s_cmp_eq_u32 s95, s76
	s_cbranch_scc1 .LBB2_1780
.LBB2_271:                              ;   Parent Loop BB2_47 Depth=1
                                        ; =>  This Loop Header: Depth=2
                                        ;       Child Loop BB2_274 Depth 3
                                        ;         Child Loop BB2_282 Depth 4
                                        ;         Child Loop BB2_308 Depth 4
	;; [unrolled: 1-line block ×9, first 2 shown]
                                        ;       Child Loop BB2_1710 Depth 3
                                        ;         Child Loop BB2_1716 Depth 4
                                        ;         Child Loop BB2_1754 Depth 4
	;; [unrolled: 1-line block ×3, first 2 shown]
	s_sub_i32 s28, s81, s95
	s_cmp_le_i32 s76, s28
	s_cselect_b32 s29, s76, 0
	s_sub_i32 s28, s28, s29
	v_accvgpr_read_b32 v4, a50
	s_ashr_i32 s29, s28, 31
	v_accvgpr_read_b32 v5, a51
	v_mul_lo_u32 v1, v4, s29
	v_mul_lo_u32 v2, v5, s28
	v_mad_u64_u32 v[40:41], s[28:29], v4, s28, 0
	v_add3_u32 v41, v41, v1, v2
	v_accvgpr_read_b32 v2, a52
	v_accvgpr_read_b32 v3, a53
	v_sub_co_u32_e32 v2, vcc, v2, v40
	v_subb_co_u32_e32 v3, vcc, v3, v41, vcc
	v_cmp_lt_i64_e32 vcc, v[4:5], v[2:3]
	v_cndmask_b32_e32 v1, v2, v4, vcc
	v_max_i32_e32 v55, 0, v1
	v_add_u32_e32 v2, 31, v55
	v_lshrrev_b32_e32 v2, 1, v2
	v_and_b32_e32 v2, 0x3ffffff0, v2
	v_cmp_lt_i32_e32 vcc, 0, v1
	v_max_i32_e32 v2, s84, v2
	s_and_b64 s[28:29], s[52:53], vcc
	v_mov_b32_e32 v1, 0
	v_mov_b32_e32 v7, 0
	s_and_saveexec_b64 s[34:35], s[28:29]
	s_cbranch_execz .LBB2_1707
; %bb.272:                              ;   in Loop: Header=BB2_271 Depth=2
	s_mov_b32 s96, 1
	s_mov_b64 s[60:61], -1
	s_mov_b64 s[36:37], 0
	v_mov_b32_e32 v7, 0
	s_branch .LBB2_274
.LBB2_273:                              ;   in Loop: Header=BB2_274 Depth=3
	s_or_b64 exec, exec, s[28:29]
	v_add_u32_e32 v7, v2, v7
	v_cmp_ge_i32_e32 vcc, v7, v55
	s_xor_b64 s[28:29], s[60:61], -1
	s_or_b64 s[28:29], s[28:29], vcc
	s_and_b64 s[28:29], exec, s[28:29]
	s_or_b64 s[36:37], s[28:29], s[36:37]
	s_mov_b64 s[60:61], 0
	v_mov_b32_e32 v1, s96
	s_mov_b32 s96, 2
	s_andn2_b64 exec, exec, s[36:37]
	s_cbranch_execz .LBB2_1706
.LBB2_274:                              ;   Parent Loop BB2_47 Depth=1
                                        ;     Parent Loop BB2_271 Depth=2
                                        ; =>    This Loop Header: Depth=3
                                        ;         Child Loop BB2_282 Depth 4
                                        ;         Child Loop BB2_308 Depth 4
	;; [unrolled: 1-line block ×9, first 2 shown]
	s_and_saveexec_b64 s[28:29], s[4:5]
	s_cbranch_execz .LBB2_276
; %bb.275:                              ;   in Loop: Header=BB2_274 Depth=3
	s_trap 2
	ds_read_b64 v[4:5], v0
	v_accvgpr_read_b32 v1, a54
	v_accvgpr_read_b32 v3, a55
	v_mov_b32_e32 v60, v61
	ds_write_b64 v0, v[60:61]
	s_waitcnt lgkmcnt(0)
	v_add_co_u32_e32 v1, vcc, v4, v1
	v_addc_co_u32_e32 v3, vcc, v5, v3, vcc
	v_add_co_u32_e32 v1, vcc, v1, v40
	v_addc_co_u32_e32 v3, vcc, v3, v41, vcc
	v_ashrrev_i32_e32 v5, 31, v7
	v_add_co_u32_e32 v4, vcc, v1, v7
	v_addc_co_u32_e32 v5, vcc, v3, v5, vcc
	ds_write_b64 v0, v[4:5]
.LBB2_276:                              ;   in Loop: Header=BB2_274 Depth=3
	s_or_b64 exec, exec, s[28:29]
	v_and_b32_e32 v1, 12, v57
	v_cmp_ne_u32_e32 vcc, 0, v1
	s_mov_b64 s[30:31], -1
	s_and_saveexec_b64 s[28:29], vcc
	s_cbranch_execz .LBB2_288
; %bb.277:                              ;   in Loop: Header=BB2_274 Depth=3
	v_and_b32_e32 v4, 8, v57
	v_add_co_u32_e32 v10, vcc, v50, v4
	v_addc_co_u32_e32 v11, vcc, 0, v51, vcc
	v_add_co_u32_e32 v8, vcc, 2, v44
	v_addc_co_u32_e32 v9, vcc, 0, v45, vcc
	v_cmp_lt_u64_e32 vcc, v[10:11], v[8:9]
	v_mov_b32_e32 v1, 1
	s_and_saveexec_b64 s[30:31], vcc
	s_cbranch_execz .LBB2_287
; %bb.278:                              ;   in Loop: Header=BB2_274 Depth=3
	s_mov_b64 s[62:63], 0
	v_mov_b32_e32 v1, 0
                                        ; implicit-def: $sgpr64_sgpr65
	s_branch .LBB2_282
.LBB2_279:                              ;   in Loop: Header=BB2_282 Depth=4
	s_or_b64 exec, exec, s[72:73]
	v_mov_b32_e32 v3, 0
	s_orn2_b64 s[70:71], s[70:71], exec
.LBB2_280:                              ;   in Loop: Header=BB2_282 Depth=4
	s_or_b64 exec, exec, s[68:69]
	s_andn2_b64 vcc, s[64:65], exec
	s_and_b64 s[64:65], s[70:71], exec
	s_or_b64 s[64:65], vcc, s[64:65]
	v_mov_b32_e32 v1, v3
.LBB2_281:                              ;   in Loop: Header=BB2_282 Depth=4
	s_or_b64 exec, exec, s[66:67]
	s_waitcnt vmcnt(0) lgkmcnt(0)
	v_add_co_u32_e32 v10, vcc, v50, v4
	v_addc_co_u32_e32 v11, vcc, 0, v51, vcc
	v_cmp_ge_u64_e32 vcc, v[10:11], v[8:9]
	s_xor_b64 s[66:67], s[64:65], -1
	s_or_b64 vcc, s[66:67], vcc
	s_and_b64 vcc, exec, vcc
	s_or_b64 s[62:63], vcc, s[62:63]
	s_andn2_b64 exec, exec, s[62:63]
	s_cbranch_execz .LBB2_286
.LBB2_282:                              ;   Parent Loop BB2_47 Depth=1
                                        ;     Parent Loop BB2_271 Depth=2
                                        ;       Parent Loop BB2_274 Depth=3
                                        ; =>      This Inner Loop Header: Depth=4
	s_sleep 1
	flat_load_dwordx2 v[50:51], v[48:49] glc
	v_and_b32_e32 v3, 64, v57
	v_cmp_eq_u32_e32 vcc, 0, v3
	s_andn2_b64 s[64:65], s[64:65], exec
	s_and_saveexec_b64 s[66:67], vcc
	s_cbranch_execz .LBB2_281
; %bb.283:                              ;   in Loop: Header=BB2_282 Depth=4
	v_add_u32_e32 v3, 1, v1
	v_cmp_lt_i32_e32 vcc, s89, v1
	s_mov_b64 s[70:71], -1
	s_and_saveexec_b64 s[68:69], vcc
	s_cbranch_execz .LBB2_280
; %bb.284:                              ;   in Loop: Header=BB2_282 Depth=4
	s_trap 2
	ds_read_b64 v[10:11], v0
	s_waitcnt vmcnt(0) lgkmcnt(0)
	flat_load_dword v1, v[10:11] glc
	s_waitcnt vmcnt(0) lgkmcnt(0)
	buffer_invl2
	buffer_wbinvl1_vol
	v_cmp_ne_u32_e32 vcc, 0, v1
	s_and_saveexec_b64 s[72:73], vcc
	s_cbranch_execz .LBB2_279
; %bb.285:                              ;   in Loop: Header=BB2_282 Depth=4
	v_or_b32_e32 v57, 64, v57
	s_xor_b64 s[70:71], exec, -1
	ds_write_b32 v0, v1
	s_trap 2
	s_branch .LBB2_279
.LBB2_286:                              ;   in Loop: Header=BB2_274 Depth=3
	s_or_b64 exec, exec, s[62:63]
	v_and_b32_e32 v1, 12, v57
.LBB2_287:                              ;   in Loop: Header=BB2_274 Depth=3
	s_or_b64 exec, exec, s[30:31]
	v_cmp_eq_u32_e32 vcc, 0, v1
	s_orn2_b64 s[30:31], vcc, exec
	;;#ASMSTART
	s_wakeup
	;;#ASMEND
.LBB2_288:                              ;   in Loop: Header=BB2_274 Depth=3
	s_or_b64 exec, exec, s[28:29]
	v_sub_u32_e32 v1, v55, v7
	s_xor_b64 s[28:29], s[30:31], -1
	v_min_i32_e32 v2, v2, v1
	s_and_saveexec_b64 s[30:31], s[28:29]
	s_cbranch_execz .LBB2_300
; %bb.289:                              ;   in Loop: Header=BB2_274 Depth=3
	v_and_b32_e32 v1, 0x108, v57
	v_cmp_ne_u32_e32 vcc, s90, v1
	v_and_b32_e32 v4, 7, v44
	s_and_saveexec_b64 s[28:29], vcc
	s_xor_b64 s[28:29], exec, s[28:29]
	s_andn2_saveexec_b64 s[28:29], s[28:29]
	s_cbranch_execz .LBB2_291
; %bb.290:                              ;   in Loop: Header=BB2_274 Depth=3
	v_accvgpr_read_b32 v8, a12
	v_accvgpr_read_b32 v9, a13
	v_mad_u64_u32 v[8:9], vcc, v4, 24, v[8:9]
	v_ashrrev_i32_e32 v3, 31, v2
	flat_store_dwordx2 v[8:9], v[2:3] offset:8
.LBB2_291:                              ;   in Loop: Header=BB2_274 Depth=3
	s_or_b64 exec, exec, s[28:29]
	v_and_b32_e32 v1, 0x100, v57
	v_cmp_ne_u32_e32 vcc, 0, v1
	s_mov_b64 s[28:29], -1
                                        ; implicit-def: $vgpr8_vgpr9
	s_and_saveexec_b64 s[62:63], vcc
	s_cbranch_execz .LBB2_295
; %bb.292:                              ;   in Loop: Header=BB2_274 Depth=3
	v_accvgpr_read_b32 v8, a12
	v_accvgpr_read_b32 v9, a13
	v_mad_u64_u32 v[10:11], s[28:29], v4, 24, v[8:9]
	v_mov_b32_e32 v6, v11
	v_mad_u64_u32 v[8:9], s[28:29], v61, 24, v[6:7]
	v_mov_b32_e32 v11, v8
	flat_load_dword v1, v[10:11]
                                        ; implicit-def: $vgpr8_vgpr9
	s_waitcnt vmcnt(0) lgkmcnt(0)
	v_cmp_ne_u32_e32 vcc, 1, v1
	v_cmp_eq_u32_e64 s[28:29], 1, v1
	s_and_saveexec_b64 s[64:65], s[28:29]
	s_cbranch_execz .LBB2_294
; %bb.293:                              ;   in Loop: Header=BB2_274 Depth=3
	flat_load_dword v8, v[10:11] offset:4 glc
	s_waitcnt vmcnt(0) lgkmcnt(0)
	v_ashrrev_i32_e32 v9, 31, v8
.LBB2_294:                              ;   in Loop: Header=BB2_274 Depth=3
	s_or_b64 exec, exec, s[64:65]
	s_orn2_b64 s[28:29], vcc, exec
.LBB2_295:                              ;   in Loop: Header=BB2_274 Depth=3
	s_or_b64 exec, exec, s[62:63]
	s_and_saveexec_b64 vcc, s[28:29]
; %bb.296:                              ;   in Loop: Header=BB2_274 Depth=3
	v_accvgpr_read_b32 v6, a16
	v_accvgpr_read_b32 v3, a17
	v_mul_lo_u32 v1, v61, v6
	v_mul_lo_u32 v3, v4, v3
	v_mad_u64_u32 v[8:9], s[28:29], v4, v6, 0
	v_add3_u32 v9, v9, v3, v1
; %bb.297:                              ;   in Loop: Header=BB2_274 Depth=3
	s_or_b64 exec, exec, vcc
	v_accvgpr_read_b32 v4, a18
	v_accvgpr_read_b32 v5, a19
	v_add_co_u32_e32 v4, vcc, v4, v8
	v_addc_co_u32_e32 v5, vcc, v5, v9, vcc
	v_and_b32_e32 v1, 0x2000, v57
	v_cmp_ne_u32_e32 vcc, 0, v1
	s_trap 2
	ds_write_b64 v0, v[4:5]
	s_and_saveexec_b64 s[28:29], vcc
	s_cbranch_execz .LBB2_299
; %bb.298:                              ;   in Loop: Header=BB2_274 Depth=3
	ds_read_b64 v[4:5], v0 offset:584
	s_waitcnt lgkmcnt(0)
	v_add_co_u32_e32 v4, vcc, 1, v4
	v_addc_co_u32_e32 v5, vcc, 0, v5, vcc
	ds_write_b64 v0, v[4:5] offset:584
.LBB2_299:                              ;   in Loop: Header=BB2_274 Depth=3
	s_or_b64 exec, exec, s[28:29]
	v_add_co_u32_e32 v44, vcc, 2, v44
	v_addc_co_u32_e32 v45, vcc, 0, v45, vcc
.LBB2_300:                              ;   in Loop: Header=BB2_274 Depth=3
	s_or_b64 exec, exec, s[30:31]
	s_and_saveexec_b64 s[28:29], s[10:11]
	s_cbranch_execz .LBB2_319
; %bb.301:                              ;   in Loop: Header=BB2_274 Depth=3
	s_and_saveexec_b64 vcc, s[46:47]
	s_xor_b64 s[30:31], exec, vcc
	s_cbranch_execz .LBB2_316
; %bb.302:                              ;   in Loop: Header=BB2_274 Depth=3
	s_and_saveexec_b64 s[62:63], s[16:17]
	s_cbranch_execz .LBB2_315
; %bb.303:                              ;   in Loop: Header=BB2_274 Depth=3
	s_mov_b64 s[66:67], exec
	v_mbcnt_lo_u32_b32 v1, s66, 0
	v_mbcnt_hi_u32_b32 v1, s67, v1
	v_cmp_eq_u32_e32 vcc, 0, v1
	s_waitcnt vmcnt(0) lgkmcnt(0)
	buffer_wbinvl1_vol
	s_and_saveexec_b64 s[64:65], vcc
	s_cbranch_execz .LBB2_305
; %bb.304:                              ;   in Loop: Header=BB2_274 Depth=3
	s_bcnt1_i32_b64 vcc_lo, s[66:67]
	v_mov_b32_e32 v60, vcc_lo
	ds_add_u64 v0, v[60:61]
	s_trap 2
.LBB2_305:                              ;   in Loop: Header=BB2_274 Depth=3
	s_or_b64 exec, exec, s[64:65]
	s_trap 2
	ds_read_b64 v[4:5], v0
	v_accvgpr_read_b32 v8, a14
	v_accvgpr_read_b32 v6, a22
	;; [unrolled: 1-line block ×3, first 2 shown]
	v_add_co_u32_e32 v8, vcc, v8, v6
	v_addc_co_u32_e32 v9, vcc, 0, v9, vcc
	v_accvgpr_write_b32 a15, v9
	v_accvgpr_write_b32 a14, v8
	s_waitcnt lgkmcnt(0)
	v_cmp_lt_u64_e32 vcc, v[4:5], v[8:9]
	s_and_saveexec_b64 s[64:65], vcc
	s_cbranch_execz .LBB2_314
; %bb.306:                              ;   in Loop: Header=BB2_274 Depth=3
	s_mov_b32 s97, 0
	s_mov_b64 s[66:67], 0
                                        ; implicit-def: $sgpr68_sgpr69
                                        ; implicit-def: $sgpr70_sgpr71
	s_branch .LBB2_308
.LBB2_307:                              ;   in Loop: Header=BB2_308 Depth=4
	s_or_b64 exec, exec, s[74:75]
	s_and_b64 vcc, exec, vcc
	s_or_b64 s[66:67], vcc, s[66:67]
	s_andn2_b64 vcc, s[68:69], exec
	s_and_b64 s[68:69], s[70:71], exec
	s_or_b64 s[68:69], vcc, s[68:69]
	s_andn2_b64 exec, exec, s[66:67]
	s_cbranch_execz .LBB2_312
.LBB2_308:                              ;   Parent Loop BB2_47 Depth=1
                                        ;     Parent Loop BB2_271 Depth=2
                                        ;       Parent Loop BB2_274 Depth=3
                                        ; =>      This Inner Loop Header: Depth=4
	s_add_i32 s97, s97, 1
	s_cmpk_lg_i32 s97, 0x2710
	s_cselect_b64 s[72:73], -1, 0
	s_and_b64 vcc, exec, s[72:73]
                                        ; implicit-def: $sgpr74_sgpr75
	s_cbranch_vccnz .LBB2_310
; %bb.309:                              ;   in Loop: Header=BB2_308 Depth=4
	s_trap 2
	ds_read_b64 v[4:5], v0
	s_andn2_b64 s[72:73], s[72:73], exec
	s_mov_b32 s97, 0
	s_mov_b64 s[74:75], -1
	s_waitcnt lgkmcnt(0)
	flat_load_dword v1, v[4:5] glc
	s_waitcnt vmcnt(0) lgkmcnt(0)
	buffer_invl2
	buffer_wbinvl1_vol
	v_cmp_eq_u32_e32 vcc, 0, v1
	s_and_b64 vcc, vcc, exec
	s_or_b64 s[72:73], s[72:73], vcc
.LBB2_310:                              ;   in Loop: Header=BB2_308 Depth=4
	s_andn2_b64 s[70:71], s[70:71], exec
	s_and_b64 s[74:75], s[74:75], exec
	s_mov_b64 vcc, -1
	s_or_b64 s[70:71], s[70:71], s[74:75]
	s_and_saveexec_b64 s[74:75], s[72:73]
	s_cbranch_execz .LBB2_307
; %bb.311:                              ;   in Loop: Header=BB2_308 Depth=4
	s_sleep 1
	s_trap 2
	ds_read_b64 v[4:5], v0
	v_accvgpr_read_b32 v8, a14
	v_accvgpr_read_b32 v9, a15
	s_andn2_b64 s[70:71], s[70:71], exec
	s_waitcnt lgkmcnt(0)
	v_cmp_ge_u64_e32 vcc, v[4:5], v[8:9]
	s_orn2_b64 vcc, vcc, exec
	s_branch .LBB2_307
.LBB2_312:                              ;   in Loop: Header=BB2_274 Depth=3
	s_or_b64 exec, exec, s[66:67]
	s_and_saveexec_b64 vcc, s[68:69]
	s_xor_b64 vcc, exec, vcc
	s_cbranch_execz .LBB2_314
; %bb.313:                              ;   in Loop: Header=BB2_274 Depth=3
	v_mov_b32_e32 v1, 1
	ds_write_b32 v0, v1
	s_trap 2
.LBB2_314:                              ;   in Loop: Header=BB2_274 Depth=3
	s_or_b64 exec, exec, s[64:65]
	;;#ASMSTART
	s_wakeup
	;;#ASMEND
.LBB2_315:                              ;   in Loop: Header=BB2_274 Depth=3
	s_or_b64 exec, exec, s[62:63]
.LBB2_316:                              ;   in Loop: Header=BB2_274 Depth=3
	s_andn2_saveexec_b64 vcc, s[30:31]
	s_cbranch_execz .LBB2_318
; %bb.317:                              ;   in Loop: Header=BB2_274 Depth=3
	s_waitcnt vmcnt(0) lgkmcnt(0)
	buffer_wbinvl1_vol
	s_barrier
.LBB2_318:                              ;   in Loop: Header=BB2_274 Depth=3
	s_or_b64 exec, exec, vcc
.LBB2_319:                              ;   in Loop: Header=BB2_274 Depth=3
	s_or_b64 exec, exec, s[28:29]
	s_trap 2
	ds_read_b32 v3, v0
	v_and_b32_e32 v1, 0x4000, v57
	v_cmp_ne_u32_e32 vcc, 0, v1
	s_xor_b64 s[28:29], s[6:7], -1
	s_and_b64 vcc, s[28:29], vcc
	s_and_saveexec_b64 s[28:29], vcc
	s_cbranch_execz .LBB2_338
; %bb.320:                              ;   in Loop: Header=BB2_274 Depth=3
	s_and_saveexec_b64 vcc, s[46:47]
	s_xor_b64 s[30:31], exec, vcc
	s_cbranch_execz .LBB2_335
; %bb.321:                              ;   in Loop: Header=BB2_274 Depth=3
	s_and_saveexec_b64 s[62:63], s[16:17]
	s_cbranch_execz .LBB2_334
; %bb.322:                              ;   in Loop: Header=BB2_274 Depth=3
	s_mov_b64 s[66:67], exec
	v_mbcnt_lo_u32_b32 v1, s66, 0
	v_mbcnt_hi_u32_b32 v1, s67, v1
	v_cmp_eq_u32_e32 vcc, 0, v1
	s_waitcnt vmcnt(0) lgkmcnt(0)
	buffer_wbinvl1_vol
	s_and_saveexec_b64 s[64:65], vcc
	s_cbranch_execz .LBB2_324
; %bb.323:                              ;   in Loop: Header=BB2_274 Depth=3
	s_bcnt1_i32_b64 vcc_lo, s[66:67]
	v_mov_b32_e32 v60, vcc_lo
	ds_add_u64 v0, v[60:61]
	s_trap 2
.LBB2_324:                              ;   in Loop: Header=BB2_274 Depth=3
	s_or_b64 exec, exec, s[64:65]
	s_trap 2
	ds_read_b64 v[4:5], v0
	v_accvgpr_read_b32 v8, a14
	v_accvgpr_read_b32 v6, a22
	;; [unrolled: 1-line block ×3, first 2 shown]
	v_add_co_u32_e32 v8, vcc, v8, v6
	v_addc_co_u32_e32 v9, vcc, 0, v9, vcc
	v_accvgpr_write_b32 a15, v9
	v_accvgpr_write_b32 a14, v8
	s_waitcnt lgkmcnt(0)
	v_cmp_lt_u64_e32 vcc, v[4:5], v[8:9]
	s_and_saveexec_b64 s[64:65], vcc
	s_cbranch_execz .LBB2_333
; %bb.325:                              ;   in Loop: Header=BB2_274 Depth=3
	s_mov_b32 s97, 0
	s_mov_b64 s[66:67], 0
                                        ; implicit-def: $sgpr68_sgpr69
                                        ; implicit-def: $sgpr70_sgpr71
	s_branch .LBB2_327
.LBB2_326:                              ;   in Loop: Header=BB2_327 Depth=4
	s_or_b64 exec, exec, s[74:75]
	s_and_b64 vcc, exec, vcc
	s_or_b64 s[66:67], vcc, s[66:67]
	s_andn2_b64 vcc, s[68:69], exec
	s_and_b64 s[68:69], s[70:71], exec
	s_or_b64 s[68:69], vcc, s[68:69]
	s_andn2_b64 exec, exec, s[66:67]
	s_cbranch_execz .LBB2_331
.LBB2_327:                              ;   Parent Loop BB2_47 Depth=1
                                        ;     Parent Loop BB2_271 Depth=2
                                        ;       Parent Loop BB2_274 Depth=3
                                        ; =>      This Inner Loop Header: Depth=4
	s_add_i32 s97, s97, 1
	s_cmpk_lg_i32 s97, 0x2710
	s_cselect_b64 s[72:73], -1, 0
	s_and_b64 vcc, exec, s[72:73]
                                        ; implicit-def: $sgpr74_sgpr75
	s_cbranch_vccnz .LBB2_329
; %bb.328:                              ;   in Loop: Header=BB2_327 Depth=4
	s_trap 2
	ds_read_b64 v[4:5], v0
	s_andn2_b64 s[72:73], s[72:73], exec
	s_mov_b32 s97, 0
	s_mov_b64 s[74:75], -1
	s_waitcnt lgkmcnt(0)
	flat_load_dword v1, v[4:5] glc
	s_waitcnt vmcnt(0) lgkmcnt(0)
	buffer_invl2
	buffer_wbinvl1_vol
	v_cmp_eq_u32_e32 vcc, 0, v1
	s_and_b64 vcc, vcc, exec
	s_or_b64 s[72:73], s[72:73], vcc
.LBB2_329:                              ;   in Loop: Header=BB2_327 Depth=4
	s_andn2_b64 s[70:71], s[70:71], exec
	s_and_b64 s[74:75], s[74:75], exec
	s_mov_b64 vcc, -1
	s_or_b64 s[70:71], s[70:71], s[74:75]
	s_and_saveexec_b64 s[74:75], s[72:73]
	s_cbranch_execz .LBB2_326
; %bb.330:                              ;   in Loop: Header=BB2_327 Depth=4
	s_sleep 1
	s_trap 2
	ds_read_b64 v[4:5], v0
	v_accvgpr_read_b32 v8, a14
	v_accvgpr_read_b32 v9, a15
	s_andn2_b64 s[70:71], s[70:71], exec
	s_waitcnt lgkmcnt(0)
	v_cmp_ge_u64_e32 vcc, v[4:5], v[8:9]
	s_orn2_b64 vcc, vcc, exec
	s_branch .LBB2_326
.LBB2_331:                              ;   in Loop: Header=BB2_274 Depth=3
	s_or_b64 exec, exec, s[66:67]
	s_and_saveexec_b64 vcc, s[68:69]
	s_xor_b64 vcc, exec, vcc
	s_cbranch_execz .LBB2_333
; %bb.332:                              ;   in Loop: Header=BB2_274 Depth=3
	v_mov_b32_e32 v1, 1
	ds_write_b32 v0, v1
	s_trap 2
.LBB2_333:                              ;   in Loop: Header=BB2_274 Depth=3
	s_or_b64 exec, exec, s[64:65]
	;;#ASMSTART
	s_wakeup
	;;#ASMEND
.LBB2_334:                              ;   in Loop: Header=BB2_274 Depth=3
	s_or_b64 exec, exec, s[62:63]
.LBB2_335:                              ;   in Loop: Header=BB2_274 Depth=3
	s_andn2_saveexec_b64 vcc, s[30:31]
	s_cbranch_execz .LBB2_337
; %bb.336:                              ;   in Loop: Header=BB2_274 Depth=3
	s_waitcnt vmcnt(0) lgkmcnt(0)
	buffer_wbinvl1_vol
	s_barrier
.LBB2_337:                              ;   in Loop: Header=BB2_274 Depth=3
	s_or_b64 exec, exec, vcc
.LBB2_338:                              ;   in Loop: Header=BB2_274 Depth=3
	s_or_b64 exec, exec, s[28:29]
	s_trap 2
	ds_read_b64 v[4:5], v0
	v_mov_b32_e32 v42, 0
	s_waitcnt lgkmcnt(0)
	v_readfirstlane_b32 s28, v4
	v_readfirstlane_b32 s29, v5
	s_cmp_eq_u64 s[28:29], 0
	s_cselect_b64 s[28:29], -1, 0
	s_or_b64 s[28:29], s[28:29], s[28:29]
	s_and_b64 vcc, exec, s[28:29]
	s_cbranch_vccnz .LBB2_460
; %bb.339:                              ;   in Loop: Header=BB2_274 Depth=3
	s_mov_b64 s[30:31], -1
	s_and_saveexec_b64 s[28:29], s[22:23]
	s_cbranch_execz .LBB2_341
; %bb.340:                              ;   in Loop: Header=BB2_274 Depth=3
	ds_read_b32 v1, v0 offset:720
	s_waitcnt lgkmcnt(0)
	v_and_b32_e32 v1, 15, v1
	v_cmp_eq_u32_e32 vcc, 0, v1
	s_orn2_b64 s[30:31], vcc, exec
.LBB2_341:                              ;   in Loop: Header=BB2_274 Depth=3
	s_or_b64 exec, exec, s[28:29]
	s_and_saveexec_b64 s[28:29], s[20:21]
	s_cbranch_execz .LBB2_343
; %bb.342:                              ;   in Loop: Header=BB2_274 Depth=3
	ds_read_b32 v1, v0 offset:784
	s_waitcnt lgkmcnt(0)
	v_and_b32_e32 v1, 15, v1
	v_cmp_eq_u32_e32 vcc, 0, v1
	s_and_b64 vcc, s[30:31], vcc
	s_andn2_b64 s[30:31], s[30:31], exec
	s_and_b64 vcc, vcc, exec
	s_or_b64 s[30:31], s[30:31], vcc
.LBB2_343:                              ;   in Loop: Header=BB2_274 Depth=3
	s_or_b64 exec, exec, s[28:29]
	v_cmp_eq_u32_e32 vcc, 0, v3
	v_cndmask_b32_e32 v42, 0, v2, vcc
	s_xor_b64 vcc, s[30:31], -1
	v_cndmask_b32_e64 v3, 0, 1, vcc
	;;#ASMSTART
	;;#ASMEND
	v_mov_b32_e32 v1, 0
	s_mov_b64 s[28:29], -1
	v_cmp_ne_u32_e32 vcc, 0, v3
	v_mov_b32_e32 v14, v42
	v_accvgpr_read_b32 v15, a3
	v_accvgpr_read_b32 v3, a31
	s_cbranch_vccz .LBB2_465
; %bb.344:                              ;   in Loop: Header=BB2_274 Depth=3
	s_and_saveexec_b64 s[30:31], s[28:29]
	s_cbranch_execz .LBB2_1664
.LBB2_345:                              ;   in Loop: Header=BB2_274 Depth=3
	v_ashrrev_i32_e32 v4, 31, v14
	v_add_u32_sdwa v4, v14, v4 dst_sel:DWORD dst_unused:UNUSED_PAD src0_sel:DWORD src1_sel:BYTE_3
	v_ashrrev_i32_e32 v17, 8, v4
	v_sub_u32_e32 v6, v17, v3
	v_ashrrev_i32_e32 v4, 31, v15
	v_cmp_lt_i32_e32 vcc, 0, v6
	v_lshrrev_b32_e32 v16, 26, v4
	s_and_saveexec_b64 s[62:63], vcc
	s_cbranch_execz .LBB2_1237
; %bb.346:                              ;   in Loop: Header=BB2_274 Depth=3
	s_trap 2
	ds_read_b128 v[8:11], v0
	ds_read_b64 v[12:13], v0
	v_add_u32_e32 v4, v15, v16
	v_and_b32_e32 v4, 0xffffffc0, v4
	v_sub_u32_e32 v4, v15, v4
	v_lshlrev_b32_e32 v3, 8, v3
	v_add3_u32 v3, v1, v4, v3
	v_ashrrev_i32_e32 v18, 31, v3
	s_waitcnt lgkmcnt(0)
	v_add_co_u32_e32 v4, vcc, v8, v3
	v_addc_co_u32_e32 v5, vcc, v9, v18, vcc
	v_add_co_u32_e32 v8, vcc, v10, v3
	v_addc_co_u32_e32 v9, vcc, v11, v18, vcc
	;; [unrolled: 2-line block ×3, first 2 shown]
	s_mov_b64 s[64:65], 0
	s_branch .LBB2_348
.LBB2_347:                              ;   in Loop: Header=BB2_348 Depth=4
	s_or_b64 exec, exec, s[28:29]
	v_accvgpr_read_b32 v3, a46
	flat_store_byte v[10:11], v18 glc slc
	flat_store_byte v[10:11], v21 offset:64 glc slc
	flat_store_byte v[10:11], v22 offset:128 glc slc
	;; [unrolled: 1-line block ×3, first 2 shown]
	v_add_co_u32_e32 v4, vcc, v4, v3
	v_accvgpr_read_b32 v13, a47
	v_addc_co_u32_e32 v5, vcc, v5, v13, vcc
	v_add_co_u32_e32 v8, vcc, v8, v3
	v_accvgpr_read_b32 v12, a22
	v_addc_co_u32_e32 v9, vcc, v9, v13, vcc
	v_sub_u32_e32 v6, v6, v12
	v_cmp_gt_i32_e32 vcc, 1, v6
	s_or_b64 s[64:65], vcc, s[64:65]
	v_add_co_u32_e32 v10, vcc, v10, v3
	v_addc_co_u32_e32 v11, vcc, v11, v13, vcc
	s_andn2_b64 exec, exec, s[64:65]
	s_cbranch_execz .LBB2_1236
.LBB2_348:                              ;   Parent Loop BB2_47 Depth=1
                                        ;     Parent Loop BB2_271 Depth=2
                                        ;       Parent Loop BB2_274 Depth=3
                                        ; =>      This Inner Loop Header: Depth=4
	flat_load_ubyte v25, v[4:5] glc slc
	flat_load_ubyte v3, v[4:5] offset:64 glc slc
	flat_load_ubyte v23, v[4:5] offset:128 glc slc
	;; [unrolled: 1-line block ×3, first 2 shown]
	flat_load_ubyte v13, v[8:9] glc slc
	flat_load_ubyte v21, v[8:9] offset:64 glc slc
	flat_load_ubyte v22, v[8:9] offset:128 glc slc
	flat_load_ubyte v19, v[8:9] offset:192 glc slc
	v_mov_b32_e32 v18, 0
	v_mov_b32_e32 v24, 0
	s_waitcnt vmcnt(0) lgkmcnt(0)
	v_cmp_ne_u16_e32 vcc, 0, v25
	s_and_saveexec_b64 s[28:29], vcc
	s_cbranch_execz .LBB2_354
; %bb.349:                              ;   in Loop: Header=BB2_348 Depth=4
	v_cmp_ne_u16_e32 vcc, s91, v25
	v_bfrev_b32_e32 v24, 1
	s_and_saveexec_b64 s[66:67], vcc
	s_cbranch_execz .LBB2_353
; %bb.350:                              ;   in Loop: Header=BB2_348 Depth=4
	v_and_b32_e32 v12, 0xffff, v25
	v_and_b32_e32 v26, 0x7f, v12
	v_cmp_ne_u32_e32 vcc, s92, v26
	v_mov_b32_e32 v24, 0x7f800001
	s_and_saveexec_b64 s[68:69], vcc
	s_cbranch_execz .LBB2_352
; %bb.351:                              ;   in Loop: Header=BB2_348 Depth=4
	v_and_b32_e32 v24, 7, v12
	v_ffbh_u32_e32 v28, v24
	v_min_u32_e32 v30, 32, v28
	v_subrev_u32_e32 v28, 28, v30
	v_lshlrev_b64 v[28:29], v28, v[12:13]
	v_lshrrev_b32_e32 v27, 3, v26
	v_sub_u32_e32 v12, 29, v30
	v_and_b32_e32 v28, 7, v28
	v_cmp_gt_u32_e32 vcc, 8, v26
	v_cndmask_b32_e32 v12, v27, v12, vcc
	v_cndmask_b32_e32 v24, v24, v28, vcc
	v_lshlrev_b32_e32 v25, 24, v25
	v_lshlrev_b32_e32 v24, 20, v24
	v_and_b32_e32 v25, 0x80000000, v25
	v_lshl_add_u32 v12, v12, 23, v0
	v_or3_b32 v24, v25, v12, v24
.LBB2_352:                              ;   in Loop: Header=BB2_348 Depth=4
	s_or_b64 exec, exec, s[68:69]
.LBB2_353:                              ;   in Loop: Header=BB2_348 Depth=4
	s_or_b64 exec, exec, s[66:67]
.LBB2_354:                              ;   in Loop: Header=BB2_348 Depth=4
	s_or_b64 exec, exec, s[28:29]
	v_and_b32_e32 v12, 0xff, v13
	v_cmp_ne_u16_e32 vcc, 0, v12
	s_and_saveexec_b64 s[28:29], vcc
	s_cbranch_execz .LBB2_360
; %bb.355:                              ;   in Loop: Header=BB2_348 Depth=4
	v_cmp_ne_u16_e32 vcc, s91, v12
	v_bfrev_b32_e32 v18, 1
	s_and_saveexec_b64 s[66:67], vcc
	s_cbranch_execz .LBB2_359
; %bb.356:                              ;   in Loop: Header=BB2_348 Depth=4
	v_and_b32_e32 v25, 0x7f, v13
	v_cmp_ne_u32_e32 vcc, s92, v25
	v_mov_b32_e32 v18, 0x7f800001
	s_and_saveexec_b64 s[68:69], vcc
	s_cbranch_execz .LBB2_358
; %bb.357:                              ;   in Loop: Header=BB2_348 Depth=4
	v_and_b32_e32 v18, 7, v12
	v_ffbh_u32_e32 v26, v18
	v_min_u32_e32 v29, 32, v26
	v_subrev_u32_e32 v26, 28, v29
	v_lshlrev_b64 v[26:27], v26, v[12:13]
	v_lshrrev_b32_e32 v28, 3, v25
	v_sub_u32_e32 v12, 29, v29
	v_and_b32_e32 v26, 7, v26
	v_cmp_gt_u32_e32 vcc, 8, v25
	v_cndmask_b32_e32 v12, v28, v12, vcc
	v_cndmask_b32_e32 v18, v18, v26, vcc
	v_lshlrev_b32_e32 v13, 24, v13
	v_lshlrev_b32_e32 v18, 20, v18
	v_and_b32_e32 v13, 0x80000000, v13
	v_lshl_add_u32 v12, v12, 23, v0
	v_or3_b32 v18, v13, v12, v18
.LBB2_358:                              ;   in Loop: Header=BB2_348 Depth=4
	s_or_b64 exec, exec, s[68:69]
.LBB2_359:                              ;   in Loop: Header=BB2_348 Depth=4
	s_or_b64 exec, exec, s[66:67]
.LBB2_360:                              ;   in Loop: Header=BB2_348 Depth=4
	s_or_b64 exec, exec, s[28:29]
	v_add_f32_e32 v12, v24, v18
	v_and_b32_sdwa v24, v12, s91 dst_sel:DWORD dst_unused:UNUSED_PAD src0_sel:BYTE_3 src1_sel:DWORD
	v_and_b32_e32 v26, 0x7f800000, v12
	v_mov_b32_e32 v27, v61
	v_and_b32_e32 v60, 0x7fffff, v12
	v_or_b32_e32 v18, 0x7e, v24
	v_cmp_ne_u64_e32 vcc, s[54:55], v[26:27]
	s_and_saveexec_b64 s[28:29], vcc
	s_xor_b64 s[66:67], exec, s[28:29]
	s_cbranch_execz .LBB2_374
; %bb.361:                              ;   in Loop: Header=BB2_348 Depth=4
	v_and_b32_e32 v26, 0x7fffffff, v12
	v_mov_b32_e32 v27, v61
	v_cmp_gt_u64_e32 vcc, s[56:57], v[26:27]
	s_and_saveexec_b64 s[28:29], vcc
	s_xor_b64 s[68:69], exec, s[28:29]
	s_cbranch_execz .LBB2_373
; %bb.362:                              ;   in Loop: Header=BB2_348 Depth=4
	v_cmp_ne_u32_e32 vcc, 0, v12
	v_mov_b32_e32 v18, 0
	s_and_saveexec_b64 s[70:71], vcc
	s_cbranch_execz .LBB2_372
; %bb.363:                              ;   in Loop: Header=BB2_348 Depth=4
	v_bfe_u32 v12, v12, 23, 8
	v_sub_u32_e32 v18, 0x79, v12
	v_cmp_gt_u32_e32 vcc, s93, v12
	v_add_u32_e32 v13, 0xffffff81, v12
	v_cndmask_b32_e32 v18, 0, v18, vcc
	v_cmp_eq_u32_e32 vcc, 0, v12
	v_mov_b32_e32 v12, 0xffffff82
	v_cndmask_b32_e32 v26, v13, v12, vcc
	v_mov_b32_e32 v12, 0x78
	v_or_b32_e32 v25, 0x800000, v60
	v_cndmask_b32_e32 v18, v18, v12, vcc
	v_cndmask_b32_e32 v60, v25, v60, vcc
	v_add_u32_e32 v12, 20, v18
	v_lshlrev_b64 v[12:13], v12, -1
	v_add_u32_e32 v25, 19, v18
	v_lshrrev_b64 v[30:31], v18, v[60:61]
	v_not_b32_e32 v13, v13
	v_not_b32_e32 v12, v12
	v_lshlrev_b64 v[28:29], v25, 1
	v_lshrrev_b32_e32 v25, 23, v30
	v_and_b32_e32 v13, 0, v13
	v_and_b32_e32 v12, v60, v12
	v_add3_u32 v26, v18, v26, v25
	v_bfe_u32 v25, v30, 20, 1
	v_add_u32_e32 v25, -1, v25
	v_cmp_eq_u64_e32 vcc, v[12:13], v[28:29]
	v_cndmask_b32_e32 v12, 0, v25, vcc
	v_add_u32_e32 v12, v12, v30
	v_and_b32_e32 v12, 0xfffff, v12
	v_add_co_u32_e32 v12, vcc, v12, v30
	v_add_u32_e32 v18, 6, v26
	v_addc_co_u32_e32 v13, vcc, 0, v31, vcc
	v_cmp_ne_u32_e32 vcc, 0, v18
                                        ; implicit-def: $vgpr25
	s_and_saveexec_b64 s[28:29], vcc
	s_xor_b64 s[28:29], exec, s[28:29]
; %bb.364:                              ;   in Loop: Header=BB2_348 Depth=4
	v_add_u32_e32 v25, 7, v26
	v_cmp_lt_u64_e32 vcc, s[58:59], v[12:13]
	v_cndmask_b32_e32 v25, v18, v25, vcc
	v_cndmask_b32_e64 v18, 0, 1, vcc
	v_lshrrev_b64 v[12:13], v18, v[12:13]
; %bb.365:                              ;   in Loop: Header=BB2_348 Depth=4
	s_andn2_saveexec_b64 s[28:29], s[28:29]
; %bb.366:                              ;   in Loop: Header=BB2_348 Depth=4
	v_bfe_u32 v25, v12, 23, 1
; %bb.367:                              ;   in Loop: Header=BB2_348 Depth=4
	s_or_b64 exec, exec, s[28:29]
	v_lshrrev_b64 v[12:13], 20, v[12:13]
	v_cmp_gt_i32_e32 vcc, 16, v25
	v_cndmask_b32_e32 v13, 0, v13, vcc
	v_cndmask_b32_e32 v12, 7, v12, vcc
	v_cmp_ne_u32_e32 vcc, 0, v25
	v_cmp_ne_u64_e64 s[28:29], 0, v[12:13]
	s_or_b64 s[28:29], vcc, s[28:29]
                                        ; implicit-def: $vgpr18
	s_and_saveexec_b64 vcc, s[28:29]
	s_xor_b64 s[28:29], exec, vcc
; %bb.368:                              ;   in Loop: Header=BB2_348 Depth=4
	v_min_i32_e32 v13, 15, v25
	v_lshl_or_b32 v13, v13, 3, v24
	v_and_or_b32 v18, v12, 7, v13
                                        ; implicit-def: $vgpr24
; %bb.369:                              ;   in Loop: Header=BB2_348 Depth=4
	s_andn2_saveexec_b64 s[28:29], s[28:29]
; %bb.370:                              ;   in Loop: Header=BB2_348 Depth=4
	v_mov_b32_e32 v18, v24
; %bb.371:                              ;   in Loop: Header=BB2_348 Depth=4
	s_or_b64 exec, exec, s[28:29]
.LBB2_372:                              ;   in Loop: Header=BB2_348 Depth=4
	s_or_b64 exec, exec, s[70:71]
.LBB2_373:                              ;   in Loop: Header=BB2_348 Depth=4
	s_andn2_saveexec_b64 s[28:29], s[68:69]
	s_or_b64 exec, exec, s[28:29]
                                        ; implicit-def: $vgpr12
.LBB2_374:                              ;   in Loop: Header=BB2_348 Depth=4
	s_andn2_saveexec_b64 s[28:29], s[66:67]
; %bb.375:                              ;   in Loop: Header=BB2_348 Depth=4
	v_or_b32_sdwa v12, v12, s92 dst_sel:DWORD dst_unused:UNUSED_PAD src0_sel:BYTE_3 src1_sel:DWORD
	v_cmp_eq_u64_e32 vcc, 0, v[60:61]
	v_cndmask_b32_e32 v18, v12, v18, vcc
; %bb.376:                              ;   in Loop: Header=BB2_348 Depth=4
	s_or_b64 exec, exec, s[28:29]
	v_and_b32_e32 v12, 0xff, v3
	v_cmp_ne_u16_e32 vcc, 0, v12
	v_mov_b32_e32 v13, 0
	v_mov_b32_e32 v24, 0
	s_and_saveexec_b64 s[28:29], vcc
	s_cbranch_execz .LBB2_382
; %bb.377:                              ;   in Loop: Header=BB2_348 Depth=4
	v_cmp_ne_u16_e32 vcc, s91, v12
	v_bfrev_b32_e32 v24, 1
	s_and_saveexec_b64 s[66:67], vcc
	s_cbranch_execz .LBB2_381
; %bb.378:                              ;   in Loop: Header=BB2_348 Depth=4
	v_and_b32_e32 v25, 0x7f, v3
	v_cmp_ne_u32_e32 vcc, s92, v25
	v_mov_b32_e32 v24, 0x7f800001
	s_and_saveexec_b64 s[68:69], vcc
	s_cbranch_execz .LBB2_380
; %bb.379:                              ;   in Loop: Header=BB2_348 Depth=4
	v_and_b32_e32 v24, 7, v12
	v_ffbh_u32_e32 v26, v24
	v_min_u32_e32 v29, 32, v26
	v_subrev_u32_e32 v26, 28, v29
	v_lshlrev_b64 v[26:27], v26, v[12:13]
	v_lshrrev_b32_e32 v28, 3, v25
	v_sub_u32_e32 v12, 29, v29
	v_and_b32_e32 v26, 7, v26
	v_cmp_gt_u32_e32 vcc, 8, v25
	v_cndmask_b32_e32 v12, v28, v12, vcc
	v_cndmask_b32_e32 v24, v24, v26, vcc
	v_lshlrev_b32_e32 v3, 24, v3
	v_lshlrev_b32_e32 v24, 20, v24
	v_and_b32_e32 v3, 0x80000000, v3
	v_lshl_add_u32 v12, v12, 23, v0
	v_or3_b32 v24, v3, v12, v24
.LBB2_380:                              ;   in Loop: Header=BB2_348 Depth=4
	s_or_b64 exec, exec, s[68:69]
.LBB2_381:                              ;   in Loop: Header=BB2_348 Depth=4
	s_or_b64 exec, exec, s[66:67]
.LBB2_382:                              ;   in Loop: Header=BB2_348 Depth=4
	s_or_b64 exec, exec, s[28:29]
	v_and_b32_e32 v12, 0xff, v21
	v_cmp_ne_u16_e32 vcc, 0, v12
	s_and_saveexec_b64 s[28:29], vcc
	s_cbranch_execz .LBB2_388
; %bb.383:                              ;   in Loop: Header=BB2_348 Depth=4
	v_cmp_ne_u16_e32 vcc, s91, v12
	v_bfrev_b32_e32 v13, 1
	s_and_saveexec_b64 s[66:67], vcc
	s_cbranch_execz .LBB2_387
; %bb.384:                              ;   in Loop: Header=BB2_348 Depth=4
	v_and_b32_e32 v3, 0x7f, v21
	v_cmp_ne_u32_e32 vcc, s92, v3
	v_mov_b32_e32 v13, 0x7f800001
	s_and_saveexec_b64 s[68:69], vcc
	s_cbranch_execz .LBB2_386
; %bb.385:                              ;   in Loop: Header=BB2_348 Depth=4
	v_and_b32_e32 v25, 7, v12
	v_ffbh_u32_e32 v13, v25
	v_min_u32_e32 v27, 32, v13
	v_subrev_u32_e32 v13, 28, v27
	v_lshlrev_b64 v[12:13], v13, v[12:13]
	v_lshrrev_b32_e32 v26, 3, v3
	v_sub_u32_e32 v13, 29, v27
	v_and_b32_e32 v12, 7, v12
	v_cmp_gt_u32_e32 vcc, 8, v3
	v_cndmask_b32_e32 v3, v26, v13, vcc
	v_cndmask_b32_e32 v12, v25, v12, vcc
	v_lshlrev_b32_e32 v13, 24, v21
	v_lshlrev_b32_e32 v12, 20, v12
	v_and_b32_e32 v13, 0x80000000, v13
	v_lshl_add_u32 v3, v3, 23, v0
	v_or3_b32 v13, v13, v3, v12
.LBB2_386:                              ;   in Loop: Header=BB2_348 Depth=4
	s_or_b64 exec, exec, s[68:69]
.LBB2_387:                              ;   in Loop: Header=BB2_348 Depth=4
	s_or_b64 exec, exec, s[66:67]
.LBB2_388:                              ;   in Loop: Header=BB2_348 Depth=4
	s_or_b64 exec, exec, s[28:29]
	v_add_f32_e32 v12, v24, v13
	v_and_b32_sdwa v3, v12, s91 dst_sel:DWORD dst_unused:UNUSED_PAD src0_sel:BYTE_3 src1_sel:DWORD
	v_and_b32_e32 v24, 0x7f800000, v12
	v_mov_b32_e32 v25, v61
	v_and_b32_e32 v60, 0x7fffff, v12
	v_or_b32_e32 v21, 0x7e, v3
	v_cmp_ne_u64_e32 vcc, s[54:55], v[24:25]
	s_and_saveexec_b64 s[28:29], vcc
	s_xor_b64 s[66:67], exec, s[28:29]
	s_cbranch_execz .LBB2_402
; %bb.389:                              ;   in Loop: Header=BB2_348 Depth=4
	v_and_b32_e32 v24, 0x7fffffff, v12
	v_mov_b32_e32 v25, v61
	v_cmp_gt_u64_e32 vcc, s[56:57], v[24:25]
	s_and_saveexec_b64 s[28:29], vcc
	s_xor_b64 s[68:69], exec, s[28:29]
	s_cbranch_execz .LBB2_401
; %bb.390:                              ;   in Loop: Header=BB2_348 Depth=4
	v_cmp_ne_u32_e32 vcc, 0, v12
	v_mov_b32_e32 v21, 0
	s_and_saveexec_b64 s[70:71], vcc
	s_cbranch_execz .LBB2_400
; %bb.391:                              ;   in Loop: Header=BB2_348 Depth=4
	v_bfe_u32 v12, v12, 23, 8
	v_sub_u32_e32 v21, 0x79, v12
	v_cmp_gt_u32_e32 vcc, s93, v12
	v_add_u32_e32 v13, 0xffffff81, v12
	v_cndmask_b32_e32 v21, 0, v21, vcc
	v_cmp_eq_u32_e32 vcc, 0, v12
	v_mov_b32_e32 v12, 0xffffff82
	v_cndmask_b32_e32 v25, v13, v12, vcc
	v_mov_b32_e32 v12, 0x78
	v_or_b32_e32 v24, 0x800000, v60
	v_cndmask_b32_e32 v21, v21, v12, vcc
	v_cndmask_b32_e32 v60, v24, v60, vcc
	v_add_u32_e32 v12, 20, v21
	v_lshlrev_b64 v[12:13], v12, -1
	v_add_u32_e32 v24, 19, v21
	v_lshrrev_b64 v[28:29], v21, v[60:61]
	v_not_b32_e32 v13, v13
	v_not_b32_e32 v12, v12
	v_lshlrev_b64 v[26:27], v24, 1
	v_lshrrev_b32_e32 v24, 23, v28
	v_and_b32_e32 v13, 0, v13
	v_and_b32_e32 v12, v60, v12
	v_add3_u32 v25, v21, v25, v24
	v_bfe_u32 v24, v28, 20, 1
	v_add_u32_e32 v24, -1, v24
	v_cmp_eq_u64_e32 vcc, v[12:13], v[26:27]
	v_cndmask_b32_e32 v12, 0, v24, vcc
	v_add_u32_e32 v12, v12, v28
	v_and_b32_e32 v12, 0xfffff, v12
	v_add_co_u32_e32 v12, vcc, v12, v28
	v_add_u32_e32 v21, 6, v25
	v_addc_co_u32_e32 v13, vcc, 0, v29, vcc
	v_cmp_ne_u32_e32 vcc, 0, v21
                                        ; implicit-def: $vgpr24
	s_and_saveexec_b64 s[28:29], vcc
	s_xor_b64 s[28:29], exec, s[28:29]
; %bb.392:                              ;   in Loop: Header=BB2_348 Depth=4
	v_add_u32_e32 v24, 7, v25
	v_cmp_lt_u64_e32 vcc, s[58:59], v[12:13]
	v_cndmask_b32_e32 v24, v21, v24, vcc
	v_cndmask_b32_e64 v21, 0, 1, vcc
	v_lshrrev_b64 v[12:13], v21, v[12:13]
; %bb.393:                              ;   in Loop: Header=BB2_348 Depth=4
	s_andn2_saveexec_b64 s[28:29], s[28:29]
; %bb.394:                              ;   in Loop: Header=BB2_348 Depth=4
	v_bfe_u32 v24, v12, 23, 1
; %bb.395:                              ;   in Loop: Header=BB2_348 Depth=4
	s_or_b64 exec, exec, s[28:29]
	v_lshrrev_b64 v[12:13], 20, v[12:13]
	v_cmp_gt_i32_e32 vcc, 16, v24
	v_cndmask_b32_e32 v13, 0, v13, vcc
	v_cndmask_b32_e32 v12, 7, v12, vcc
	v_cmp_ne_u32_e32 vcc, 0, v24
	v_cmp_ne_u64_e64 s[28:29], 0, v[12:13]
	s_or_b64 s[28:29], vcc, s[28:29]
                                        ; implicit-def: $vgpr21
	s_and_saveexec_b64 vcc, s[28:29]
	s_xor_b64 s[28:29], exec, vcc
; %bb.396:                              ;   in Loop: Header=BB2_348 Depth=4
	v_min_i32_e32 v13, 15, v24
	v_lshl_or_b32 v3, v13, 3, v3
	v_and_or_b32 v21, v12, 7, v3
                                        ; implicit-def: $vgpr3
; %bb.397:                              ;   in Loop: Header=BB2_348 Depth=4
	s_andn2_saveexec_b64 s[28:29], s[28:29]
; %bb.398:                              ;   in Loop: Header=BB2_348 Depth=4
	v_mov_b32_e32 v21, v3
; %bb.399:                              ;   in Loop: Header=BB2_348 Depth=4
	s_or_b64 exec, exec, s[28:29]
.LBB2_400:                              ;   in Loop: Header=BB2_348 Depth=4
	s_or_b64 exec, exec, s[70:71]
.LBB2_401:                              ;   in Loop: Header=BB2_348 Depth=4
	s_andn2_saveexec_b64 s[28:29], s[68:69]
	s_or_b64 exec, exec, s[28:29]
                                        ; implicit-def: $vgpr12
.LBB2_402:                              ;   in Loop: Header=BB2_348 Depth=4
	s_andn2_saveexec_b64 s[28:29], s[66:67]
; %bb.403:                              ;   in Loop: Header=BB2_348 Depth=4
	v_or_b32_sdwa v3, v12, s92 dst_sel:DWORD dst_unused:UNUSED_PAD src0_sel:BYTE_3 src1_sel:DWORD
	v_cmp_eq_u64_e32 vcc, 0, v[60:61]
	v_cndmask_b32_e32 v21, v3, v21, vcc
; %bb.404:                              ;   in Loop: Header=BB2_348 Depth=4
	s_or_b64 exec, exec, s[28:29]
	v_and_b32_e32 v12, 0xff, v23
	v_cmp_ne_u16_e32 vcc, 0, v12
	v_mov_b32_e32 v3, 0
	v_mov_b32_e32 v13, 0
	s_and_saveexec_b64 s[28:29], vcc
	s_cbranch_execz .LBB2_410
; %bb.405:                              ;   in Loop: Header=BB2_348 Depth=4
	v_cmp_ne_u16_e32 vcc, s91, v12
	v_bfrev_b32_e32 v13, 1
	s_and_saveexec_b64 s[66:67], vcc
	s_cbranch_execz .LBB2_409
; %bb.406:                              ;   in Loop: Header=BB2_348 Depth=4
	v_and_b32_e32 v24, 0x7f, v23
	v_cmp_ne_u32_e32 vcc, s92, v24
	v_mov_b32_e32 v13, 0x7f800001
	s_and_saveexec_b64 s[68:69], vcc
	s_cbranch_execz .LBB2_408
; %bb.407:                              ;   in Loop: Header=BB2_348 Depth=4
	v_and_b32_e32 v25, 7, v12
	v_ffbh_u32_e32 v13, v25
	v_min_u32_e32 v27, 32, v13
	v_subrev_u32_e32 v13, 28, v27
	v_lshlrev_b64 v[12:13], v13, v[12:13]
	v_lshrrev_b32_e32 v26, 3, v24
	v_sub_u32_e32 v13, 29, v27
	v_and_b32_e32 v12, 7, v12
	v_cmp_gt_u32_e32 vcc, 8, v24
	v_cndmask_b32_e32 v13, v26, v13, vcc
	v_cndmask_b32_e32 v12, v25, v12, vcc
	v_lshlrev_b32_e32 v23, 24, v23
	v_lshlrev_b32_e32 v12, 20, v12
	v_and_b32_e32 v23, 0x80000000, v23
	v_lshl_add_u32 v13, v13, 23, v0
	v_or3_b32 v13, v23, v13, v12
.LBB2_408:                              ;   in Loop: Header=BB2_348 Depth=4
	s_or_b64 exec, exec, s[68:69]
.LBB2_409:                              ;   in Loop: Header=BB2_348 Depth=4
	s_or_b64 exec, exec, s[66:67]
.LBB2_410:                              ;   in Loop: Header=BB2_348 Depth=4
	s_or_b64 exec, exec, s[28:29]
	v_and_b32_e32 v12, 0xff, v22
	v_cmp_ne_u16_e32 vcc, 0, v12
	s_and_saveexec_b64 s[28:29], vcc
	s_cbranch_execz .LBB2_416
; %bb.411:                              ;   in Loop: Header=BB2_348 Depth=4
	v_cmp_ne_u16_e32 vcc, s91, v12
	v_bfrev_b32_e32 v3, 1
	s_and_saveexec_b64 s[66:67], vcc
	s_cbranch_execz .LBB2_415
; %bb.412:                              ;   in Loop: Header=BB2_348 Depth=4
	v_and_b32_e32 v23, 0x7f, v22
	v_cmp_ne_u32_e32 vcc, s92, v23
	v_mov_b32_e32 v3, 0x7f800001
	s_and_saveexec_b64 s[68:69], vcc
	s_cbranch_execz .LBB2_414
; %bb.413:                              ;   in Loop: Header=BB2_348 Depth=4
	v_and_b32_e32 v3, 7, v12
	v_ffbh_u32_e32 v24, v3
	v_min_u32_e32 v27, 32, v24
	v_subrev_u32_e32 v24, 28, v27
	v_lshlrev_b64 v[24:25], v24, v[12:13]
	v_lshrrev_b32_e32 v26, 3, v23
	v_sub_u32_e32 v12, 29, v27
	v_and_b32_e32 v24, 7, v24
	v_cmp_gt_u32_e32 vcc, 8, v23
	v_cndmask_b32_e32 v12, v26, v12, vcc
	v_cndmask_b32_e32 v3, v3, v24, vcc
	v_lshlrev_b32_e32 v22, 24, v22
	v_lshlrev_b32_e32 v3, 20, v3
	v_and_b32_e32 v22, 0x80000000, v22
	v_lshl_add_u32 v12, v12, 23, v0
	v_or3_b32 v3, v22, v12, v3
.LBB2_414:                              ;   in Loop: Header=BB2_348 Depth=4
	s_or_b64 exec, exec, s[68:69]
.LBB2_415:                              ;   in Loop: Header=BB2_348 Depth=4
	s_or_b64 exec, exec, s[66:67]
.LBB2_416:                              ;   in Loop: Header=BB2_348 Depth=4
	s_or_b64 exec, exec, s[28:29]
	v_add_f32_e32 v12, v13, v3
	v_and_b32_sdwa v3, v12, s91 dst_sel:DWORD dst_unused:UNUSED_PAD src0_sel:BYTE_3 src1_sel:DWORD
	v_and_b32_e32 v24, 0x7f800000, v12
	v_mov_b32_e32 v25, v61
	v_and_b32_e32 v60, 0x7fffff, v12
	v_or_b32_e32 v22, 0x7e, v3
	v_cmp_ne_u64_e32 vcc, s[54:55], v[24:25]
	s_and_saveexec_b64 s[28:29], vcc
	s_xor_b64 s[66:67], exec, s[28:29]
	s_cbranch_execz .LBB2_430
; %bb.417:                              ;   in Loop: Header=BB2_348 Depth=4
	v_and_b32_e32 v24, 0x7fffffff, v12
	v_mov_b32_e32 v25, v61
	v_cmp_gt_u64_e32 vcc, s[56:57], v[24:25]
	s_and_saveexec_b64 s[28:29], vcc
	s_xor_b64 s[68:69], exec, s[28:29]
	s_cbranch_execz .LBB2_429
; %bb.418:                              ;   in Loop: Header=BB2_348 Depth=4
	v_cmp_ne_u32_e32 vcc, 0, v12
	v_mov_b32_e32 v22, 0
	s_and_saveexec_b64 s[70:71], vcc
	s_cbranch_execz .LBB2_428
; %bb.419:                              ;   in Loop: Header=BB2_348 Depth=4
	v_bfe_u32 v12, v12, 23, 8
	v_sub_u32_e32 v22, 0x79, v12
	v_cmp_gt_u32_e32 vcc, s93, v12
	v_add_u32_e32 v13, 0xffffff81, v12
	v_cndmask_b32_e32 v22, 0, v22, vcc
	v_cmp_eq_u32_e32 vcc, 0, v12
	v_mov_b32_e32 v12, 0xffffff82
	v_cndmask_b32_e32 v24, v13, v12, vcc
	v_mov_b32_e32 v12, 0x78
	v_or_b32_e32 v23, 0x800000, v60
	v_cndmask_b32_e32 v22, v22, v12, vcc
	v_cndmask_b32_e32 v60, v23, v60, vcc
	v_add_u32_e32 v12, 20, v22
	v_lshlrev_b64 v[12:13], v12, -1
	v_add_u32_e32 v23, 19, v22
	v_lshrrev_b64 v[28:29], v22, v[60:61]
	v_not_b32_e32 v13, v13
	v_not_b32_e32 v12, v12
	v_lshlrev_b64 v[26:27], v23, 1
	v_lshrrev_b32_e32 v23, 23, v28
	v_and_b32_e32 v13, 0, v13
	v_and_b32_e32 v12, v60, v12
	v_add3_u32 v24, v22, v24, v23
	v_bfe_u32 v23, v28, 20, 1
	v_add_u32_e32 v23, -1, v23
	v_cmp_eq_u64_e32 vcc, v[12:13], v[26:27]
	v_cndmask_b32_e32 v12, 0, v23, vcc
	v_add_u32_e32 v12, v12, v28
	v_and_b32_e32 v12, 0xfffff, v12
	v_add_co_u32_e32 v12, vcc, v12, v28
	v_add_u32_e32 v22, 6, v24
	v_addc_co_u32_e32 v13, vcc, 0, v29, vcc
	v_cmp_ne_u32_e32 vcc, 0, v22
                                        ; implicit-def: $vgpr23
	s_and_saveexec_b64 s[28:29], vcc
	s_xor_b64 s[28:29], exec, s[28:29]
; %bb.420:                              ;   in Loop: Header=BB2_348 Depth=4
	v_add_u32_e32 v23, 7, v24
	v_cmp_lt_u64_e32 vcc, s[58:59], v[12:13]
	v_cndmask_b32_e32 v23, v22, v23, vcc
	v_cndmask_b32_e64 v22, 0, 1, vcc
	v_lshrrev_b64 v[12:13], v22, v[12:13]
; %bb.421:                              ;   in Loop: Header=BB2_348 Depth=4
	s_andn2_saveexec_b64 s[28:29], s[28:29]
; %bb.422:                              ;   in Loop: Header=BB2_348 Depth=4
	v_bfe_u32 v23, v12, 23, 1
; %bb.423:                              ;   in Loop: Header=BB2_348 Depth=4
	s_or_b64 exec, exec, s[28:29]
	v_lshrrev_b64 v[12:13], 20, v[12:13]
	v_cmp_gt_i32_e32 vcc, 16, v23
	v_cndmask_b32_e32 v13, 0, v13, vcc
	v_cndmask_b32_e32 v12, 7, v12, vcc
	v_cmp_ne_u32_e32 vcc, 0, v23
	v_cmp_ne_u64_e64 s[28:29], 0, v[12:13]
	s_or_b64 s[28:29], vcc, s[28:29]
                                        ; implicit-def: $vgpr22
	s_and_saveexec_b64 vcc, s[28:29]
	s_xor_b64 s[28:29], exec, vcc
; %bb.424:                              ;   in Loop: Header=BB2_348 Depth=4
	v_min_i32_e32 v13, 15, v23
	v_lshl_or_b32 v3, v13, 3, v3
	v_and_or_b32 v22, v12, 7, v3
                                        ; implicit-def: $vgpr3
; %bb.425:                              ;   in Loop: Header=BB2_348 Depth=4
	s_andn2_saveexec_b64 s[28:29], s[28:29]
; %bb.426:                              ;   in Loop: Header=BB2_348 Depth=4
	v_mov_b32_e32 v22, v3
; %bb.427:                              ;   in Loop: Header=BB2_348 Depth=4
	s_or_b64 exec, exec, s[28:29]
.LBB2_428:                              ;   in Loop: Header=BB2_348 Depth=4
	s_or_b64 exec, exec, s[70:71]
.LBB2_429:                              ;   in Loop: Header=BB2_348 Depth=4
	s_andn2_saveexec_b64 s[28:29], s[68:69]
	s_or_b64 exec, exec, s[28:29]
                                        ; implicit-def: $vgpr12
.LBB2_430:                              ;   in Loop: Header=BB2_348 Depth=4
	s_andn2_saveexec_b64 s[28:29], s[66:67]
; %bb.431:                              ;   in Loop: Header=BB2_348 Depth=4
	v_or_b32_sdwa v3, v12, s92 dst_sel:DWORD dst_unused:UNUSED_PAD src0_sel:BYTE_3 src1_sel:DWORD
	v_cmp_eq_u64_e32 vcc, 0, v[60:61]
	v_cndmask_b32_e32 v22, v3, v22, vcc
; %bb.432:                              ;   in Loop: Header=BB2_348 Depth=4
	s_or_b64 exec, exec, s[28:29]
	v_and_b32_e32 v12, 0xff, v20
	v_cmp_ne_u16_e32 vcc, 0, v12
	v_mov_b32_e32 v3, 0
	v_mov_b32_e32 v13, 0
	s_and_saveexec_b64 s[28:29], vcc
	s_cbranch_execz .LBB2_438
; %bb.433:                              ;   in Loop: Header=BB2_348 Depth=4
	v_cmp_ne_u16_e32 vcc, s91, v12
	v_bfrev_b32_e32 v13, 1
	s_and_saveexec_b64 s[66:67], vcc
	s_cbranch_execz .LBB2_437
; %bb.434:                              ;   in Loop: Header=BB2_348 Depth=4
	v_and_b32_e32 v23, 0x7f, v20
	v_cmp_ne_u32_e32 vcc, s92, v23
	v_mov_b32_e32 v13, 0x7f800001
	s_and_saveexec_b64 s[68:69], vcc
	s_cbranch_execz .LBB2_436
; %bb.435:                              ;   in Loop: Header=BB2_348 Depth=4
	v_and_b32_e32 v24, 7, v12
	v_ffbh_u32_e32 v13, v24
	v_min_u32_e32 v26, 32, v13
	v_subrev_u32_e32 v13, 28, v26
	v_lshlrev_b64 v[12:13], v13, v[12:13]
	v_lshrrev_b32_e32 v25, 3, v23
	v_sub_u32_e32 v13, 29, v26
	v_and_b32_e32 v12, 7, v12
	v_cmp_gt_u32_e32 vcc, 8, v23
	v_cndmask_b32_e32 v13, v25, v13, vcc
	v_cndmask_b32_e32 v12, v24, v12, vcc
	v_lshlrev_b32_e32 v20, 24, v20
	v_lshlrev_b32_e32 v12, 20, v12
	v_and_b32_e32 v20, 0x80000000, v20
	v_lshl_add_u32 v13, v13, 23, v0
	v_or3_b32 v13, v20, v13, v12
.LBB2_436:                              ;   in Loop: Header=BB2_348 Depth=4
	s_or_b64 exec, exec, s[68:69]
.LBB2_437:                              ;   in Loop: Header=BB2_348 Depth=4
	s_or_b64 exec, exec, s[66:67]
.LBB2_438:                              ;   in Loop: Header=BB2_348 Depth=4
	s_or_b64 exec, exec, s[28:29]
	v_and_b32_e32 v12, 0xff, v19
	v_cmp_ne_u16_e32 vcc, 0, v12
	s_and_saveexec_b64 s[28:29], vcc
	s_cbranch_execz .LBB2_444
; %bb.439:                              ;   in Loop: Header=BB2_348 Depth=4
	v_cmp_ne_u16_e32 vcc, s91, v12
	v_bfrev_b32_e32 v3, 1
	s_and_saveexec_b64 s[66:67], vcc
	s_cbranch_execz .LBB2_443
; %bb.440:                              ;   in Loop: Header=BB2_348 Depth=4
	v_and_b32_e32 v20, 0x7f, v19
	v_cmp_ne_u32_e32 vcc, s92, v20
	v_mov_b32_e32 v3, 0x7f800001
	s_and_saveexec_b64 s[68:69], vcc
	s_cbranch_execz .LBB2_442
; %bb.441:                              ;   in Loop: Header=BB2_348 Depth=4
	v_and_b32_e32 v3, 7, v12
	v_ffbh_u32_e32 v24, v3
	v_min_u32_e32 v26, 32, v24
	v_subrev_u32_e32 v24, 28, v26
	v_lshlrev_b64 v[24:25], v24, v[12:13]
	v_lshrrev_b32_e32 v23, 3, v20
	v_sub_u32_e32 v12, 29, v26
	v_and_b32_e32 v24, 7, v24
	v_cmp_gt_u32_e32 vcc, 8, v20
	v_cndmask_b32_e32 v12, v23, v12, vcc
	v_cndmask_b32_e32 v3, v3, v24, vcc
	v_lshlrev_b32_e32 v19, 24, v19
	v_lshlrev_b32_e32 v3, 20, v3
	v_and_b32_e32 v19, 0x80000000, v19
	v_lshl_add_u32 v12, v12, 23, v0
	v_or3_b32 v3, v19, v12, v3
.LBB2_442:                              ;   in Loop: Header=BB2_348 Depth=4
	s_or_b64 exec, exec, s[68:69]
.LBB2_443:                              ;   in Loop: Header=BB2_348 Depth=4
	s_or_b64 exec, exec, s[66:67]
.LBB2_444:                              ;   in Loop: Header=BB2_348 Depth=4
	s_or_b64 exec, exec, s[28:29]
	v_add_f32_e32 v12, v13, v3
	v_and_b32_sdwa v3, v12, s91 dst_sel:DWORD dst_unused:UNUSED_PAD src0_sel:BYTE_3 src1_sel:DWORD
	v_and_b32_e32 v24, 0x7f800000, v12
	v_mov_b32_e32 v25, v61
	v_and_b32_e32 v60, 0x7fffff, v12
	v_or_b32_e32 v13, 0x7e, v3
	v_cmp_ne_u64_e32 vcc, s[54:55], v[24:25]
	s_and_saveexec_b64 s[28:29], vcc
	s_xor_b64 s[66:67], exec, s[28:29]
	s_cbranch_execz .LBB2_458
; %bb.445:                              ;   in Loop: Header=BB2_348 Depth=4
	v_and_b32_e32 v24, 0x7fffffff, v12
	v_mov_b32_e32 v25, v61
	v_cmp_gt_u64_e32 vcc, s[56:57], v[24:25]
	s_and_saveexec_b64 s[28:29], vcc
	s_xor_b64 s[68:69], exec, s[28:29]
	s_cbranch_execz .LBB2_457
; %bb.446:                              ;   in Loop: Header=BB2_348 Depth=4
	v_cmp_ne_u32_e32 vcc, 0, v12
	v_mov_b32_e32 v13, 0
	s_and_saveexec_b64 s[70:71], vcc
	s_cbranch_execz .LBB2_456
; %bb.447:                              ;   in Loop: Header=BB2_348 Depth=4
	v_bfe_u32 v12, v12, 23, 8
	v_sub_u32_e32 v19, 0x79, v12
	v_cmp_gt_u32_e32 vcc, s93, v12
	v_add_u32_e32 v13, 0xffffff81, v12
	v_cndmask_b32_e32 v19, 0, v19, vcc
	v_cmp_eq_u32_e32 vcc, 0, v12
	v_mov_b32_e32 v12, 0xffffff82
	v_cndmask_b32_e32 v23, v13, v12, vcc
	v_mov_b32_e32 v12, 0x78
	v_or_b32_e32 v20, 0x800000, v60
	v_cndmask_b32_e32 v19, v19, v12, vcc
	v_cndmask_b32_e32 v60, v20, v60, vcc
	v_add_u32_e32 v12, 20, v19
	v_lshlrev_b64 v[12:13], v12, -1
	v_add_u32_e32 v20, 19, v19
	v_lshrrev_b64 v[26:27], v19, v[60:61]
	v_not_b32_e32 v13, v13
	v_not_b32_e32 v12, v12
	v_lshlrev_b64 v[24:25], v20, 1
	v_lshrrev_b32_e32 v20, 23, v26
	v_and_b32_e32 v13, 0, v13
	v_and_b32_e32 v12, v60, v12
	v_add3_u32 v23, v19, v23, v20
	v_bfe_u32 v19, v26, 20, 1
	v_add_u32_e32 v19, -1, v19
	v_cmp_eq_u64_e32 vcc, v[12:13], v[24:25]
	v_cndmask_b32_e32 v12, 0, v19, vcc
	v_add_u32_e32 v12, v12, v26
	v_and_b32_e32 v12, 0xfffff, v12
	v_add_co_u32_e32 v12, vcc, v12, v26
	v_add_u32_e32 v20, 6, v23
	v_addc_co_u32_e32 v13, vcc, 0, v27, vcc
	v_cmp_ne_u32_e32 vcc, 0, v20
                                        ; implicit-def: $vgpr19
	s_and_saveexec_b64 s[28:29], vcc
	s_xor_b64 s[28:29], exec, s[28:29]
; %bb.448:                              ;   in Loop: Header=BB2_348 Depth=4
	v_add_u32_e32 v19, 7, v23
	v_cmp_lt_u64_e32 vcc, s[58:59], v[12:13]
	v_cndmask_b32_e32 v19, v20, v19, vcc
	v_cndmask_b32_e64 v20, 0, 1, vcc
	v_lshrrev_b64 v[12:13], v20, v[12:13]
; %bb.449:                              ;   in Loop: Header=BB2_348 Depth=4
	s_andn2_saveexec_b64 s[28:29], s[28:29]
; %bb.450:                              ;   in Loop: Header=BB2_348 Depth=4
	v_bfe_u32 v19, v12, 23, 1
; %bb.451:                              ;   in Loop: Header=BB2_348 Depth=4
	s_or_b64 exec, exec, s[28:29]
	v_lshrrev_b64 v[12:13], 20, v[12:13]
	v_cmp_gt_i32_e32 vcc, 16, v19
	v_cndmask_b32_e32 v13, 0, v13, vcc
	v_cndmask_b32_e32 v12, 7, v12, vcc
	v_cmp_ne_u32_e32 vcc, 0, v19
	v_cmp_ne_u64_e64 s[28:29], 0, v[12:13]
	s_or_b64 s[28:29], vcc, s[28:29]
                                        ; implicit-def: $vgpr13
	s_and_saveexec_b64 vcc, s[28:29]
	s_xor_b64 s[28:29], exec, vcc
; %bb.452:                              ;   in Loop: Header=BB2_348 Depth=4
	v_min_i32_e32 v13, 15, v19
	v_lshl_or_b32 v3, v13, 3, v3
	v_and_or_b32 v13, v12, 7, v3
                                        ; implicit-def: $vgpr3
; %bb.453:                              ;   in Loop: Header=BB2_348 Depth=4
	s_andn2_saveexec_b64 s[28:29], s[28:29]
; %bb.454:                              ;   in Loop: Header=BB2_348 Depth=4
	v_mov_b32_e32 v13, v3
; %bb.455:                              ;   in Loop: Header=BB2_348 Depth=4
	s_or_b64 exec, exec, s[28:29]
.LBB2_456:                              ;   in Loop: Header=BB2_348 Depth=4
	s_or_b64 exec, exec, s[70:71]
.LBB2_457:                              ;   in Loop: Header=BB2_348 Depth=4
	s_andn2_saveexec_b64 s[28:29], s[68:69]
	s_or_b64 exec, exec, s[28:29]
                                        ; implicit-def: $vgpr12
.LBB2_458:                              ;   in Loop: Header=BB2_348 Depth=4
	s_andn2_saveexec_b64 s[28:29], s[66:67]
	s_cbranch_execz .LBB2_347
; %bb.459:                              ;   in Loop: Header=BB2_348 Depth=4
	v_or_b32_sdwa v3, v12, s92 dst_sel:DWORD dst_unused:UNUSED_PAD src0_sel:BYTE_3 src1_sel:DWORD
	v_cmp_eq_u64_e32 vcc, 0, v[60:61]
	v_cndmask_b32_e32 v13, v3, v13, vcc
	s_branch .LBB2_347
.LBB2_460:                              ;   in Loop: Header=BB2_274 Depth=3
	s_and_saveexec_b64 s[28:29], s[10:11]
	s_cbranch_execnz .LBB2_1665
.LBB2_461:                              ;   in Loop: Header=BB2_274 Depth=3
	s_or_b64 exec, exec, s[28:29]
                                        ; implicit-def: $vgpr1
	s_and_saveexec_b64 s[28:29], s[24:25]
	s_xor_b64 s[30:31], exec, s[28:29]
	s_cbranch_execz .LBB2_1683
.LBB2_462:                              ;   in Loop: Header=BB2_274 Depth=3
	v_and_b32_e32 v3, 16, v57
	v_cmp_lt_i32_e32 vcc, 0, v42
	v_cmp_ne_u32_e64 s[28:29], 0, v3
	v_and_b32_e32 v1, 16, v57
	s_and_b64 vcc, s[28:29], vcc
	s_and_saveexec_b64 s[28:29], vcc
	s_cbranch_execz .LBB2_464
; %bb.463:                              ;   in Loop: Header=BB2_274 Depth=3
	v_mov_b32_e32 v1, 1
	s_waitcnt vmcnt(0) lgkmcnt(0)
	buffer_wbinvl1_vol
.LBB2_464:                              ;   in Loop: Header=BB2_274 Depth=3
	s_or_b64 exec, exec, s[28:29]
	s_andn2_saveexec_b64 s[28:29], s[30:31]
	s_cbranch_execz .LBB2_1702
	s_branch .LBB2_1684
.LBB2_465:                              ;   in Loop: Header=BB2_274 Depth=3
	v_ashrrev_i32_e32 v1, 31, v42
	v_lshrrev_b32_e32 v1, 21, v1
	v_add_u32_e32 v1, v42, v1
	v_ashrrev_i32_e32 v3, 11, v1
	v_accvgpr_read_b32 v1, a31
	v_sub_u32_e32 v30, v3, v1
	v_cmp_lt_i32_e32 vcc, 0, v30
	s_and_saveexec_b64 s[30:31], vcc
	s_cbranch_execz .LBB2_1271
; %bb.466:                              ;   in Loop: Header=BB2_274 Depth=3
	s_trap 2
	ds_read_b128 v[8:11], v0
	ds_read_b64 v[12:13], v0
	v_accvgpr_read_b32 v6, a44
	v_accvgpr_read_b32 v1, a45
	v_accvgpr_write_b32 a57, v42
	s_waitcnt lgkmcnt(0)
	v_add_co_u32_e32 v4, vcc, v8, v6
	v_addc_co_u32_e32 v5, vcc, v9, v1, vcc
	v_add_co_u32_e32 v24, vcc, v10, v6
	v_addc_co_u32_e32 v25, vcc, v11, v1, vcc
	v_accvgpr_write_b32 a59, v41
	v_add_co_u32_e32 v42, vcc, v12, v6
	v_accvgpr_write_b32 a60, v3
	v_accvgpr_write_b32 a58, v40
	;; [unrolled: 1-line block ×3, first 2 shown]
	v_addc_co_u32_e32 v43, vcc, v13, v1, vcc
	s_mov_b64 s[62:63], 0
	s_branch .LBB2_468
.LBB2_467:                              ;   in Loop: Header=BB2_468 Depth=4
	s_or_b64 exec, exec, s[28:29]
	v_lshlrev_b32_e32 v9, 8, v37
	v_perm_b32 v9, v9, v36, s94
	v_lshl_or_b32 v9, v52, 16, v9
	v_lshl_or_b32 v33, v21, 24, v9
	v_and_b32_e32 v9, 0xff, v47
	v_lshlrev_b32_e32 v11, 8, v46
	v_lshlrev_b32_e32 v10, 24, v26
	;; [unrolled: 1-line block ×3, first 2 shown]
	v_perm_b32 v11, v11, v56, s94
	v_or3_b32 v32, v10, v9, v11
	v_and_b32_e32 v9, 0xff, v29
	v_lshlrev_b32_e32 v10, 8, v28
	v_lshlrev_b32_e32 v6, 24, v6
	;; [unrolled: 1-line block ×3, first 2 shown]
	v_perm_b32 v10, v10, v53, s94
	v_or3_b32 v34, v6, v9, v10
	v_lshlrev_b32_e32 v6, 8, v20
	v_perm_b32 v6, v6, v55, s94
	v_lshl_or_b32 v6, v27, 16, v6
	v_lshl_or_b32 v35, v19, 24, v6
	v_lshlrev_b32_e32 v6, 8, v18
	v_perm_b32 v6, v6, v31, s94
	v_lshl_or_b32 v6, v16, 16, v6
	v_lshl_or_b32 v15, v13, 24, v6
	v_and_b32_e32 v6, 0xff, v38
	v_lshlrev_b32_e32 v10, 8, v23
	v_lshlrev_b32_e32 v9, 24, v39
	;; [unrolled: 1-line block ×3, first 2 shown]
	v_perm_b32 v10, v10, v22, s94
	v_or3_b32 v14, v9, v6, v10
	v_and_b32_e32 v6, 0xff, v58
	v_lshlrev_b32_e32 v1, 8, v1
	v_lshlrev_b32_e32 v9, 24, v59
	v_lshlrev_b32_e32 v6, 16, v6
	v_perm_b32 v1, v1, v17, s94
	v_or3_b32 v16, v9, v6, v1
	v_lshlrev_b32_e32 v1, 8, v12
	v_perm_b32 v1, v1, v54, s94
	v_lshl_or_b32 v1, v3, 16, v1
	v_lshl_or_b32 v17, v8, 24, v1
	v_accvgpr_read_b32 v1, a38
	v_add_co_u32_e32 v4, vcc, v4, v1
	v_accvgpr_read_b32 v3, a39
	v_addc_co_u32_e32 v5, vcc, v5, v3, vcc
	v_add_co_u32_e32 v24, vcc, v24, v1
	v_accvgpr_read_b32 v6, a22
	v_addc_co_u32_e32 v25, vcc, v25, v3, vcc
	v_sub_u32_e32 v30, v30, v6
	v_cmp_gt_i32_e32 vcc, 1, v30
	global_store_dwordx4 v[42:43], v[32:35], off glc slc
	global_store_dwordx4 v[42:43], v[14:17], off offset:1024 glc slc
	s_or_b64 s[62:63], vcc, s[62:63]
	v_add_co_u32_e32 v42, vcc, v42, v1
	v_addc_co_u32_e32 v43, vcc, v43, v3, vcc
	s_andn2_b64 exec, exec, s[62:63]
	s_cbranch_execz .LBB2_1270
.LBB2_468:                              ;   Parent Loop BB2_47 Depth=1
                                        ;     Parent Loop BB2_271 Depth=2
                                        ;       Parent Loop BB2_274 Depth=3
                                        ; =>      This Inner Loop Header: Depth=4
	global_load_dwordx4 v[20:23], v[4:5], off glc slc
	global_load_dwordx4 v[12:15], v[4:5], off offset:1024 glc slc
	global_load_dwordx4 v[16:19], v[24:25], off glc slc
	global_load_dwordx4 v[8:11], v[24:25], off offset:1024 glc slc
	v_mov_b32_e32 v1, 0
	v_mov_b32_e32 v3, 0
	s_waitcnt vmcnt(0)
	v_cmp_ne_u16_sdwa vcc, v20, v61 src0_sel:BYTE_0 src1_sel:DWORD
	s_and_saveexec_b64 s[28:29], vcc
	s_cbranch_execz .LBB2_474
; %bb.469:                              ;   in Loop: Header=BB2_468 Depth=4
	v_cmp_ne_u16_sdwa vcc, v20, s91 src0_sel:BYTE_0 src1_sel:DWORD
	v_bfrev_b32_e32 v3, 1
	s_and_saveexec_b64 s[64:65], vcc
	s_cbranch_execz .LBB2_473
; %bb.470:                              ;   in Loop: Header=BB2_468 Depth=4
	v_and_b32_e32 v6, 0x7f, v20
	v_cmp_ne_u32_e32 vcc, s92, v6
	v_mov_b32_e32 v3, 0x7f800001
	s_and_saveexec_b64 s[66:67], vcc
	s_cbranch_execz .LBB2_472
; %bb.471:                              ;   in Loop: Header=BB2_468 Depth=4
	v_and_b32_e32 v3, 7, v20
	v_ffbh_u32_e32 v3, v3
	v_min_u32_e32 v3, 32, v3
	v_subrev_u32_e32 v27, 28, v3
	v_cmp_gt_u32_e32 vcc, 8, v6
	v_lshrrev_b32_e32 v26, 3, v6
	v_sub_u32_e32 v3, 29, v3
	v_cndmask_b32_e32 v6, 0, v27, vcc
	v_cndmask_b32_e32 v3, v26, v3, vcc
	v_lshlrev_b64 v[26:27], v6, v[20:21]
	v_lshlrev_b32_e32 v6, 20, v26
	v_lshlrev_b32_e32 v26, 24, v20
	v_and_b32_e32 v6, 0x700000, v6
	v_and_b32_e32 v26, 0x80000000, v26
	v_lshl_add_u32 v3, v3, 23, v0
	v_or3_b32 v3, v26, v3, v6
.LBB2_472:                              ;   in Loop: Header=BB2_468 Depth=4
	s_or_b64 exec, exec, s[66:67]
.LBB2_473:                              ;   in Loop: Header=BB2_468 Depth=4
	s_or_b64 exec, exec, s[64:65]
.LBB2_474:                              ;   in Loop: Header=BB2_468 Depth=4
	s_or_b64 exec, exec, s[28:29]
	v_cmp_ne_u16_sdwa vcc, v16, v61 src0_sel:BYTE_0 src1_sel:DWORD
	s_and_saveexec_b64 s[28:29], vcc
	s_cbranch_execz .LBB2_480
; %bb.475:                              ;   in Loop: Header=BB2_468 Depth=4
	v_cmp_ne_u16_sdwa vcc, v16, s91 src0_sel:BYTE_0 src1_sel:DWORD
	v_bfrev_b32_e32 v1, 1
	s_and_saveexec_b64 s[64:65], vcc
	s_cbranch_execz .LBB2_479
; %bb.476:                              ;   in Loop: Header=BB2_468 Depth=4
	v_and_b32_e32 v6, 0x7f, v16
	v_cmp_ne_u32_e32 vcc, s92, v6
	v_mov_b32_e32 v1, 0x7f800001
	s_and_saveexec_b64 s[66:67], vcc
	s_cbranch_execz .LBB2_478
; %bb.477:                              ;   in Loop: Header=BB2_468 Depth=4
	v_and_b32_e32 v1, 7, v16
	v_ffbh_u32_e32 v1, v1
	v_min_u32_e32 v1, 32, v1
	v_subrev_u32_e32 v27, 28, v1
	v_cmp_gt_u32_e32 vcc, 8, v6
	v_lshrrev_b32_e32 v26, 3, v6
	v_sub_u32_e32 v1, 29, v1
	v_cndmask_b32_e32 v6, 0, v27, vcc
	v_cndmask_b32_e32 v1, v26, v1, vcc
	v_lshlrev_b64 v[26:27], v6, v[16:17]
	v_lshlrev_b32_e32 v6, 20, v26
	v_lshlrev_b32_e32 v26, 24, v16
	v_and_b32_e32 v6, 0x700000, v6
	v_and_b32_e32 v26, 0x80000000, v26
	v_lshl_add_u32 v1, v1, 23, v0
	v_or3_b32 v1, v26, v1, v6
.LBB2_478:                              ;   in Loop: Header=BB2_468 Depth=4
	s_or_b64 exec, exec, s[66:67]
.LBB2_479:                              ;   in Loop: Header=BB2_468 Depth=4
	s_or_b64 exec, exec, s[64:65]
.LBB2_480:                              ;   in Loop: Header=BB2_468 Depth=4
	s_or_b64 exec, exec, s[28:29]
	v_add_f32_e32 v3, v3, v1
	v_and_b32_sdwa v1, v3, s91 dst_sel:DWORD dst_unused:UNUSED_PAD src0_sel:BYTE_3 src1_sel:DWORD
	v_and_b32_e32 v26, 0x7f800000, v3
	v_mov_b32_e32 v27, v61
	v_and_b32_e32 v60, 0x7fffff, v3
	v_or_b32_e32 v56, 0x7e, v1
	v_cmp_ne_u64_e32 vcc, s[54:55], v[26:27]
	s_and_saveexec_b64 s[28:29], vcc
	s_xor_b64 s[64:65], exec, s[28:29]
	s_cbranch_execz .LBB2_490
; %bb.481:                              ;   in Loop: Header=BB2_468 Depth=4
	v_and_b32_e32 v26, 0x7fffffff, v3
	v_mov_b32_e32 v27, v61
	v_cmp_gt_u64_e32 vcc, s[56:57], v[26:27]
	s_and_saveexec_b64 s[66:67], vcc
	s_cbranch_execz .LBB2_489
; %bb.482:                              ;   in Loop: Header=BB2_468 Depth=4
	v_cmp_ne_u32_e32 vcc, 0, v3
	v_mov_b32_e32 v56, 0
	s_and_saveexec_b64 s[68:69], vcc
	s_cbranch_execz .LBB2_488
; %bb.483:                              ;   in Loop: Header=BB2_468 Depth=4
	v_bfe_u32 v3, v3, 23, 8
	v_sub_u32_e32 v26, 0x79, v3
	v_cmp_gt_u32_e32 vcc, s93, v3
	v_add_u32_e32 v6, 0xffffff81, v3
	v_cndmask_b32_e32 v26, 0, v26, vcc
	v_cmp_eq_u32_e32 vcc, 0, v3
	v_mov_b32_e32 v3, 0xffffff82
	v_cndmask_b32_e32 v3, v6, v3, vcc
	v_mov_b32_e32 v6, 0x78
	v_cndmask_b32_e32 v6, v26, v6, vcc
	v_or_b32_e32 v27, 0x800000, v60
	v_add_u32_e32 v26, 20, v6
	v_cndmask_b32_e32 v60, v27, v60, vcc
	v_lshlrev_b64 v[26:27], v26, -1
	v_not_b32_e32 v26, v26
	v_and_b32_e32 v28, v60, v26
	v_add_u32_e32 v26, 19, v6
	v_lshrrev_b64 v[34:35], v6, v[60:61]
	v_not_b32_e32 v27, v27
	v_lshlrev_b64 v[32:33], v26, 1
	v_lshrrev_b32_e32 v26, 23, v34
	v_and_b32_e32 v29, 0, v27
	v_add3_u32 v26, v6, v3, v26
	v_bfe_u32 v3, v34, 20, 1
	v_add_u32_e32 v3, -1, v3
	v_cmp_eq_u64_e32 vcc, v[28:29], v[32:33]
	v_cndmask_b32_e32 v3, 0, v3, vcc
	v_add_u32_e32 v3, v3, v34
	v_and_b32_e32 v3, 0xfffff, v3
	v_add_co_u32_e32 v52, vcc, v3, v34
	v_add_u32_e32 v6, 6, v26
	v_addc_co_u32_e32 v53, vcc, 0, v35, vcc
	v_cmp_ne_u32_e32 vcc, 0, v6
                                        ; implicit-def: $vgpr3
	s_and_saveexec_b64 s[28:29], vcc
	s_xor_b64 s[28:29], exec, s[28:29]
; %bb.484:                              ;   in Loop: Header=BB2_468 Depth=4
	v_add_u32_e32 v3, 7, v26
	v_cmp_lt_u64_e32 vcc, s[58:59], v[52:53]
	v_cndmask_b32_e32 v3, v6, v3, vcc
	v_cndmask_b32_e64 v6, 0, 1, vcc
	v_lshrrev_b64 v[52:53], v6, v[52:53]
; %bb.485:                              ;   in Loop: Header=BB2_468 Depth=4
	s_andn2_saveexec_b64 s[28:29], s[28:29]
; %bb.486:                              ;   in Loop: Header=BB2_468 Depth=4
	v_bfe_u32 v3, v52, 23, 1
; %bb.487:                              ;   in Loop: Header=BB2_468 Depth=4
	s_or_b64 exec, exec, s[28:29]
	v_lshrrev_b64 v[26:27], 20, v[52:53]
	v_cmp_gt_i32_e32 vcc, 16, v3
	v_cndmask_b32_e32 v27, 0, v27, vcc
	v_cndmask_b32_e32 v26, 7, v26, vcc
	v_cmp_eq_u32_e32 vcc, 0, v3
	v_min_i32_e32 v3, 15, v3
	v_cmp_eq_u64_e64 s[28:29], 0, v[26:27]
	v_lshlrev_b32_e32 v3, 3, v3
	v_and_or_b32 v3, v26, 7, v3
	s_and_b64 s[28:29], vcc, s[28:29]
	v_cndmask_b32_e64 v3, v3, 0, s[28:29]
	v_or_b32_e32 v56, v3, v1
.LBB2_488:                              ;   in Loop: Header=BB2_468 Depth=4
	s_or_b64 exec, exec, s[68:69]
.LBB2_489:                              ;   in Loop: Header=BB2_468 Depth=4
	s_or_b64 exec, exec, s[66:67]
                                        ; implicit-def: $vgpr3
.LBB2_490:                              ;   in Loop: Header=BB2_468 Depth=4
	s_andn2_saveexec_b64 s[28:29], s[64:65]
; %bb.491:                              ;   in Loop: Header=BB2_468 Depth=4
	v_or_b32_sdwa v1, v3, s92 dst_sel:DWORD dst_unused:UNUSED_PAD src0_sel:BYTE_3 src1_sel:DWORD
	v_cmp_eq_u64_e32 vcc, 0, v[60:61]
	v_cndmask_b32_e32 v56, v1, v56, vcc
; %bb.492:                              ;   in Loop: Header=BB2_468 Depth=4
	s_or_b64 exec, exec, s[28:29]
	v_lshrrev_b16_e32 v52, 8, v20
	v_cmp_ne_u16_e32 vcc, 0, v52
	v_mov_b32_e32 v1, 0
	v_mov_b32_e32 v3, 0
	s_and_saveexec_b64 s[28:29], vcc
	s_cbranch_execz .LBB2_498
; %bb.493:                              ;   in Loop: Header=BB2_468 Depth=4
	v_cmp_ne_u16_e32 vcc, s91, v52
	v_bfrev_b32_e32 v3, 1
	s_and_saveexec_b64 s[64:65], vcc
	s_cbranch_execz .LBB2_497
; %bb.494:                              ;   in Loop: Header=BB2_468 Depth=4
	v_and_b32_e32 v6, 0x7f, v52
	v_cmp_ne_u32_e32 vcc, s92, v6
	v_mov_b32_e32 v3, 0x7f800001
	s_and_saveexec_b64 s[66:67], vcc
	s_cbranch_execz .LBB2_496
; %bb.495:                              ;   in Loop: Header=BB2_468 Depth=4
	v_and_b32_e32 v3, 7, v52
	v_ffbh_u32_e32 v26, v3
	v_min_u32_e32 v29, 32, v26
	v_subrev_u32_e32 v26, 28, v29
	v_lshlrev_b64 v[26:27], v26, v[52:53]
	v_lshrrev_b32_e32 v28, 3, v6
	v_sub_u32_e32 v27, 29, v29
	v_and_b32_e32 v26, 7, v26
	v_cmp_gt_u32_e32 vcc, 8, v6
	v_cndmask_b32_e32 v6, v28, v27, vcc
	v_cndmask_b32_e32 v3, v3, v26, vcc
	v_lshlrev_b32_e32 v26, 16, v20
	v_lshlrev_b32_e32 v3, 20, v3
	v_and_b32_e32 v26, 0x80000000, v26
	v_lshl_add_u32 v6, v6, 23, v0
	v_or3_b32 v3, v26, v6, v3
.LBB2_496:                              ;   in Loop: Header=BB2_468 Depth=4
	s_or_b64 exec, exec, s[66:67]
.LBB2_497:                              ;   in Loop: Header=BB2_468 Depth=4
	s_or_b64 exec, exec, s[64:65]
.LBB2_498:                              ;   in Loop: Header=BB2_468 Depth=4
	s_or_b64 exec, exec, s[28:29]
	v_lshrrev_b16_e32 v52, 8, v16
	v_cmp_ne_u16_e32 vcc, 0, v52
	s_and_saveexec_b64 s[28:29], vcc
	s_cbranch_execz .LBB2_504
; %bb.499:                              ;   in Loop: Header=BB2_468 Depth=4
	v_cmp_ne_u16_e32 vcc, s91, v52
	v_bfrev_b32_e32 v1, 1
	s_and_saveexec_b64 s[64:65], vcc
	s_cbranch_execz .LBB2_503
; %bb.500:                              ;   in Loop: Header=BB2_468 Depth=4
	v_and_b32_e32 v6, 0x7f, v52
	v_cmp_ne_u32_e32 vcc, s92, v6
	v_mov_b32_e32 v1, 0x7f800001
	s_and_saveexec_b64 s[66:67], vcc
	s_cbranch_execz .LBB2_502
; %bb.501:                              ;   in Loop: Header=BB2_468 Depth=4
	v_and_b32_e32 v1, 7, v52
	v_ffbh_u32_e32 v26, v1
	v_min_u32_e32 v29, 32, v26
	v_subrev_u32_e32 v26, 28, v29
	v_lshlrev_b64 v[26:27], v26, v[52:53]
	v_lshrrev_b32_e32 v28, 3, v6
	v_sub_u32_e32 v27, 29, v29
	v_and_b32_e32 v26, 7, v26
	v_cmp_gt_u32_e32 vcc, 8, v6
	v_cndmask_b32_e32 v6, v28, v27, vcc
	v_cndmask_b32_e32 v1, v1, v26, vcc
	v_lshlrev_b32_e32 v26, 16, v16
	v_lshlrev_b32_e32 v1, 20, v1
	v_and_b32_e32 v26, 0x80000000, v26
	v_lshl_add_u32 v6, v6, 23, v0
	v_or3_b32 v1, v26, v6, v1
.LBB2_502:                              ;   in Loop: Header=BB2_468 Depth=4
	s_or_b64 exec, exec, s[66:67]
.LBB2_503:                              ;   in Loop: Header=BB2_468 Depth=4
	s_or_b64 exec, exec, s[64:65]
.LBB2_504:                              ;   in Loop: Header=BB2_468 Depth=4
	s_or_b64 exec, exec, s[28:29]
	v_add_f32_e32 v3, v3, v1
	v_and_b32_sdwa v1, v3, s91 dst_sel:DWORD dst_unused:UNUSED_PAD src0_sel:BYTE_3 src1_sel:DWORD
	v_and_b32_e32 v26, 0x7f800000, v3
	v_mov_b32_e32 v27, v61
	v_and_b32_e32 v60, 0x7fffff, v3
	v_or_b32_e32 v46, 0x7e, v1
	v_cmp_ne_u64_e32 vcc, s[54:55], v[26:27]
	s_and_saveexec_b64 s[28:29], vcc
	s_xor_b64 s[64:65], exec, s[28:29]
	s_cbranch_execz .LBB2_514
; %bb.505:                              ;   in Loop: Header=BB2_468 Depth=4
	v_and_b32_e32 v26, 0x7fffffff, v3
	v_mov_b32_e32 v27, v61
	v_cmp_gt_u64_e32 vcc, s[56:57], v[26:27]
	s_and_saveexec_b64 s[66:67], vcc
	s_cbranch_execz .LBB2_513
; %bb.506:                              ;   in Loop: Header=BB2_468 Depth=4
	v_cmp_ne_u32_e32 vcc, 0, v3
	v_mov_b32_e32 v46, 0
	s_and_saveexec_b64 s[68:69], vcc
	s_cbranch_execz .LBB2_512
; %bb.507:                              ;   in Loop: Header=BB2_468 Depth=4
	v_bfe_u32 v3, v3, 23, 8
	v_sub_u32_e32 v26, 0x79, v3
	v_cmp_gt_u32_e32 vcc, s93, v3
	v_add_u32_e32 v6, 0xffffff81, v3
	v_cndmask_b32_e32 v26, 0, v26, vcc
	v_cmp_eq_u32_e32 vcc, 0, v3
	v_mov_b32_e32 v3, 0xffffff82
	v_cndmask_b32_e32 v3, v6, v3, vcc
	v_mov_b32_e32 v6, 0x78
	v_cndmask_b32_e32 v6, v26, v6, vcc
	v_or_b32_e32 v27, 0x800000, v60
	v_add_u32_e32 v26, 20, v6
	v_cndmask_b32_e32 v60, v27, v60, vcc
	v_lshlrev_b64 v[26:27], v26, -1
	v_not_b32_e32 v26, v26
	v_and_b32_e32 v28, v60, v26
	v_add_u32_e32 v26, 19, v6
	v_lshrrev_b64 v[34:35], v6, v[60:61]
	v_not_b32_e32 v27, v27
	v_lshlrev_b64 v[32:33], v26, 1
	v_lshrrev_b32_e32 v26, 23, v34
	v_and_b32_e32 v29, 0, v27
	v_add3_u32 v26, v6, v3, v26
	v_bfe_u32 v3, v34, 20, 1
	v_add_u32_e32 v3, -1, v3
	v_cmp_eq_u64_e32 vcc, v[28:29], v[32:33]
	v_cndmask_b32_e32 v3, 0, v3, vcc
	v_add_u32_e32 v3, v3, v34
	v_and_b32_e32 v3, 0xfffff, v3
	v_add_co_u32_e32 v52, vcc, v3, v34
	v_add_u32_e32 v6, 6, v26
	v_addc_co_u32_e32 v53, vcc, 0, v35, vcc
	v_cmp_ne_u32_e32 vcc, 0, v6
                                        ; implicit-def: $vgpr3
	s_and_saveexec_b64 s[28:29], vcc
	s_xor_b64 s[28:29], exec, s[28:29]
; %bb.508:                              ;   in Loop: Header=BB2_468 Depth=4
	v_add_u32_e32 v3, 7, v26
	v_cmp_lt_u64_e32 vcc, s[58:59], v[52:53]
	v_cndmask_b32_e32 v3, v6, v3, vcc
	v_cndmask_b32_e64 v6, 0, 1, vcc
	v_lshrrev_b64 v[52:53], v6, v[52:53]
; %bb.509:                              ;   in Loop: Header=BB2_468 Depth=4
	s_andn2_saveexec_b64 s[28:29], s[28:29]
; %bb.510:                              ;   in Loop: Header=BB2_468 Depth=4
	v_bfe_u32 v3, v52, 23, 1
; %bb.511:                              ;   in Loop: Header=BB2_468 Depth=4
	s_or_b64 exec, exec, s[28:29]
	v_lshrrev_b64 v[26:27], 20, v[52:53]
	v_cmp_gt_i32_e32 vcc, 16, v3
	v_cndmask_b32_e32 v27, 0, v27, vcc
	v_cndmask_b32_e32 v26, 7, v26, vcc
	v_cmp_eq_u32_e32 vcc, 0, v3
	v_min_i32_e32 v3, 15, v3
	v_cmp_eq_u64_e64 s[28:29], 0, v[26:27]
	v_lshlrev_b32_e32 v3, 3, v3
	v_and_or_b32 v3, v26, 7, v3
	s_and_b64 s[28:29], vcc, s[28:29]
	v_cndmask_b32_e64 v3, v3, 0, s[28:29]
	v_or_b32_e32 v46, v3, v1
.LBB2_512:                              ;   in Loop: Header=BB2_468 Depth=4
	s_or_b64 exec, exec, s[68:69]
.LBB2_513:                              ;   in Loop: Header=BB2_468 Depth=4
	s_or_b64 exec, exec, s[66:67]
                                        ; implicit-def: $vgpr3
.LBB2_514:                              ;   in Loop: Header=BB2_468 Depth=4
	s_andn2_saveexec_b64 s[28:29], s[64:65]
; %bb.515:                              ;   in Loop: Header=BB2_468 Depth=4
	v_or_b32_sdwa v1, v3, s92 dst_sel:DWORD dst_unused:UNUSED_PAD src0_sel:BYTE_3 src1_sel:DWORD
	v_cmp_eq_u64_e32 vcc, 0, v[60:61]
	v_cndmask_b32_e32 v46, v1, v46, vcc
; %bb.516:                              ;   in Loop: Header=BB2_468 Depth=4
	s_or_b64 exec, exec, s[28:29]
	v_lshrrev_b32_e32 v52, 16, v20
	v_cmp_ne_u16_sdwa vcc, v52, v61 src0_sel:BYTE_0 src1_sel:DWORD
	v_mov_b32_e32 v1, 0
	v_mov_b32_e32 v3, 0
	s_and_saveexec_b64 s[28:29], vcc
	s_cbranch_execz .LBB2_522
; %bb.517:                              ;   in Loop: Header=BB2_468 Depth=4
	v_cmp_ne_u16_sdwa vcc, v52, s91 src0_sel:BYTE_0 src1_sel:DWORD
	v_bfrev_b32_e32 v3, 1
	s_and_saveexec_b64 s[64:65], vcc
	s_cbranch_execz .LBB2_521
; %bb.518:                              ;   in Loop: Header=BB2_468 Depth=4
	v_bfe_u32 v6, v20, 16, 7
	v_cmp_ne_u32_e32 vcc, s92, v6
	v_mov_b32_e32 v3, 0x7f800001
	s_and_saveexec_b64 s[66:67], vcc
	s_cbranch_execz .LBB2_520
; %bb.519:                              ;   in Loop: Header=BB2_468 Depth=4
	v_and_b32_e32 v3, 7, v52
	v_ffbh_u32_e32 v26, v3
	v_min_u32_e32 v29, 32, v26
	v_subrev_u32_e32 v26, 28, v29
	v_lshlrev_b64 v[26:27], v26, v[52:53]
	v_lshrrev_b32_e32 v28, 3, v6
	v_sub_u32_e32 v27, 29, v29
	v_and_b32_e32 v26, 7, v26
	v_cmp_gt_u32_e32 vcc, 8, v6
	v_cndmask_b32_e32 v6, v28, v27, vcc
	v_cndmask_b32_e32 v3, v3, v26, vcc
	v_lshlrev_b32_e32 v26, 24, v52
	v_lshlrev_b32_e32 v3, 20, v3
	v_and_b32_e32 v26, 0x80000000, v26
	v_lshl_add_u32 v6, v6, 23, v0
	v_or3_b32 v3, v26, v6, v3
.LBB2_520:                              ;   in Loop: Header=BB2_468 Depth=4
	s_or_b64 exec, exec, s[66:67]
.LBB2_521:                              ;   in Loop: Header=BB2_468 Depth=4
	s_or_b64 exec, exec, s[64:65]
.LBB2_522:                              ;   in Loop: Header=BB2_468 Depth=4
	s_or_b64 exec, exec, s[28:29]
	v_lshrrev_b32_e32 v52, 16, v16
	v_cmp_ne_u16_sdwa vcc, v52, v61 src0_sel:BYTE_0 src1_sel:DWORD
	s_and_saveexec_b64 s[28:29], vcc
	s_cbranch_execz .LBB2_528
; %bb.523:                              ;   in Loop: Header=BB2_468 Depth=4
	v_cmp_ne_u16_sdwa vcc, v52, s91 src0_sel:BYTE_0 src1_sel:DWORD
	v_bfrev_b32_e32 v1, 1
	s_and_saveexec_b64 s[64:65], vcc
	s_cbranch_execz .LBB2_527
; %bb.524:                              ;   in Loop: Header=BB2_468 Depth=4
	v_bfe_u32 v6, v16, 16, 7
	v_cmp_ne_u32_e32 vcc, s92, v6
	v_mov_b32_e32 v1, 0x7f800001
	s_and_saveexec_b64 s[66:67], vcc
	s_cbranch_execz .LBB2_526
; %bb.525:                              ;   in Loop: Header=BB2_468 Depth=4
	v_and_b32_e32 v1, 7, v52
	v_ffbh_u32_e32 v26, v1
	v_min_u32_e32 v29, 32, v26
	v_subrev_u32_e32 v26, 28, v29
	v_lshlrev_b64 v[26:27], v26, v[52:53]
	v_lshrrev_b32_e32 v28, 3, v6
	v_sub_u32_e32 v27, 29, v29
	v_and_b32_e32 v26, 7, v26
	v_cmp_gt_u32_e32 vcc, 8, v6
	v_cndmask_b32_e32 v6, v28, v27, vcc
	v_cndmask_b32_e32 v1, v1, v26, vcc
	v_lshlrev_b32_e32 v26, 8, v16
	v_lshlrev_b32_e32 v1, 20, v1
	v_and_b32_e32 v26, 0x80000000, v26
	v_lshl_add_u32 v6, v6, 23, v0
	v_or3_b32 v1, v26, v6, v1
.LBB2_526:                              ;   in Loop: Header=BB2_468 Depth=4
	s_or_b64 exec, exec, s[66:67]
.LBB2_527:                              ;   in Loop: Header=BB2_468 Depth=4
	s_or_b64 exec, exec, s[64:65]
.LBB2_528:                              ;   in Loop: Header=BB2_468 Depth=4
	s_or_b64 exec, exec, s[28:29]
	v_add_f32_e32 v3, v3, v1
	v_and_b32_sdwa v1, v3, s91 dst_sel:DWORD dst_unused:UNUSED_PAD src0_sel:BYTE_3 src1_sel:DWORD
	v_and_b32_e32 v26, 0x7f800000, v3
	v_mov_b32_e32 v27, v61
	v_and_b32_e32 v60, 0x7fffff, v3
	v_or_b32_e32 v47, 0x7e, v1
	v_cmp_ne_u64_e32 vcc, s[54:55], v[26:27]
	s_and_saveexec_b64 s[28:29], vcc
	s_xor_b64 s[64:65], exec, s[28:29]
	s_cbranch_execz .LBB2_538
; %bb.529:                              ;   in Loop: Header=BB2_468 Depth=4
	v_and_b32_e32 v26, 0x7fffffff, v3
	v_mov_b32_e32 v27, v61
	v_cmp_gt_u64_e32 vcc, s[56:57], v[26:27]
	s_and_saveexec_b64 s[66:67], vcc
	s_cbranch_execz .LBB2_537
; %bb.530:                              ;   in Loop: Header=BB2_468 Depth=4
	v_cmp_ne_u32_e32 vcc, 0, v3
	v_mov_b32_e32 v47, 0
	s_and_saveexec_b64 s[68:69], vcc
	s_cbranch_execz .LBB2_536
; %bb.531:                              ;   in Loop: Header=BB2_468 Depth=4
	v_bfe_u32 v3, v3, 23, 8
	v_sub_u32_e32 v26, 0x79, v3
	v_cmp_gt_u32_e32 vcc, s93, v3
	v_add_u32_e32 v6, 0xffffff81, v3
	v_cndmask_b32_e32 v26, 0, v26, vcc
	v_cmp_eq_u32_e32 vcc, 0, v3
	v_mov_b32_e32 v3, 0xffffff82
	v_cndmask_b32_e32 v3, v6, v3, vcc
	v_mov_b32_e32 v6, 0x78
	v_cndmask_b32_e32 v6, v26, v6, vcc
	v_or_b32_e32 v27, 0x800000, v60
	v_add_u32_e32 v26, 20, v6
	v_cndmask_b32_e32 v60, v27, v60, vcc
	v_lshlrev_b64 v[26:27], v26, -1
	v_not_b32_e32 v26, v26
	v_and_b32_e32 v28, v60, v26
	v_add_u32_e32 v26, 19, v6
	v_lshrrev_b64 v[34:35], v6, v[60:61]
	v_not_b32_e32 v27, v27
	v_lshlrev_b64 v[32:33], v26, 1
	v_lshrrev_b32_e32 v26, 23, v34
	v_and_b32_e32 v29, 0, v27
	v_add3_u32 v26, v6, v3, v26
	v_bfe_u32 v3, v34, 20, 1
	v_add_u32_e32 v3, -1, v3
	v_cmp_eq_u64_e32 vcc, v[28:29], v[32:33]
	v_cndmask_b32_e32 v3, 0, v3, vcc
	v_add_u32_e32 v3, v3, v34
	v_and_b32_e32 v3, 0xfffff, v3
	v_add_co_u32_e32 v52, vcc, v3, v34
	v_add_u32_e32 v6, 6, v26
	v_addc_co_u32_e32 v53, vcc, 0, v35, vcc
	v_cmp_ne_u32_e32 vcc, 0, v6
                                        ; implicit-def: $vgpr3
	s_and_saveexec_b64 s[28:29], vcc
	s_xor_b64 s[28:29], exec, s[28:29]
; %bb.532:                              ;   in Loop: Header=BB2_468 Depth=4
	v_add_u32_e32 v3, 7, v26
	v_cmp_lt_u64_e32 vcc, s[58:59], v[52:53]
	v_cndmask_b32_e32 v3, v6, v3, vcc
	v_cndmask_b32_e64 v6, 0, 1, vcc
	v_lshrrev_b64 v[52:53], v6, v[52:53]
; %bb.533:                              ;   in Loop: Header=BB2_468 Depth=4
	s_andn2_saveexec_b64 s[28:29], s[28:29]
; %bb.534:                              ;   in Loop: Header=BB2_468 Depth=4
	v_bfe_u32 v3, v52, 23, 1
; %bb.535:                              ;   in Loop: Header=BB2_468 Depth=4
	s_or_b64 exec, exec, s[28:29]
	v_lshrrev_b64 v[26:27], 20, v[52:53]
	v_cmp_gt_i32_e32 vcc, 16, v3
	v_cndmask_b32_e32 v27, 0, v27, vcc
	v_cndmask_b32_e32 v26, 7, v26, vcc
	v_cmp_eq_u32_e32 vcc, 0, v3
	v_min_i32_e32 v3, 15, v3
	v_cmp_eq_u64_e64 s[28:29], 0, v[26:27]
	v_lshlrev_b32_e32 v3, 3, v3
	v_and_or_b32 v3, v26, 7, v3
	s_and_b64 s[28:29], vcc, s[28:29]
	v_cndmask_b32_e64 v3, v3, 0, s[28:29]
	v_or_b32_e32 v47, v3, v1
.LBB2_536:                              ;   in Loop: Header=BB2_468 Depth=4
	s_or_b64 exec, exec, s[68:69]
.LBB2_537:                              ;   in Loop: Header=BB2_468 Depth=4
	s_or_b64 exec, exec, s[66:67]
                                        ; implicit-def: $vgpr3
.LBB2_538:                              ;   in Loop: Header=BB2_468 Depth=4
	s_andn2_saveexec_b64 s[28:29], s[64:65]
; %bb.539:                              ;   in Loop: Header=BB2_468 Depth=4
	v_or_b32_sdwa v1, v3, s92 dst_sel:DWORD dst_unused:UNUSED_PAD src0_sel:BYTE_3 src1_sel:DWORD
	v_cmp_eq_u64_e32 vcc, 0, v[60:61]
	v_cndmask_b32_e32 v47, v1, v47, vcc
; %bb.540:                              ;   in Loop: Header=BB2_468 Depth=4
	s_or_b64 exec, exec, s[28:29]
	v_cmp_lt_u32_e32 vcc, s45, v20
	v_mov_b32_e32 v1, 0
	v_mov_b32_e32 v3, 0
	s_and_saveexec_b64 s[28:29], vcc
	s_cbranch_execz .LBB2_546
; %bb.541:                              ;   in Loop: Header=BB2_468 Depth=4
	v_lshrrev_b32_e32 v52, 24, v20
	v_cmp_ne_u32_e32 vcc, s91, v52
	v_bfrev_b32_e32 v3, 1
	s_and_saveexec_b64 s[64:65], vcc
	s_cbranch_execz .LBB2_545
; %bb.542:                              ;   in Loop: Header=BB2_468 Depth=4
	v_bfe_u32 v6, v20, 24, 7
	v_cmp_ne_u32_e32 vcc, s92, v6
	v_mov_b32_e32 v3, 0x7f800001
	s_and_saveexec_b64 s[66:67], vcc
	s_cbranch_execz .LBB2_544
; %bb.543:                              ;   in Loop: Header=BB2_468 Depth=4
	v_and_b32_e32 v3, 7, v52
	v_ffbh_u32_e32 v26, v3
	v_min_u32_e32 v29, 32, v26
	v_subrev_u32_e32 v26, 28, v29
	v_lshlrev_b64 v[26:27], v26, v[52:53]
	v_lshrrev_b32_e32 v28, 3, v6
	v_sub_u32_e32 v27, 29, v29
	v_and_b32_e32 v26, 7, v26
	v_cmp_gt_u32_e32 vcc, 8, v6
	v_cndmask_b32_e32 v6, v28, v27, vcc
	v_cndmask_b32_e32 v3, v3, v26, vcc
	v_lshlrev_b32_e32 v26, 24, v52
	v_lshlrev_b32_e32 v3, 20, v3
	v_and_b32_e32 v26, 0x80000000, v26
	v_lshl_add_u32 v6, v6, 23, v0
	v_or3_b32 v3, v26, v6, v3
.LBB2_544:                              ;   in Loop: Header=BB2_468 Depth=4
	s_or_b64 exec, exec, s[66:67]
.LBB2_545:                              ;   in Loop: Header=BB2_468 Depth=4
	s_or_b64 exec, exec, s[64:65]
.LBB2_546:                              ;   in Loop: Header=BB2_468 Depth=4
	s_or_b64 exec, exec, s[28:29]
	v_cmp_lt_u32_e32 vcc, s45, v16
	s_and_saveexec_b64 s[28:29], vcc
	s_cbranch_execz .LBB2_552
; %bb.547:                              ;   in Loop: Header=BB2_468 Depth=4
	v_lshrrev_b32_e32 v52, 24, v16
	v_cmp_ne_u32_e32 vcc, s91, v52
	v_bfrev_b32_e32 v1, 1
	s_and_saveexec_b64 s[64:65], vcc
	s_cbranch_execz .LBB2_551
; %bb.548:                              ;   in Loop: Header=BB2_468 Depth=4
	v_bfe_u32 v6, v16, 24, 7
	v_cmp_ne_u32_e32 vcc, s92, v6
	v_mov_b32_e32 v1, 0x7f800001
	s_and_saveexec_b64 s[66:67], vcc
	s_cbranch_execz .LBB2_550
; %bb.549:                              ;   in Loop: Header=BB2_468 Depth=4
	v_and_b32_e32 v1, 7, v52
	v_ffbh_u32_e32 v26, v1
	v_min_u32_e32 v29, 32, v26
	v_subrev_u32_e32 v26, 28, v29
	v_lshlrev_b64 v[26:27], v26, v[52:53]
	v_lshrrev_b32_e32 v28, 3, v6
	v_sub_u32_e32 v27, 29, v29
	v_and_b32_e32 v26, 7, v26
	v_cmp_gt_u32_e32 vcc, 8, v6
	v_cndmask_b32_e32 v6, v28, v27, vcc
	v_cndmask_b32_e32 v1, v1, v26, vcc
	v_lshlrev_b32_e32 v26, 24, v52
	v_lshlrev_b32_e32 v1, 20, v1
	v_and_b32_e32 v26, 0x80000000, v26
	v_lshl_add_u32 v6, v6, 23, v0
	v_or3_b32 v1, v26, v6, v1
.LBB2_550:                              ;   in Loop: Header=BB2_468 Depth=4
	s_or_b64 exec, exec, s[66:67]
.LBB2_551:                              ;   in Loop: Header=BB2_468 Depth=4
	s_or_b64 exec, exec, s[64:65]
.LBB2_552:                              ;   in Loop: Header=BB2_468 Depth=4
	s_or_b64 exec, exec, s[28:29]
	v_add_f32_e32 v3, v3, v1
	v_and_b32_sdwa v1, v3, s91 dst_sel:DWORD dst_unused:UNUSED_PAD src0_sel:BYTE_3 src1_sel:DWORD
	v_and_b32_e32 v28, 0x7f800000, v3
	v_mov_b32_e32 v29, v61
	v_and_b32_e32 v60, 0x7fffff, v3
	v_or_b32_e32 v26, 0x7e, v1
	v_cmp_ne_u64_e32 vcc, s[54:55], v[28:29]
	s_and_saveexec_b64 s[28:29], vcc
	s_xor_b64 s[64:65], exec, s[28:29]
	s_cbranch_execz .LBB2_562
; %bb.553:                              ;   in Loop: Header=BB2_468 Depth=4
	v_and_b32_e32 v28, 0x7fffffff, v3
	v_mov_b32_e32 v29, v61
	v_cmp_gt_u64_e32 vcc, s[56:57], v[28:29]
	s_and_saveexec_b64 s[66:67], vcc
	s_cbranch_execz .LBB2_561
; %bb.554:                              ;   in Loop: Header=BB2_468 Depth=4
	v_cmp_ne_u32_e32 vcc, 0, v3
	v_mov_b32_e32 v26, 0
	s_and_saveexec_b64 s[68:69], vcc
	s_cbranch_execz .LBB2_560
; %bb.555:                              ;   in Loop: Header=BB2_468 Depth=4
	v_bfe_u32 v3, v3, 23, 8
	v_sub_u32_e32 v26, 0x79, v3
	v_cmp_gt_u32_e32 vcc, s93, v3
	v_add_u32_e32 v6, 0xffffff81, v3
	v_cndmask_b32_e32 v26, 0, v26, vcc
	v_cmp_eq_u32_e32 vcc, 0, v3
	v_mov_b32_e32 v3, 0xffffff82
	v_cndmask_b32_e32 v3, v6, v3, vcc
	v_mov_b32_e32 v6, 0x78
	v_cndmask_b32_e32 v6, v26, v6, vcc
	v_or_b32_e32 v27, 0x800000, v60
	v_add_u32_e32 v26, 20, v6
	v_cndmask_b32_e32 v60, v27, v60, vcc
	v_lshlrev_b64 v[26:27], v26, -1
	v_not_b32_e32 v26, v26
	v_and_b32_e32 v28, v60, v26
	v_add_u32_e32 v26, 19, v6
	v_lshrrev_b64 v[34:35], v6, v[60:61]
	v_not_b32_e32 v27, v27
	v_lshlrev_b64 v[32:33], v26, 1
	v_lshrrev_b32_e32 v26, 23, v34
	v_and_b32_e32 v29, 0, v27
	v_add3_u32 v26, v6, v3, v26
	v_bfe_u32 v3, v34, 20, 1
	v_add_u32_e32 v3, -1, v3
	v_cmp_eq_u64_e32 vcc, v[28:29], v[32:33]
	v_cndmask_b32_e32 v3, 0, v3, vcc
	v_add_u32_e32 v3, v3, v34
	v_and_b32_e32 v3, 0xfffff, v3
	v_add_co_u32_e32 v52, vcc, v3, v34
	v_add_u32_e32 v6, 6, v26
	v_addc_co_u32_e32 v53, vcc, 0, v35, vcc
	v_cmp_ne_u32_e32 vcc, 0, v6
                                        ; implicit-def: $vgpr3
	s_and_saveexec_b64 s[28:29], vcc
	s_xor_b64 s[28:29], exec, s[28:29]
; %bb.556:                              ;   in Loop: Header=BB2_468 Depth=4
	v_add_u32_e32 v3, 7, v26
	v_cmp_lt_u64_e32 vcc, s[58:59], v[52:53]
	v_cndmask_b32_e32 v3, v6, v3, vcc
	v_cndmask_b32_e64 v6, 0, 1, vcc
	v_lshrrev_b64 v[52:53], v6, v[52:53]
; %bb.557:                              ;   in Loop: Header=BB2_468 Depth=4
	s_andn2_saveexec_b64 s[28:29], s[28:29]
; %bb.558:                              ;   in Loop: Header=BB2_468 Depth=4
	v_bfe_u32 v3, v52, 23, 1
; %bb.559:                              ;   in Loop: Header=BB2_468 Depth=4
	s_or_b64 exec, exec, s[28:29]
	v_lshrrev_b64 v[26:27], 20, v[52:53]
	v_cmp_gt_i32_e32 vcc, 16, v3
	v_cndmask_b32_e32 v27, 0, v27, vcc
	v_cndmask_b32_e32 v26, 7, v26, vcc
	v_cmp_eq_u32_e32 vcc, 0, v3
	v_min_i32_e32 v3, 15, v3
	v_cmp_eq_u64_e64 s[28:29], 0, v[26:27]
	v_lshlrev_b32_e32 v3, 3, v3
	v_and_or_b32 v3, v26, 7, v3
	s_and_b64 s[28:29], vcc, s[28:29]
	v_cndmask_b32_e64 v3, v3, 0, s[28:29]
	v_or_b32_e32 v26, v3, v1
.LBB2_560:                              ;   in Loop: Header=BB2_468 Depth=4
	s_or_b64 exec, exec, s[68:69]
.LBB2_561:                              ;   in Loop: Header=BB2_468 Depth=4
	s_or_b64 exec, exec, s[66:67]
                                        ; implicit-def: $vgpr3
.LBB2_562:                              ;   in Loop: Header=BB2_468 Depth=4
	s_andn2_saveexec_b64 s[28:29], s[64:65]
; %bb.563:                              ;   in Loop: Header=BB2_468 Depth=4
	v_or_b32_sdwa v1, v3, s92 dst_sel:DWORD dst_unused:UNUSED_PAD src0_sel:BYTE_3 src1_sel:DWORD
	v_cmp_eq_u64_e32 vcc, 0, v[60:61]
	v_cndmask_b32_e32 v26, v1, v26, vcc
; %bb.564:                              ;   in Loop: Header=BB2_468 Depth=4
	s_or_b64 exec, exec, s[28:29]
	v_mov_b32_e32 v60, v21
	v_cmp_ne_u16_sdwa vcc, v21, v61 src0_sel:BYTE_0 src1_sel:DWORD
	v_mov_b32_e32 v3, 0
	v_mov_b32_e32 v1, 0
	s_and_saveexec_b64 s[28:29], vcc
	s_cbranch_execz .LBB2_570
; %bb.565:                              ;   in Loop: Header=BB2_468 Depth=4
	v_cmp_ne_u16_sdwa vcc, v21, s91 src0_sel:BYTE_0 src1_sel:DWORD
	v_bfrev_b32_e32 v1, 1
	s_and_saveexec_b64 s[64:65], vcc
	s_cbranch_execz .LBB2_569
; %bb.566:                              ;   in Loop: Header=BB2_468 Depth=4
	v_and_b32_e32 v6, 0x7f, v21
	v_cmp_ne_u32_e32 vcc, s92, v6
	v_mov_b32_e32 v1, 0x7f800001
	s_and_saveexec_b64 s[66:67], vcc
	s_cbranch_execz .LBB2_568
; %bb.567:                              ;   in Loop: Header=BB2_468 Depth=4
	v_and_b32_e32 v1, 7, v21
	v_ffbh_u32_e32 v1, v1
	v_min_u32_e32 v1, 32, v1
	v_subrev_u32_e32 v28, 28, v1
	v_cmp_gt_u32_e32 vcc, 8, v6
	v_lshrrev_b32_e32 v27, 3, v6
	v_cndmask_b32_e32 v6, 0, v28, vcc
	v_sub_u32_e32 v1, 29, v1
	v_lshlrev_b64 v[28:29], v6, v[60:61]
	v_cndmask_b32_e32 v1, v27, v1, vcc
	v_lshlrev_b32_e32 v6, 20, v28
	v_lshlrev_b32_e32 v27, 24, v60
	v_and_b32_e32 v6, 0x700000, v6
	v_and_b32_e32 v27, 0x80000000, v27
	v_lshl_add_u32 v1, v1, 23, v0
	v_or3_b32 v1, v27, v1, v6
.LBB2_568:                              ;   in Loop: Header=BB2_468 Depth=4
	s_or_b64 exec, exec, s[66:67]
.LBB2_569:                              ;   in Loop: Header=BB2_468 Depth=4
	s_or_b64 exec, exec, s[64:65]
.LBB2_570:                              ;   in Loop: Header=BB2_468 Depth=4
	s_or_b64 exec, exec, s[28:29]
	v_cmp_ne_u16_sdwa vcc, v17, v61 src0_sel:BYTE_0 src1_sel:DWORD
	s_and_saveexec_b64 s[28:29], vcc
	s_cbranch_execz .LBB2_576
; %bb.571:                              ;   in Loop: Header=BB2_468 Depth=4
	v_cmp_ne_u16_sdwa vcc, v17, s91 src0_sel:BYTE_0 src1_sel:DWORD
	v_bfrev_b32_e32 v3, 1
	s_and_saveexec_b64 s[64:65], vcc
	s_cbranch_execz .LBB2_575
; %bb.572:                              ;   in Loop: Header=BB2_468 Depth=4
	v_and_b32_e32 v6, 0x7f, v17
	v_cmp_ne_u32_e32 vcc, s92, v6
	v_mov_b32_e32 v3, 0x7f800001
	s_and_saveexec_b64 s[66:67], vcc
	s_cbranch_execz .LBB2_574
; %bb.573:                              ;   in Loop: Header=BB2_468 Depth=4
	v_and_b32_e32 v3, 7, v17
	v_ffbh_u32_e32 v3, v3
	v_min_u32_e32 v3, 32, v3
	v_subrev_u32_e32 v31, 28, v3
	v_cmp_gt_u32_e32 vcc, 8, v6
	v_mov_b32_e32 v28, v17
	v_mov_b32_e32 v29, v61
	v_lshrrev_b32_e32 v27, 3, v6
	v_cndmask_b32_e32 v6, 0, v31, vcc
	v_sub_u32_e32 v3, 29, v3
	v_lshlrev_b64 v[32:33], v6, v[28:29]
	v_cndmask_b32_e32 v3, v27, v3, vcc
	v_lshlrev_b32_e32 v6, 20, v32
	v_lshlrev_b32_e32 v27, 24, v28
	v_and_b32_e32 v6, 0x700000, v6
	v_and_b32_e32 v27, 0x80000000, v27
	v_lshl_add_u32 v3, v3, 23, v0
	v_or3_b32 v3, v27, v3, v6
.LBB2_574:                              ;   in Loop: Header=BB2_468 Depth=4
	s_or_b64 exec, exec, s[66:67]
.LBB2_575:                              ;   in Loop: Header=BB2_468 Depth=4
	s_or_b64 exec, exec, s[64:65]
.LBB2_576:                              ;   in Loop: Header=BB2_468 Depth=4
	s_or_b64 exec, exec, s[28:29]
	v_add_f32_e32 v3, v1, v3
	v_and_b32_sdwa v1, v3, s91 dst_sel:DWORD dst_unused:UNUSED_PAD src0_sel:BYTE_3 src1_sel:DWORD
	v_and_b32_e32 v28, 0x7f800000, v3
	v_mov_b32_e32 v29, v61
	v_and_b32_e32 v52, 0x7fffff, v3
	v_mov_b32_e32 v53, v61
	v_or_b32_e32 v36, 0x7e, v1
	v_cmp_ne_u64_e32 vcc, s[54:55], v[28:29]
	s_and_saveexec_b64 s[28:29], vcc
	s_xor_b64 s[64:65], exec, s[28:29]
	s_cbranch_execz .LBB2_586
; %bb.577:                              ;   in Loop: Header=BB2_468 Depth=4
	v_and_b32_e32 v28, 0x7fffffff, v3
	v_mov_b32_e32 v29, v61
	v_cmp_gt_u64_e32 vcc, s[56:57], v[28:29]
	s_and_saveexec_b64 s[66:67], vcc
	s_cbranch_execz .LBB2_585
; %bb.578:                              ;   in Loop: Header=BB2_468 Depth=4
	v_cmp_ne_u32_e32 vcc, 0, v3
	v_mov_b32_e32 v36, 0
	s_and_saveexec_b64 s[68:69], vcc
	s_cbranch_execz .LBB2_584
; %bb.579:                              ;   in Loop: Header=BB2_468 Depth=4
	v_bfe_u32 v3, v3, 23, 8
	v_sub_u32_e32 v27, 0x79, v3
	v_cmp_gt_u32_e32 vcc, s93, v3
	v_add_u32_e32 v6, 0xffffff81, v3
	v_cndmask_b32_e32 v27, 0, v27, vcc
	v_cmp_eq_u32_e32 vcc, 0, v3
	v_mov_b32_e32 v3, 0xffffff82
	v_cndmask_b32_e32 v3, v6, v3, vcc
	v_mov_b32_e32 v6, 0x78
	v_cndmask_b32_e32 v6, v27, v6, vcc
	v_or_b32_e32 v28, 0x800000, v52
	v_add_u32_e32 v27, 20, v6
	v_cndmask_b32_e32 v52, v28, v52, vcc
	v_lshlrev_b64 v[28:29], v27, -1
	v_not_b32_e32 v27, v29
	v_and_b32_e32 v29, 0, v27
	v_add_u32_e32 v27, 19, v6
	v_lshrrev_b64 v[34:35], v6, v[52:53]
	v_not_b32_e32 v28, v28
	v_lshlrev_b64 v[32:33], v27, 1
	v_lshrrev_b32_e32 v27, 23, v34
	v_and_b32_e32 v28, v52, v28
	v_add3_u32 v27, v6, v3, v27
	v_bfe_u32 v3, v34, 20, 1
	v_add_u32_e32 v3, -1, v3
	v_cmp_eq_u64_e32 vcc, v[28:29], v[32:33]
	v_cndmask_b32_e32 v3, 0, v3, vcc
	v_add_u32_e32 v3, v3, v34
	v_and_b32_e32 v3, 0xfffff, v3
	v_add_co_u32_e32 v52, vcc, v3, v34
	v_add_u32_e32 v6, 6, v27
	v_addc_co_u32_e32 v53, vcc, 0, v35, vcc
	v_cmp_ne_u32_e32 vcc, 0, v6
                                        ; implicit-def: $vgpr3
	s_and_saveexec_b64 s[28:29], vcc
	s_xor_b64 s[28:29], exec, s[28:29]
; %bb.580:                              ;   in Loop: Header=BB2_468 Depth=4
	v_add_u32_e32 v3, 7, v27
	v_cmp_lt_u64_e32 vcc, s[58:59], v[52:53]
	v_cndmask_b32_e32 v3, v6, v3, vcc
	v_cndmask_b32_e64 v6, 0, 1, vcc
	v_lshrrev_b64 v[52:53], v6, v[52:53]
; %bb.581:                              ;   in Loop: Header=BB2_468 Depth=4
	s_andn2_saveexec_b64 s[28:29], s[28:29]
; %bb.582:                              ;   in Loop: Header=BB2_468 Depth=4
	v_bfe_u32 v3, v52, 23, 1
; %bb.583:                              ;   in Loop: Header=BB2_468 Depth=4
	s_or_b64 exec, exec, s[28:29]
	v_lshrrev_b64 v[28:29], 20, v[52:53]
	v_cmp_gt_i32_e32 vcc, 16, v3
	v_cndmask_b32_e32 v29, 0, v29, vcc
	v_cndmask_b32_e32 v28, 7, v28, vcc
	v_cmp_eq_u32_e32 vcc, 0, v3
	v_min_i32_e32 v3, 15, v3
	v_cmp_eq_u64_e64 s[28:29], 0, v[28:29]
	v_lshlrev_b32_e32 v3, 3, v3
	v_and_or_b32 v3, v28, 7, v3
	s_and_b64 s[28:29], vcc, s[28:29]
	v_cndmask_b32_e64 v3, v3, 0, s[28:29]
	v_or_b32_e32 v36, v3, v1
.LBB2_584:                              ;   in Loop: Header=BB2_468 Depth=4
	s_or_b64 exec, exec, s[68:69]
.LBB2_585:                              ;   in Loop: Header=BB2_468 Depth=4
	s_or_b64 exec, exec, s[66:67]
                                        ; implicit-def: $vgpr3
                                        ; implicit-def: $vgpr52_vgpr53
.LBB2_586:                              ;   in Loop: Header=BB2_468 Depth=4
	s_andn2_saveexec_b64 s[28:29], s[64:65]
; %bb.587:                              ;   in Loop: Header=BB2_468 Depth=4
	v_or_b32_sdwa v1, v3, s92 dst_sel:DWORD dst_unused:UNUSED_PAD src0_sel:BYTE_3 src1_sel:DWORD
	v_cmp_eq_u64_e32 vcc, 0, v[52:53]
	v_cndmask_b32_e32 v36, v1, v36, vcc
; %bb.588:                              ;   in Loop: Header=BB2_468 Depth=4
	s_or_b64 exec, exec, s[28:29]
	v_lshrrev_b16_e32 v52, 8, v60
	v_cmp_ne_u16_e32 vcc, 0, v52
	v_mov_b32_e32 v1, 0
	v_mov_b32_e32 v3, 0
	s_and_saveexec_b64 s[28:29], vcc
	s_cbranch_execz .LBB2_594
; %bb.589:                              ;   in Loop: Header=BB2_468 Depth=4
	v_cmp_ne_u16_e32 vcc, s91, v52
	v_bfrev_b32_e32 v3, 1
	s_and_saveexec_b64 s[64:65], vcc
	s_cbranch_execz .LBB2_593
; %bb.590:                              ;   in Loop: Header=BB2_468 Depth=4
	v_and_b32_e32 v6, 0x7f, v52
	v_cmp_ne_u32_e32 vcc, s92, v6
	v_mov_b32_e32 v3, 0x7f800001
	s_and_saveexec_b64 s[66:67], vcc
	s_cbranch_execz .LBB2_592
; %bb.591:                              ;   in Loop: Header=BB2_468 Depth=4
	v_and_b32_e32 v3, 7, v52
	v_ffbh_u32_e32 v28, v3
	v_min_u32_e32 v31, 32, v28
	v_subrev_u32_e32 v28, 28, v31
	v_lshlrev_b64 v[28:29], v28, v[52:53]
	v_lshrrev_b32_e32 v27, 3, v6
	v_sub_u32_e32 v29, 29, v31
	v_and_b32_e32 v28, 7, v28
	v_cmp_gt_u32_e32 vcc, 8, v6
	v_cndmask_b32_e32 v6, v27, v29, vcc
	v_cndmask_b32_e32 v3, v3, v28, vcc
	v_lshlrev_b32_e32 v27, 16, v60
	v_lshlrev_b32_e32 v3, 20, v3
	v_and_b32_e32 v27, 0x80000000, v27
	v_lshl_add_u32 v6, v6, 23, v0
	v_or3_b32 v3, v27, v6, v3
.LBB2_592:                              ;   in Loop: Header=BB2_468 Depth=4
	s_or_b64 exec, exec, s[66:67]
.LBB2_593:                              ;   in Loop: Header=BB2_468 Depth=4
	s_or_b64 exec, exec, s[64:65]
.LBB2_594:                              ;   in Loop: Header=BB2_468 Depth=4
	s_or_b64 exec, exec, s[28:29]
	v_mov_b32_e32 v52, v17
	v_lshrrev_b16_e32 v60, 8, v52
	v_cmp_ne_u16_e32 vcc, 0, v60
	s_and_saveexec_b64 s[28:29], vcc
	s_cbranch_execz .LBB2_600
; %bb.595:                              ;   in Loop: Header=BB2_468 Depth=4
	v_cmp_ne_u16_e32 vcc, s91, v60
	v_bfrev_b32_e32 v1, 1
	s_and_saveexec_b64 s[64:65], vcc
	s_cbranch_execz .LBB2_599
; %bb.596:                              ;   in Loop: Header=BB2_468 Depth=4
	v_and_b32_e32 v6, 0x7f, v60
	v_cmp_ne_u32_e32 vcc, s92, v6
	v_mov_b32_e32 v1, 0x7f800001
	s_and_saveexec_b64 s[66:67], vcc
	s_cbranch_execz .LBB2_598
; %bb.597:                              ;   in Loop: Header=BB2_468 Depth=4
	v_and_b32_e32 v1, 7, v60
	v_ffbh_u32_e32 v28, v1
	v_min_u32_e32 v31, 32, v28
	v_subrev_u32_e32 v28, 28, v31
	v_lshlrev_b64 v[28:29], v28, v[60:61]
	v_lshrrev_b32_e32 v27, 3, v6
	v_sub_u32_e32 v29, 29, v31
	v_and_b32_e32 v28, 7, v28
	v_cmp_gt_u32_e32 vcc, 8, v6
	v_cndmask_b32_e32 v6, v27, v29, vcc
	v_cndmask_b32_e32 v1, v1, v28, vcc
	v_lshlrev_b32_e32 v27, 16, v52
	v_lshlrev_b32_e32 v1, 20, v1
	v_and_b32_e32 v27, 0x80000000, v27
	v_lshl_add_u32 v6, v6, 23, v0
	v_or3_b32 v1, v27, v6, v1
.LBB2_598:                              ;   in Loop: Header=BB2_468 Depth=4
	s_or_b64 exec, exec, s[66:67]
.LBB2_599:                              ;   in Loop: Header=BB2_468 Depth=4
	s_or_b64 exec, exec, s[64:65]
.LBB2_600:                              ;   in Loop: Header=BB2_468 Depth=4
	s_or_b64 exec, exec, s[28:29]
	v_add_f32_e32 v3, v3, v1
	v_and_b32_sdwa v1, v3, s91 dst_sel:DWORD dst_unused:UNUSED_PAD src0_sel:BYTE_3 src1_sel:DWORD
	v_and_b32_e32 v28, 0x7f800000, v3
	v_mov_b32_e32 v29, v61
	v_and_b32_e32 v60, 0x7fffff, v3
	v_or_b32_e32 v37, 0x7e, v1
	v_cmp_ne_u64_e32 vcc, s[54:55], v[28:29]
	s_and_saveexec_b64 s[28:29], vcc
	s_xor_b64 s[64:65], exec, s[28:29]
	s_cbranch_execz .LBB2_610
; %bb.601:                              ;   in Loop: Header=BB2_468 Depth=4
	v_and_b32_e32 v28, 0x7fffffff, v3
	v_mov_b32_e32 v29, v61
	v_cmp_gt_u64_e32 vcc, s[56:57], v[28:29]
	s_and_saveexec_b64 s[66:67], vcc
	s_cbranch_execz .LBB2_609
; %bb.602:                              ;   in Loop: Header=BB2_468 Depth=4
	v_cmp_ne_u32_e32 vcc, 0, v3
	v_mov_b32_e32 v37, 0
	s_and_saveexec_b64 s[68:69], vcc
	s_cbranch_execz .LBB2_608
; %bb.603:                              ;   in Loop: Header=BB2_468 Depth=4
	v_bfe_u32 v3, v3, 23, 8
	v_sub_u32_e32 v27, 0x79, v3
	v_cmp_gt_u32_e32 vcc, s93, v3
	v_add_u32_e32 v6, 0xffffff81, v3
	v_cndmask_b32_e32 v27, 0, v27, vcc
	v_cmp_eq_u32_e32 vcc, 0, v3
	v_mov_b32_e32 v3, 0xffffff82
	v_cndmask_b32_e32 v3, v6, v3, vcc
	v_mov_b32_e32 v6, 0x78
	v_cndmask_b32_e32 v6, v27, v6, vcc
	v_or_b32_e32 v28, 0x800000, v60
	v_add_u32_e32 v27, 20, v6
	v_cndmask_b32_e32 v60, v28, v60, vcc
	v_lshlrev_b64 v[28:29], v27, -1
	v_not_b32_e32 v27, v29
	v_and_b32_e32 v29, 0, v27
	v_add_u32_e32 v27, 19, v6
	v_lshrrev_b64 v[34:35], v6, v[60:61]
	v_not_b32_e32 v28, v28
	v_lshlrev_b64 v[32:33], v27, 1
	v_lshrrev_b32_e32 v27, 23, v34
	v_and_b32_e32 v28, v60, v28
	v_add3_u32 v27, v6, v3, v27
	v_bfe_u32 v3, v34, 20, 1
	v_add_u32_e32 v3, -1, v3
	v_cmp_eq_u64_e32 vcc, v[28:29], v[32:33]
	v_cndmask_b32_e32 v3, 0, v3, vcc
	v_add_u32_e32 v3, v3, v34
	v_and_b32_e32 v3, 0xfffff, v3
	v_add_co_u32_e32 v52, vcc, v3, v34
	v_add_u32_e32 v6, 6, v27
	v_addc_co_u32_e32 v53, vcc, 0, v35, vcc
	v_cmp_ne_u32_e32 vcc, 0, v6
                                        ; implicit-def: $vgpr3
	s_and_saveexec_b64 s[28:29], vcc
	s_xor_b64 s[28:29], exec, s[28:29]
; %bb.604:                              ;   in Loop: Header=BB2_468 Depth=4
	v_add_u32_e32 v3, 7, v27
	v_cmp_lt_u64_e32 vcc, s[58:59], v[52:53]
	v_cndmask_b32_e32 v3, v6, v3, vcc
	v_cndmask_b32_e64 v6, 0, 1, vcc
	v_lshrrev_b64 v[52:53], v6, v[52:53]
; %bb.605:                              ;   in Loop: Header=BB2_468 Depth=4
	s_andn2_saveexec_b64 s[28:29], s[28:29]
; %bb.606:                              ;   in Loop: Header=BB2_468 Depth=4
	v_bfe_u32 v3, v52, 23, 1
; %bb.607:                              ;   in Loop: Header=BB2_468 Depth=4
	s_or_b64 exec, exec, s[28:29]
	v_lshrrev_b64 v[28:29], 20, v[52:53]
	v_cmp_gt_i32_e32 vcc, 16, v3
	v_cndmask_b32_e32 v29, 0, v29, vcc
	v_cndmask_b32_e32 v28, 7, v28, vcc
	v_cmp_eq_u32_e32 vcc, 0, v3
	v_min_i32_e32 v3, 15, v3
	v_cmp_eq_u64_e64 s[28:29], 0, v[28:29]
	v_lshlrev_b32_e32 v3, 3, v3
	v_and_or_b32 v3, v28, 7, v3
	s_and_b64 s[28:29], vcc, s[28:29]
	v_cndmask_b32_e64 v3, v3, 0, s[28:29]
	v_or_b32_e32 v37, v3, v1
.LBB2_608:                              ;   in Loop: Header=BB2_468 Depth=4
	s_or_b64 exec, exec, s[68:69]
.LBB2_609:                              ;   in Loop: Header=BB2_468 Depth=4
	s_or_b64 exec, exec, s[66:67]
                                        ; implicit-def: $vgpr3
.LBB2_610:                              ;   in Loop: Header=BB2_468 Depth=4
	s_andn2_saveexec_b64 s[28:29], s[64:65]
; %bb.611:                              ;   in Loop: Header=BB2_468 Depth=4
	v_or_b32_sdwa v1, v3, s92 dst_sel:DWORD dst_unused:UNUSED_PAD src0_sel:BYTE_3 src1_sel:DWORD
	v_cmp_eq_u64_e32 vcc, 0, v[60:61]
	v_cndmask_b32_e32 v37, v1, v37, vcc
; %bb.612:                              ;   in Loop: Header=BB2_468 Depth=4
	s_or_b64 exec, exec, s[28:29]
	v_lshrrev_b32_e32 v52, 16, v21
	v_cmp_ne_u16_sdwa vcc, v52, v61 src0_sel:BYTE_0 src1_sel:DWORD
	v_mov_b32_e32 v1, 0
	v_mov_b32_e32 v3, 0
	s_and_saveexec_b64 s[28:29], vcc
	s_cbranch_execz .LBB2_618
; %bb.613:                              ;   in Loop: Header=BB2_468 Depth=4
	v_cmp_ne_u16_sdwa vcc, v52, s91 src0_sel:BYTE_0 src1_sel:DWORD
	v_bfrev_b32_e32 v3, 1
	s_and_saveexec_b64 s[64:65], vcc
	s_cbranch_execz .LBB2_617
; %bb.614:                              ;   in Loop: Header=BB2_468 Depth=4
	v_bfe_u32 v6, v21, 16, 7
	v_cmp_ne_u32_e32 vcc, s92, v6
	v_mov_b32_e32 v3, 0x7f800001
	s_and_saveexec_b64 s[66:67], vcc
	s_cbranch_execz .LBB2_616
; %bb.615:                              ;   in Loop: Header=BB2_468 Depth=4
	v_and_b32_e32 v3, 7, v52
	v_ffbh_u32_e32 v28, v3
	v_min_u32_e32 v31, 32, v28
	v_subrev_u32_e32 v28, 28, v31
	v_lshlrev_b64 v[28:29], v28, v[52:53]
	v_lshrrev_b32_e32 v27, 3, v6
	v_sub_u32_e32 v29, 29, v31
	v_and_b32_e32 v28, 7, v28
	v_cmp_gt_u32_e32 vcc, 8, v6
	v_cndmask_b32_e32 v6, v27, v29, vcc
	v_cndmask_b32_e32 v3, v3, v28, vcc
	v_lshlrev_b32_e32 v27, 24, v52
	v_lshlrev_b32_e32 v3, 20, v3
	v_and_b32_e32 v27, 0x80000000, v27
	v_lshl_add_u32 v6, v6, 23, v0
	v_or3_b32 v3, v27, v6, v3
.LBB2_616:                              ;   in Loop: Header=BB2_468 Depth=4
	s_or_b64 exec, exec, s[66:67]
.LBB2_617:                              ;   in Loop: Header=BB2_468 Depth=4
	s_or_b64 exec, exec, s[64:65]
.LBB2_618:                              ;   in Loop: Header=BB2_468 Depth=4
	s_or_b64 exec, exec, s[28:29]
	v_lshrrev_b32_e32 v52, 16, v17
	v_cmp_ne_u16_sdwa vcc, v52, v61 src0_sel:BYTE_0 src1_sel:DWORD
	s_and_saveexec_b64 s[28:29], vcc
	s_cbranch_execz .LBB2_624
; %bb.619:                              ;   in Loop: Header=BB2_468 Depth=4
	v_cmp_ne_u16_sdwa vcc, v52, s91 src0_sel:BYTE_0 src1_sel:DWORD
	v_bfrev_b32_e32 v1, 1
	s_and_saveexec_b64 s[64:65], vcc
	s_cbranch_execz .LBB2_623
; %bb.620:                              ;   in Loop: Header=BB2_468 Depth=4
	v_bfe_u32 v6, v17, 16, 7
	v_cmp_ne_u32_e32 vcc, s92, v6
	v_mov_b32_e32 v1, 0x7f800001
	s_and_saveexec_b64 s[66:67], vcc
	s_cbranch_execz .LBB2_622
; %bb.621:                              ;   in Loop: Header=BB2_468 Depth=4
	v_and_b32_e32 v1, 7, v52
	v_ffbh_u32_e32 v28, v1
	v_min_u32_e32 v31, 32, v28
	v_subrev_u32_e32 v28, 28, v31
	v_lshlrev_b64 v[28:29], v28, v[52:53]
	v_lshrrev_b32_e32 v27, 3, v6
	v_sub_u32_e32 v29, 29, v31
	v_and_b32_e32 v28, 7, v28
	v_cmp_gt_u32_e32 vcc, 8, v6
	v_cndmask_b32_e32 v6, v27, v29, vcc
	v_cndmask_b32_e32 v1, v1, v28, vcc
	v_lshlrev_b32_e32 v27, 8, v17
	v_lshlrev_b32_e32 v1, 20, v1
	v_and_b32_e32 v27, 0x80000000, v27
	v_lshl_add_u32 v6, v6, 23, v0
	v_or3_b32 v1, v27, v6, v1
.LBB2_622:                              ;   in Loop: Header=BB2_468 Depth=4
	s_or_b64 exec, exec, s[66:67]
.LBB2_623:                              ;   in Loop: Header=BB2_468 Depth=4
	s_or_b64 exec, exec, s[64:65]
.LBB2_624:                              ;   in Loop: Header=BB2_468 Depth=4
	s_or_b64 exec, exec, s[28:29]
	v_add_f32_e32 v3, v3, v1
	v_and_b32_sdwa v1, v3, s91 dst_sel:DWORD dst_unused:UNUSED_PAD src0_sel:BYTE_3 src1_sel:DWORD
	v_and_b32_e32 v28, 0x7f800000, v3
	v_mov_b32_e32 v29, v61
	v_and_b32_e32 v60, 0x7fffff, v3
	v_or_b32_e32 v52, 0x7e, v1
	v_cmp_ne_u64_e32 vcc, s[54:55], v[28:29]
	s_and_saveexec_b64 s[28:29], vcc
	s_xor_b64 s[64:65], exec, s[28:29]
	s_cbranch_execz .LBB2_634
; %bb.625:                              ;   in Loop: Header=BB2_468 Depth=4
	v_and_b32_e32 v28, 0x7fffffff, v3
	v_mov_b32_e32 v29, v61
	v_cmp_gt_u64_e32 vcc, s[56:57], v[28:29]
	s_and_saveexec_b64 s[66:67], vcc
	s_cbranch_execz .LBB2_633
; %bb.626:                              ;   in Loop: Header=BB2_468 Depth=4
	v_cmp_ne_u32_e32 vcc, 0, v3
	v_mov_b32_e32 v52, 0
	s_and_saveexec_b64 s[68:69], vcc
	s_cbranch_execz .LBB2_632
; %bb.627:                              ;   in Loop: Header=BB2_468 Depth=4
	v_bfe_u32 v3, v3, 23, 8
	v_sub_u32_e32 v27, 0x79, v3
	v_cmp_gt_u32_e32 vcc, s93, v3
	v_add_u32_e32 v6, 0xffffff81, v3
	v_cndmask_b32_e32 v27, 0, v27, vcc
	v_cmp_eq_u32_e32 vcc, 0, v3
	v_mov_b32_e32 v3, 0xffffff82
	v_cndmask_b32_e32 v3, v6, v3, vcc
	v_mov_b32_e32 v6, 0x78
	v_cndmask_b32_e32 v6, v27, v6, vcc
	v_or_b32_e32 v28, 0x800000, v60
	v_add_u32_e32 v27, 20, v6
	v_cndmask_b32_e32 v60, v28, v60, vcc
	v_lshlrev_b64 v[28:29], v27, -1
	v_not_b32_e32 v27, v29
	v_and_b32_e32 v29, 0, v27
	v_add_u32_e32 v27, 19, v6
	v_lshrrev_b64 v[34:35], v6, v[60:61]
	v_not_b32_e32 v28, v28
	v_lshlrev_b64 v[32:33], v27, 1
	v_lshrrev_b32_e32 v27, 23, v34
	v_and_b32_e32 v28, v60, v28
	v_add3_u32 v27, v6, v3, v27
	v_bfe_u32 v3, v34, 20, 1
	v_add_u32_e32 v3, -1, v3
	v_cmp_eq_u64_e32 vcc, v[28:29], v[32:33]
	v_cndmask_b32_e32 v3, 0, v3, vcc
	v_add_u32_e32 v3, v3, v34
	v_and_b32_e32 v3, 0xfffff, v3
	v_add_co_u32_e32 v52, vcc, v3, v34
	v_add_u32_e32 v6, 6, v27
	v_addc_co_u32_e32 v53, vcc, 0, v35, vcc
	v_cmp_ne_u32_e32 vcc, 0, v6
                                        ; implicit-def: $vgpr3
	s_and_saveexec_b64 s[28:29], vcc
	s_xor_b64 s[28:29], exec, s[28:29]
; %bb.628:                              ;   in Loop: Header=BB2_468 Depth=4
	v_add_u32_e32 v3, 7, v27
	v_cmp_lt_u64_e32 vcc, s[58:59], v[52:53]
	v_cndmask_b32_e32 v3, v6, v3, vcc
	v_cndmask_b32_e64 v6, 0, 1, vcc
	v_lshrrev_b64 v[52:53], v6, v[52:53]
; %bb.629:                              ;   in Loop: Header=BB2_468 Depth=4
	s_andn2_saveexec_b64 s[28:29], s[28:29]
; %bb.630:                              ;   in Loop: Header=BB2_468 Depth=4
	v_bfe_u32 v3, v52, 23, 1
; %bb.631:                              ;   in Loop: Header=BB2_468 Depth=4
	s_or_b64 exec, exec, s[28:29]
	v_lshrrev_b64 v[28:29], 20, v[52:53]
	v_cmp_gt_i32_e32 vcc, 16, v3
	v_cndmask_b32_e32 v29, 0, v29, vcc
	v_cndmask_b32_e32 v28, 7, v28, vcc
	v_cmp_eq_u32_e32 vcc, 0, v3
	v_min_i32_e32 v3, 15, v3
	v_lshlrev_b32_e32 v3, 3, v3
	v_cmp_eq_u64_e64 s[28:29], 0, v[28:29]
	v_and_b32_e32 v3, 0xf8, v3
	v_and_or_b32 v3, v28, 7, v3
	s_and_b64 s[28:29], vcc, s[28:29]
	v_cndmask_b32_e64 v3, v3, 0, s[28:29]
	v_or_b32_e32 v52, v3, v1
.LBB2_632:                              ;   in Loop: Header=BB2_468 Depth=4
	s_or_b64 exec, exec, s[68:69]
.LBB2_633:                              ;   in Loop: Header=BB2_468 Depth=4
	s_or_b64 exec, exec, s[66:67]
                                        ; implicit-def: $vgpr3
.LBB2_634:                              ;   in Loop: Header=BB2_468 Depth=4
	s_andn2_saveexec_b64 s[28:29], s[64:65]
; %bb.635:                              ;   in Loop: Header=BB2_468 Depth=4
	v_or_b32_sdwa v1, v3, s92 dst_sel:DWORD dst_unused:UNUSED_PAD src0_sel:BYTE_3 src1_sel:DWORD
	v_cmp_eq_u64_e32 vcc, 0, v[60:61]
	v_cndmask_b32_e32 v52, v1, v52, vcc
; %bb.636:                              ;   in Loop: Header=BB2_468 Depth=4
	s_or_b64 exec, exec, s[28:29]
	v_cmp_lt_u64_e32 vcc, s[44:45], v[20:21]
	v_mov_b32_e32 v1, 0
	v_mov_b32_e32 v3, 0
	s_and_saveexec_b64 s[28:29], vcc
	s_cbranch_execz .LBB2_642
; %bb.637:                              ;   in Loop: Header=BB2_468 Depth=4
	v_lshrrev_b32_e32 v20, 24, v21
	v_cmp_ne_u32_e32 vcc, s91, v20
	v_bfrev_b32_e32 v3, 1
	s_and_saveexec_b64 s[64:65], vcc
	s_cbranch_execz .LBB2_641
; %bb.638:                              ;   in Loop: Header=BB2_468 Depth=4
	v_bfe_u32 v6, v21, 24, 7
	v_cmp_ne_u32_e32 vcc, s92, v6
	v_mov_b32_e32 v3, 0x7f800001
	s_and_saveexec_b64 s[66:67], vcc
	s_cbranch_execz .LBB2_640
; %bb.639:                              ;   in Loop: Header=BB2_468 Depth=4
	v_and_b32_e32 v3, 7, v20
	v_ffbh_u32_e32 v27, v3
	v_min_u32_e32 v27, 32, v27
	v_lshrrev_b32_e32 v21, 3, v6
	v_subrev_u32_e32 v28, 28, v27
	v_lshlrev_b64 v[28:29], v28, v[20:21]
	v_sub_u32_e32 v27, 29, v27
	v_and_b32_e32 v28, 7, v28
	v_cmp_gt_u32_e32 vcc, 8, v6
	v_cndmask_b32_e32 v6, v21, v27, vcc
	v_cndmask_b32_e32 v3, v3, v28, vcc
	v_lshlrev_b32_e32 v20, 24, v20
	v_lshlrev_b32_e32 v3, 20, v3
	v_and_b32_e32 v20, 0x80000000, v20
	v_lshl_add_u32 v6, v6, 23, v0
	v_or3_b32 v3, v20, v6, v3
.LBB2_640:                              ;   in Loop: Header=BB2_468 Depth=4
	s_or_b64 exec, exec, s[66:67]
.LBB2_641:                              ;   in Loop: Header=BB2_468 Depth=4
	s_or_b64 exec, exec, s[64:65]
.LBB2_642:                              ;   in Loop: Header=BB2_468 Depth=4
	s_or_b64 exec, exec, s[28:29]
	v_cmp_lt_u64_e32 vcc, s[44:45], v[16:17]
	s_and_saveexec_b64 s[28:29], vcc
	s_cbranch_execz .LBB2_648
; %bb.643:                              ;   in Loop: Header=BB2_468 Depth=4
	v_lshrrev_b32_e32 v16, 24, v17
	v_cmp_ne_u32_e32 vcc, s91, v16
	v_bfrev_b32_e32 v1, 1
	s_and_saveexec_b64 s[64:65], vcc
	s_cbranch_execz .LBB2_647
; %bb.644:                              ;   in Loop: Header=BB2_468 Depth=4
	v_bfe_u32 v6, v17, 24, 7
	v_cmp_ne_u32_e32 vcc, s92, v6
	v_mov_b32_e32 v1, 0x7f800001
	s_and_saveexec_b64 s[66:67], vcc
	s_cbranch_execz .LBB2_646
; %bb.645:                              ;   in Loop: Header=BB2_468 Depth=4
	v_and_b32_e32 v1, 7, v16
	v_ffbh_u32_e32 v20, v1
	v_min_u32_e32 v27, 32, v20
	v_lshrrev_b32_e32 v17, 3, v6
	v_subrev_u32_e32 v20, 28, v27
	v_lshlrev_b64 v[20:21], v20, v[16:17]
	v_sub_u32_e32 v21, 29, v27
	v_and_b32_e32 v20, 7, v20
	v_cmp_gt_u32_e32 vcc, 8, v6
	v_cndmask_b32_e32 v6, v17, v21, vcc
	v_cndmask_b32_e32 v1, v1, v20, vcc
	v_lshlrev_b32_e32 v16, 24, v16
	v_lshlrev_b32_e32 v1, 20, v1
	v_and_b32_e32 v16, 0x80000000, v16
	v_lshl_add_u32 v6, v6, 23, v0
	v_or3_b32 v1, v16, v6, v1
.LBB2_646:                              ;   in Loop: Header=BB2_468 Depth=4
	s_or_b64 exec, exec, s[66:67]
.LBB2_647:                              ;   in Loop: Header=BB2_468 Depth=4
	s_or_b64 exec, exec, s[64:65]
.LBB2_648:                              ;   in Loop: Header=BB2_468 Depth=4
	s_or_b64 exec, exec, s[28:29]
	v_add_f32_e32 v3, v3, v1
	v_and_b32_sdwa v1, v3, s91 dst_sel:DWORD dst_unused:UNUSED_PAD src0_sel:BYTE_3 src1_sel:DWORD
	v_and_b32_e32 v16, 0x7f800000, v3
	v_mov_b32_e32 v17, v61
	v_and_b32_e32 v60, 0x7fffff, v3
	v_or_b32_e32 v21, 0x7e, v1
	v_cmp_ne_u64_e32 vcc, s[54:55], v[16:17]
	s_and_saveexec_b64 s[28:29], vcc
	s_xor_b64 s[64:65], exec, s[28:29]
	s_cbranch_execz .LBB2_658
; %bb.649:                              ;   in Loop: Header=BB2_468 Depth=4
	v_and_b32_e32 v16, 0x7fffffff, v3
	v_mov_b32_e32 v17, v61
	v_cmp_gt_u64_e32 vcc, s[56:57], v[16:17]
	s_and_saveexec_b64 s[66:67], vcc
	s_cbranch_execz .LBB2_657
; %bb.650:                              ;   in Loop: Header=BB2_468 Depth=4
	v_cmp_ne_u32_e32 vcc, 0, v3
	v_mov_b32_e32 v21, 0
	s_and_saveexec_b64 s[68:69], vcc
	s_cbranch_execz .LBB2_656
; %bb.651:                              ;   in Loop: Header=BB2_468 Depth=4
	v_bfe_u32 v3, v3, 23, 8
	v_sub_u32_e32 v16, 0x79, v3
	v_cmp_gt_u32_e32 vcc, s93, v3
	v_add_u32_e32 v6, 0xffffff81, v3
	v_cndmask_b32_e32 v16, 0, v16, vcc
	v_cmp_eq_u32_e32 vcc, 0, v3
	v_mov_b32_e32 v3, 0xffffff82
	v_cndmask_b32_e32 v3, v6, v3, vcc
	v_mov_b32_e32 v6, 0x78
	v_or_b32_e32 v17, 0x800000, v60
	v_cndmask_b32_e32 v6, v16, v6, vcc
	v_cndmask_b32_e32 v60, v17, v60, vcc
	v_add_u32_e32 v16, 20, v6
	v_lshlrev_b64 v[16:17], v16, -1
	v_add_u32_e32 v20, 19, v6
	v_lshrrev_b64 v[32:33], v6, v[60:61]
	v_not_b32_e32 v17, v17
	v_not_b32_e32 v16, v16
	v_lshlrev_b64 v[28:29], v20, 1
	v_lshrrev_b32_e32 v20, 23, v32
	v_and_b32_e32 v17, 0, v17
	v_and_b32_e32 v16, v60, v16
	v_add3_u32 v20, v6, v3, v20
	v_bfe_u32 v3, v32, 20, 1
	v_add_u32_e32 v3, -1, v3
	v_cmp_eq_u64_e32 vcc, v[16:17], v[28:29]
	v_cndmask_b32_e32 v3, 0, v3, vcc
	v_add_u32_e32 v3, v3, v32
	v_and_b32_e32 v3, 0xfffff, v3
	v_add_co_u32_e32 v16, vcc, v3, v32
	v_add_u32_e32 v6, 6, v20
	v_addc_co_u32_e32 v17, vcc, 0, v33, vcc
	v_cmp_ne_u32_e32 vcc, 0, v6
                                        ; implicit-def: $vgpr3
	s_and_saveexec_b64 s[28:29], vcc
	s_xor_b64 s[28:29], exec, s[28:29]
; %bb.652:                              ;   in Loop: Header=BB2_468 Depth=4
	v_add_u32_e32 v3, 7, v20
	v_cmp_lt_u64_e32 vcc, s[58:59], v[16:17]
	v_cndmask_b32_e32 v3, v6, v3, vcc
	v_cndmask_b32_e64 v6, 0, 1, vcc
	v_lshrrev_b64 v[16:17], v6, v[16:17]
; %bb.653:                              ;   in Loop: Header=BB2_468 Depth=4
	s_andn2_saveexec_b64 s[28:29], s[28:29]
; %bb.654:                              ;   in Loop: Header=BB2_468 Depth=4
	v_bfe_u32 v3, v16, 23, 1
; %bb.655:                              ;   in Loop: Header=BB2_468 Depth=4
	s_or_b64 exec, exec, s[28:29]
	v_lshrrev_b64 v[16:17], 20, v[16:17]
	v_cmp_gt_i32_e32 vcc, 16, v3
	v_cndmask_b32_e32 v17, 0, v17, vcc
	v_cndmask_b32_e32 v16, 7, v16, vcc
	v_cmp_eq_u32_e32 vcc, 0, v3
	v_min_i32_e32 v3, 15, v3
	v_lshlrev_b32_e32 v3, 3, v3
	v_cmp_eq_u64_e64 s[28:29], 0, v[16:17]
	v_and_b32_e32 v3, 0xf8, v3
	v_and_or_b32 v3, v16, 7, v3
	s_and_b64 s[28:29], vcc, s[28:29]
	v_cndmask_b32_e64 v3, v3, 0, s[28:29]
	v_or_b32_e32 v21, v3, v1
.LBB2_656:                              ;   in Loop: Header=BB2_468 Depth=4
	s_or_b64 exec, exec, s[68:69]
.LBB2_657:                              ;   in Loop: Header=BB2_468 Depth=4
	s_or_b64 exec, exec, s[66:67]
                                        ; implicit-def: $vgpr3
.LBB2_658:                              ;   in Loop: Header=BB2_468 Depth=4
	s_andn2_saveexec_b64 s[28:29], s[64:65]
; %bb.659:                              ;   in Loop: Header=BB2_468 Depth=4
	v_or_b32_sdwa v1, v3, s92 dst_sel:DWORD dst_unused:UNUSED_PAD src0_sel:BYTE_3 src1_sel:DWORD
	v_cmp_eq_u64_e32 vcc, 0, v[60:61]
	v_cndmask_b32_e32 v21, v1, v21, vcc
; %bb.660:                              ;   in Loop: Header=BB2_468 Depth=4
	s_or_b64 exec, exec, s[28:29]
	v_cmp_ne_u16_sdwa vcc, v22, v61 src0_sel:BYTE_0 src1_sel:DWORD
	v_mov_b32_e32 v1, 0
	v_mov_b32_e32 v3, 0
	s_and_saveexec_b64 s[28:29], vcc
	s_cbranch_execz .LBB2_666
; %bb.661:                              ;   in Loop: Header=BB2_468 Depth=4
	v_cmp_ne_u16_sdwa vcc, v22, s91 src0_sel:BYTE_0 src1_sel:DWORD
	v_bfrev_b32_e32 v3, 1
	s_and_saveexec_b64 s[64:65], vcc
	s_cbranch_execz .LBB2_665
; %bb.662:                              ;   in Loop: Header=BB2_468 Depth=4
	v_and_b32_e32 v6, 0x7f, v22
	v_cmp_ne_u32_e32 vcc, s92, v6
	v_mov_b32_e32 v3, 0x7f800001
	s_and_saveexec_b64 s[66:67], vcc
	s_cbranch_execz .LBB2_664
; %bb.663:                              ;   in Loop: Header=BB2_468 Depth=4
	v_and_b32_e32 v3, 7, v22
	v_ffbh_u32_e32 v3, v3
	v_min_u32_e32 v3, 32, v3
	v_subrev_u32_e32 v17, 28, v3
	v_cmp_gt_u32_e32 vcc, 8, v6
	v_lshrrev_b32_e32 v16, 3, v6
	v_sub_u32_e32 v3, 29, v3
	v_cndmask_b32_e32 v6, 0, v17, vcc
	v_cndmask_b32_e32 v3, v16, v3, vcc
	v_lshlrev_b64 v[16:17], v6, v[22:23]
	v_lshlrev_b32_e32 v6, 20, v16
	v_lshlrev_b32_e32 v16, 24, v22
	v_and_b32_e32 v6, 0x700000, v6
	v_and_b32_e32 v16, 0x80000000, v16
	v_lshl_add_u32 v3, v3, 23, v0
	v_or3_b32 v3, v16, v3, v6
.LBB2_664:                              ;   in Loop: Header=BB2_468 Depth=4
	s_or_b64 exec, exec, s[66:67]
.LBB2_665:                              ;   in Loop: Header=BB2_468 Depth=4
	s_or_b64 exec, exec, s[64:65]
.LBB2_666:                              ;   in Loop: Header=BB2_468 Depth=4
	s_or_b64 exec, exec, s[28:29]
	v_cmp_ne_u16_sdwa vcc, v18, v61 src0_sel:BYTE_0 src1_sel:DWORD
	s_and_saveexec_b64 s[28:29], vcc
	s_cbranch_execz .LBB2_672
; %bb.667:                              ;   in Loop: Header=BB2_468 Depth=4
	v_cmp_ne_u16_sdwa vcc, v18, s91 src0_sel:BYTE_0 src1_sel:DWORD
	v_bfrev_b32_e32 v1, 1
	s_and_saveexec_b64 s[64:65], vcc
	s_cbranch_execz .LBB2_671
; %bb.668:                              ;   in Loop: Header=BB2_468 Depth=4
	v_and_b32_e32 v6, 0x7f, v18
	v_cmp_ne_u32_e32 vcc, s92, v6
	v_mov_b32_e32 v1, 0x7f800001
	s_and_saveexec_b64 s[66:67], vcc
	s_cbranch_execz .LBB2_670
; %bb.669:                              ;   in Loop: Header=BB2_468 Depth=4
	v_and_b32_e32 v1, 7, v18
	v_ffbh_u32_e32 v1, v1
	v_min_u32_e32 v1, 32, v1
	v_subrev_u32_e32 v17, 28, v1
	v_cmp_gt_u32_e32 vcc, 8, v6
	v_lshrrev_b32_e32 v16, 3, v6
	v_sub_u32_e32 v1, 29, v1
	v_cndmask_b32_e32 v6, 0, v17, vcc
	v_cndmask_b32_e32 v1, v16, v1, vcc
	v_lshlrev_b64 v[16:17], v6, v[18:19]
	v_lshlrev_b32_e32 v6, 20, v16
	v_lshlrev_b32_e32 v16, 24, v18
	v_and_b32_e32 v6, 0x700000, v6
	v_and_b32_e32 v16, 0x80000000, v16
	v_lshl_add_u32 v1, v1, 23, v0
	v_or3_b32 v1, v16, v1, v6
.LBB2_670:                              ;   in Loop: Header=BB2_468 Depth=4
	s_or_b64 exec, exec, s[66:67]
.LBB2_671:                              ;   in Loop: Header=BB2_468 Depth=4
	s_or_b64 exec, exec, s[64:65]
.LBB2_672:                              ;   in Loop: Header=BB2_468 Depth=4
	s_or_b64 exec, exec, s[28:29]
	v_add_f32_e32 v3, v3, v1
	v_and_b32_sdwa v1, v3, s91 dst_sel:DWORD dst_unused:UNUSED_PAD src0_sel:BYTE_3 src1_sel:DWORD
	v_and_b32_e32 v16, 0x7f800000, v3
	v_mov_b32_e32 v17, v61
	v_and_b32_e32 v60, 0x7fffff, v3
	v_or_b32_e32 v53, 0x7e, v1
	v_cmp_ne_u64_e32 vcc, s[54:55], v[16:17]
	s_and_saveexec_b64 s[28:29], vcc
	s_xor_b64 s[64:65], exec, s[28:29]
	s_cbranch_execz .LBB2_682
; %bb.673:                              ;   in Loop: Header=BB2_468 Depth=4
	v_and_b32_e32 v16, 0x7fffffff, v3
	v_mov_b32_e32 v17, v61
	v_cmp_gt_u64_e32 vcc, s[56:57], v[16:17]
	s_and_saveexec_b64 s[66:67], vcc
	s_cbranch_execz .LBB2_681
; %bb.674:                              ;   in Loop: Header=BB2_468 Depth=4
	v_cmp_ne_u32_e32 vcc, 0, v3
	v_mov_b32_e32 v53, 0
	s_and_saveexec_b64 s[68:69], vcc
	s_cbranch_execz .LBB2_680
; %bb.675:                              ;   in Loop: Header=BB2_468 Depth=4
	v_bfe_u32 v3, v3, 23, 8
	v_sub_u32_e32 v16, 0x79, v3
	v_cmp_gt_u32_e32 vcc, s93, v3
	v_add_u32_e32 v6, 0xffffff81, v3
	v_cndmask_b32_e32 v16, 0, v16, vcc
	v_cmp_eq_u32_e32 vcc, 0, v3
	v_mov_b32_e32 v3, 0xffffff82
	v_cndmask_b32_e32 v3, v6, v3, vcc
	v_mov_b32_e32 v6, 0x78
	v_or_b32_e32 v17, 0x800000, v60
	v_cndmask_b32_e32 v6, v16, v6, vcc
	v_cndmask_b32_e32 v60, v17, v60, vcc
	v_add_u32_e32 v16, 20, v6
	v_lshlrev_b64 v[16:17], v16, -1
	v_add_u32_e32 v20, 19, v6
	v_lshrrev_b64 v[32:33], v6, v[60:61]
	v_not_b32_e32 v17, v17
	v_not_b32_e32 v16, v16
	v_lshlrev_b64 v[28:29], v20, 1
	v_lshrrev_b32_e32 v20, 23, v32
	v_and_b32_e32 v17, 0, v17
	v_and_b32_e32 v16, v60, v16
	v_add3_u32 v20, v6, v3, v20
	v_bfe_u32 v3, v32, 20, 1
	v_add_u32_e32 v3, -1, v3
	v_cmp_eq_u64_e32 vcc, v[16:17], v[28:29]
	v_cndmask_b32_e32 v3, 0, v3, vcc
	v_add_u32_e32 v3, v3, v32
	v_and_b32_e32 v3, 0xfffff, v3
	v_add_co_u32_e32 v16, vcc, v3, v32
	v_add_u32_e32 v6, 6, v20
	v_addc_co_u32_e32 v17, vcc, 0, v33, vcc
	v_cmp_ne_u32_e32 vcc, 0, v6
                                        ; implicit-def: $vgpr3
	s_and_saveexec_b64 s[28:29], vcc
	s_xor_b64 s[28:29], exec, s[28:29]
; %bb.676:                              ;   in Loop: Header=BB2_468 Depth=4
	v_add_u32_e32 v3, 7, v20
	v_cmp_lt_u64_e32 vcc, s[58:59], v[16:17]
	v_cndmask_b32_e32 v3, v6, v3, vcc
	v_cndmask_b32_e64 v6, 0, 1, vcc
	v_lshrrev_b64 v[16:17], v6, v[16:17]
; %bb.677:                              ;   in Loop: Header=BB2_468 Depth=4
	s_andn2_saveexec_b64 s[28:29], s[28:29]
; %bb.678:                              ;   in Loop: Header=BB2_468 Depth=4
	v_bfe_u32 v3, v16, 23, 1
; %bb.679:                              ;   in Loop: Header=BB2_468 Depth=4
	s_or_b64 exec, exec, s[28:29]
	v_lshrrev_b64 v[16:17], 20, v[16:17]
	v_cmp_gt_i32_e32 vcc, 16, v3
	v_cndmask_b32_e32 v17, 0, v17, vcc
	v_cndmask_b32_e32 v16, 7, v16, vcc
	v_cmp_eq_u32_e32 vcc, 0, v3
	v_min_i32_e32 v3, 15, v3
	v_cmp_eq_u64_e64 s[28:29], 0, v[16:17]
	v_lshlrev_b32_e32 v3, 3, v3
	v_and_or_b32 v3, v16, 7, v3
	s_and_b64 s[28:29], vcc, s[28:29]
	v_cndmask_b32_e64 v3, v3, 0, s[28:29]
	v_or_b32_e32 v53, v3, v1
.LBB2_680:                              ;   in Loop: Header=BB2_468 Depth=4
	s_or_b64 exec, exec, s[68:69]
.LBB2_681:                              ;   in Loop: Header=BB2_468 Depth=4
	s_or_b64 exec, exec, s[66:67]
                                        ; implicit-def: $vgpr3
.LBB2_682:                              ;   in Loop: Header=BB2_468 Depth=4
	s_andn2_saveexec_b64 s[28:29], s[64:65]
; %bb.683:                              ;   in Loop: Header=BB2_468 Depth=4
	v_or_b32_sdwa v1, v3, s92 dst_sel:DWORD dst_unused:UNUSED_PAD src0_sel:BYTE_3 src1_sel:DWORD
	v_cmp_eq_u64_e32 vcc, 0, v[60:61]
	v_cndmask_b32_e32 v53, v1, v53, vcc
; %bb.684:                              ;   in Loop: Header=BB2_468 Depth=4
	s_or_b64 exec, exec, s[28:29]
	v_lshrrev_b16_e32 v16, 8, v22
	v_cmp_ne_u16_e32 vcc, 0, v16
	v_mov_b32_e32 v1, 0
	v_mov_b32_e32 v3, 0
	s_and_saveexec_b64 s[28:29], vcc
	s_cbranch_execz .LBB2_690
; %bb.685:                              ;   in Loop: Header=BB2_468 Depth=4
	v_cmp_ne_u16_e32 vcc, s91, v16
	v_bfrev_b32_e32 v3, 1
	s_and_saveexec_b64 s[64:65], vcc
	s_cbranch_execz .LBB2_689
; %bb.686:                              ;   in Loop: Header=BB2_468 Depth=4
	v_and_b32_e32 v6, 0x7f, v16
	v_cmp_ne_u32_e32 vcc, s92, v6
	v_mov_b32_e32 v3, 0x7f800001
	s_and_saveexec_b64 s[66:67], vcc
	s_cbranch_execz .LBB2_688
; %bb.687:                              ;   in Loop: Header=BB2_468 Depth=4
	v_and_b32_e32 v3, 7, v16
	v_ffbh_u32_e32 v17, v3
	v_min_u32_e32 v27, 32, v17
	v_subrev_u32_e32 v17, 28, v27
	v_lshlrev_b64 v[16:17], v17, v[16:17]
	v_lshrrev_b32_e32 v20, 3, v6
	v_sub_u32_e32 v17, 29, v27
	v_and_b32_e32 v16, 7, v16
	v_cmp_gt_u32_e32 vcc, 8, v6
	v_cndmask_b32_e32 v6, v20, v17, vcc
	v_cndmask_b32_e32 v3, v3, v16, vcc
	v_lshlrev_b32_e32 v16, 16, v22
	v_lshlrev_b32_e32 v3, 20, v3
	v_and_b32_e32 v16, 0x80000000, v16
	v_lshl_add_u32 v6, v6, 23, v0
	v_or3_b32 v3, v16, v6, v3
.LBB2_688:                              ;   in Loop: Header=BB2_468 Depth=4
	s_or_b64 exec, exec, s[66:67]
.LBB2_689:                              ;   in Loop: Header=BB2_468 Depth=4
	s_or_b64 exec, exec, s[64:65]
.LBB2_690:                              ;   in Loop: Header=BB2_468 Depth=4
	s_or_b64 exec, exec, s[28:29]
	v_lshrrev_b16_e32 v16, 8, v18
	v_cmp_ne_u16_e32 vcc, 0, v16
	s_and_saveexec_b64 s[28:29], vcc
	s_cbranch_execz .LBB2_696
; %bb.691:                              ;   in Loop: Header=BB2_468 Depth=4
	v_cmp_ne_u16_e32 vcc, s91, v16
	v_bfrev_b32_e32 v1, 1
	s_and_saveexec_b64 s[64:65], vcc
	s_cbranch_execz .LBB2_695
; %bb.692:                              ;   in Loop: Header=BB2_468 Depth=4
	v_and_b32_e32 v6, 0x7f, v16
	v_cmp_ne_u32_e32 vcc, s92, v6
	v_mov_b32_e32 v1, 0x7f800001
	s_and_saveexec_b64 s[66:67], vcc
	s_cbranch_execz .LBB2_694
; %bb.693:                              ;   in Loop: Header=BB2_468 Depth=4
	v_and_b32_e32 v1, 7, v16
	v_ffbh_u32_e32 v17, v1
	v_min_u32_e32 v27, 32, v17
	v_subrev_u32_e32 v17, 28, v27
	v_lshlrev_b64 v[16:17], v17, v[16:17]
	v_lshrrev_b32_e32 v20, 3, v6
	v_sub_u32_e32 v17, 29, v27
	v_and_b32_e32 v16, 7, v16
	v_cmp_gt_u32_e32 vcc, 8, v6
	v_cndmask_b32_e32 v6, v20, v17, vcc
	v_cndmask_b32_e32 v1, v1, v16, vcc
	v_lshlrev_b32_e32 v16, 16, v18
	v_lshlrev_b32_e32 v1, 20, v1
	v_and_b32_e32 v16, 0x80000000, v16
	v_lshl_add_u32 v6, v6, 23, v0
	v_or3_b32 v1, v16, v6, v1
.LBB2_694:                              ;   in Loop: Header=BB2_468 Depth=4
	s_or_b64 exec, exec, s[66:67]
.LBB2_695:                              ;   in Loop: Header=BB2_468 Depth=4
	s_or_b64 exec, exec, s[64:65]
.LBB2_696:                              ;   in Loop: Header=BB2_468 Depth=4
	s_or_b64 exec, exec, s[28:29]
	v_add_f32_e32 v3, v3, v1
	v_and_b32_sdwa v1, v3, s91 dst_sel:DWORD dst_unused:UNUSED_PAD src0_sel:BYTE_3 src1_sel:DWORD
	v_and_b32_e32 v16, 0x7f800000, v3
	v_mov_b32_e32 v17, v61
	v_and_b32_e32 v60, 0x7fffff, v3
	v_or_b32_e32 v28, 0x7e, v1
	v_cmp_ne_u64_e32 vcc, s[54:55], v[16:17]
	s_and_saveexec_b64 s[28:29], vcc
	s_xor_b64 s[64:65], exec, s[28:29]
	s_cbranch_execz .LBB2_706
; %bb.697:                              ;   in Loop: Header=BB2_468 Depth=4
	v_and_b32_e32 v16, 0x7fffffff, v3
	v_mov_b32_e32 v17, v61
	v_cmp_gt_u64_e32 vcc, s[56:57], v[16:17]
	s_and_saveexec_b64 s[66:67], vcc
	s_cbranch_execz .LBB2_705
; %bb.698:                              ;   in Loop: Header=BB2_468 Depth=4
	v_cmp_ne_u32_e32 vcc, 0, v3
	v_mov_b32_e32 v28, 0
	s_and_saveexec_b64 s[68:69], vcc
	s_cbranch_execz .LBB2_704
; %bb.699:                              ;   in Loop: Header=BB2_468 Depth=4
	v_bfe_u32 v3, v3, 23, 8
	v_sub_u32_e32 v16, 0x79, v3
	v_cmp_gt_u32_e32 vcc, s93, v3
	v_add_u32_e32 v6, 0xffffff81, v3
	v_cndmask_b32_e32 v16, 0, v16, vcc
	v_cmp_eq_u32_e32 vcc, 0, v3
	v_mov_b32_e32 v3, 0xffffff82
	v_cndmask_b32_e32 v3, v6, v3, vcc
	v_mov_b32_e32 v6, 0x78
	v_or_b32_e32 v17, 0x800000, v60
	v_cndmask_b32_e32 v6, v16, v6, vcc
	v_cndmask_b32_e32 v60, v17, v60, vcc
	v_add_u32_e32 v16, 20, v6
	v_lshlrev_b64 v[16:17], v16, -1
	v_add_u32_e32 v20, 19, v6
	v_lshrrev_b64 v[32:33], v6, v[60:61]
	v_not_b32_e32 v17, v17
	v_not_b32_e32 v16, v16
	v_lshlrev_b64 v[28:29], v20, 1
	v_lshrrev_b32_e32 v20, 23, v32
	v_and_b32_e32 v17, 0, v17
	v_and_b32_e32 v16, v60, v16
	v_add3_u32 v20, v6, v3, v20
	v_bfe_u32 v3, v32, 20, 1
	v_add_u32_e32 v3, -1, v3
	v_cmp_eq_u64_e32 vcc, v[16:17], v[28:29]
	v_cndmask_b32_e32 v3, 0, v3, vcc
	v_add_u32_e32 v3, v3, v32
	v_and_b32_e32 v3, 0xfffff, v3
	v_add_co_u32_e32 v16, vcc, v3, v32
	v_add_u32_e32 v6, 6, v20
	v_addc_co_u32_e32 v17, vcc, 0, v33, vcc
	v_cmp_ne_u32_e32 vcc, 0, v6
                                        ; implicit-def: $vgpr3
	s_and_saveexec_b64 s[28:29], vcc
	s_xor_b64 s[28:29], exec, s[28:29]
; %bb.700:                              ;   in Loop: Header=BB2_468 Depth=4
	v_add_u32_e32 v3, 7, v20
	v_cmp_lt_u64_e32 vcc, s[58:59], v[16:17]
	v_cndmask_b32_e32 v3, v6, v3, vcc
	v_cndmask_b32_e64 v6, 0, 1, vcc
	v_lshrrev_b64 v[16:17], v6, v[16:17]
; %bb.701:                              ;   in Loop: Header=BB2_468 Depth=4
	s_andn2_saveexec_b64 s[28:29], s[28:29]
; %bb.702:                              ;   in Loop: Header=BB2_468 Depth=4
	v_bfe_u32 v3, v16, 23, 1
; %bb.703:                              ;   in Loop: Header=BB2_468 Depth=4
	s_or_b64 exec, exec, s[28:29]
	v_lshrrev_b64 v[16:17], 20, v[16:17]
	v_cmp_gt_i32_e32 vcc, 16, v3
	v_cndmask_b32_e32 v17, 0, v17, vcc
	v_cndmask_b32_e32 v16, 7, v16, vcc
	v_cmp_eq_u32_e32 vcc, 0, v3
	v_min_i32_e32 v3, 15, v3
	v_cmp_eq_u64_e64 s[28:29], 0, v[16:17]
	v_lshlrev_b32_e32 v3, 3, v3
	v_and_or_b32 v3, v16, 7, v3
	s_and_b64 s[28:29], vcc, s[28:29]
	v_cndmask_b32_e64 v3, v3, 0, s[28:29]
	v_or_b32_e32 v28, v3, v1
.LBB2_704:                              ;   in Loop: Header=BB2_468 Depth=4
	s_or_b64 exec, exec, s[68:69]
.LBB2_705:                              ;   in Loop: Header=BB2_468 Depth=4
	s_or_b64 exec, exec, s[66:67]
                                        ; implicit-def: $vgpr3
.LBB2_706:                              ;   in Loop: Header=BB2_468 Depth=4
	s_andn2_saveexec_b64 s[28:29], s[64:65]
; %bb.707:                              ;   in Loop: Header=BB2_468 Depth=4
	v_or_b32_sdwa v1, v3, s92 dst_sel:DWORD dst_unused:UNUSED_PAD src0_sel:BYTE_3 src1_sel:DWORD
	v_cmp_eq_u64_e32 vcc, 0, v[60:61]
	v_cndmask_b32_e32 v28, v1, v28, vcc
; %bb.708:                              ;   in Loop: Header=BB2_468 Depth=4
	s_or_b64 exec, exec, s[28:29]
	v_lshrrev_b32_e32 v16, 16, v22
	v_cmp_ne_u16_sdwa vcc, v16, v61 src0_sel:BYTE_0 src1_sel:DWORD
	v_mov_b32_e32 v1, 0
	v_mov_b32_e32 v3, 0
	s_and_saveexec_b64 s[28:29], vcc
	s_cbranch_execz .LBB2_714
; %bb.709:                              ;   in Loop: Header=BB2_468 Depth=4
	v_cmp_ne_u16_sdwa vcc, v16, s91 src0_sel:BYTE_0 src1_sel:DWORD
	v_bfrev_b32_e32 v3, 1
	s_and_saveexec_b64 s[64:65], vcc
	s_cbranch_execz .LBB2_713
; %bb.710:                              ;   in Loop: Header=BB2_468 Depth=4
	v_bfe_u32 v6, v22, 16, 7
	v_cmp_ne_u32_e32 vcc, s92, v6
	v_mov_b32_e32 v3, 0x7f800001
	s_and_saveexec_b64 s[66:67], vcc
	s_cbranch_execz .LBB2_712
; %bb.711:                              ;   in Loop: Header=BB2_468 Depth=4
	v_and_b32_e32 v3, 7, v16
	v_ffbh_u32_e32 v20, v3
	v_min_u32_e32 v20, 32, v20
	v_lshrrev_b32_e32 v17, 3, v6
	v_subrev_u32_e32 v27, 28, v20
	v_lshlrev_b64 v[32:33], v27, v[16:17]
	v_sub_u32_e32 v20, 29, v20
	v_and_b32_e32 v27, 7, v32
	v_cmp_gt_u32_e32 vcc, 8, v6
	v_cndmask_b32_e32 v6, v17, v20, vcc
	v_cndmask_b32_e32 v3, v3, v27, vcc
	v_lshlrev_b32_e32 v16, 24, v16
	v_lshlrev_b32_e32 v3, 20, v3
	v_and_b32_e32 v16, 0x80000000, v16
	v_lshl_add_u32 v6, v6, 23, v0
	v_or3_b32 v3, v16, v6, v3
.LBB2_712:                              ;   in Loop: Header=BB2_468 Depth=4
	s_or_b64 exec, exec, s[66:67]
.LBB2_713:                              ;   in Loop: Header=BB2_468 Depth=4
	s_or_b64 exec, exec, s[64:65]
.LBB2_714:                              ;   in Loop: Header=BB2_468 Depth=4
	s_or_b64 exec, exec, s[28:29]
	v_lshrrev_b32_e32 v16, 16, v18
	v_cmp_ne_u16_sdwa vcc, v16, v61 src0_sel:BYTE_0 src1_sel:DWORD
	s_and_saveexec_b64 s[28:29], vcc
	s_cbranch_execz .LBB2_720
; %bb.715:                              ;   in Loop: Header=BB2_468 Depth=4
	v_cmp_ne_u16_sdwa vcc, v16, s91 src0_sel:BYTE_0 src1_sel:DWORD
	v_bfrev_b32_e32 v1, 1
	s_and_saveexec_b64 s[64:65], vcc
	s_cbranch_execz .LBB2_719
; %bb.716:                              ;   in Loop: Header=BB2_468 Depth=4
	v_bfe_u32 v6, v18, 16, 7
	v_cmp_ne_u32_e32 vcc, s92, v6
	v_mov_b32_e32 v1, 0x7f800001
	s_and_saveexec_b64 s[66:67], vcc
	s_cbranch_execz .LBB2_718
; %bb.717:                              ;   in Loop: Header=BB2_468 Depth=4
	v_and_b32_e32 v1, 7, v16
	v_ffbh_u32_e32 v17, v1
	v_min_u32_e32 v27, 32, v17
	v_subrev_u32_e32 v17, 28, v27
	v_lshlrev_b64 v[16:17], v17, v[16:17]
	v_lshrrev_b32_e32 v20, 3, v6
	v_sub_u32_e32 v17, 29, v27
	v_and_b32_e32 v16, 7, v16
	v_cmp_gt_u32_e32 vcc, 8, v6
	v_cndmask_b32_e32 v6, v20, v17, vcc
	v_cndmask_b32_e32 v1, v1, v16, vcc
	v_lshlrev_b32_e32 v16, 8, v18
	v_lshlrev_b32_e32 v1, 20, v1
	v_and_b32_e32 v16, 0x80000000, v16
	v_lshl_add_u32 v6, v6, 23, v0
	v_or3_b32 v1, v16, v6, v1
.LBB2_718:                              ;   in Loop: Header=BB2_468 Depth=4
	s_or_b64 exec, exec, s[66:67]
.LBB2_719:                              ;   in Loop: Header=BB2_468 Depth=4
	s_or_b64 exec, exec, s[64:65]
.LBB2_720:                              ;   in Loop: Header=BB2_468 Depth=4
	s_or_b64 exec, exec, s[28:29]
	v_add_f32_e32 v3, v3, v1
	v_and_b32_sdwa v1, v3, s91 dst_sel:DWORD dst_unused:UNUSED_PAD src0_sel:BYTE_3 src1_sel:DWORD
	v_and_b32_e32 v16, 0x7f800000, v3
	v_mov_b32_e32 v17, v61
	v_and_b32_e32 v60, 0x7fffff, v3
	v_or_b32_e32 v29, 0x7e, v1
	v_cmp_ne_u64_e32 vcc, s[54:55], v[16:17]
	s_and_saveexec_b64 s[28:29], vcc
	s_xor_b64 s[64:65], exec, s[28:29]
	s_cbranch_execz .LBB2_730
; %bb.721:                              ;   in Loop: Header=BB2_468 Depth=4
	v_and_b32_e32 v16, 0x7fffffff, v3
	v_mov_b32_e32 v17, v61
	v_cmp_gt_u64_e32 vcc, s[56:57], v[16:17]
	s_and_saveexec_b64 s[66:67], vcc
	s_cbranch_execz .LBB2_729
; %bb.722:                              ;   in Loop: Header=BB2_468 Depth=4
	v_cmp_ne_u32_e32 vcc, 0, v3
	v_mov_b32_e32 v29, 0
	s_and_saveexec_b64 s[68:69], vcc
	s_cbranch_execz .LBB2_728
; %bb.723:                              ;   in Loop: Header=BB2_468 Depth=4
	v_bfe_u32 v3, v3, 23, 8
	v_sub_u32_e32 v16, 0x79, v3
	v_cmp_gt_u32_e32 vcc, s93, v3
	v_add_u32_e32 v6, 0xffffff81, v3
	v_cndmask_b32_e32 v16, 0, v16, vcc
	v_cmp_eq_u32_e32 vcc, 0, v3
	v_mov_b32_e32 v3, 0xffffff82
	v_cndmask_b32_e32 v3, v6, v3, vcc
	v_mov_b32_e32 v6, 0x78
	v_or_b32_e32 v17, 0x800000, v60
	v_cndmask_b32_e32 v6, v16, v6, vcc
	v_cndmask_b32_e32 v60, v17, v60, vcc
	v_add_u32_e32 v16, 20, v6
	v_lshlrev_b64 v[16:17], v16, -1
	v_add_u32_e32 v20, 19, v6
	v_lshrrev_b64 v[34:35], v6, v[60:61]
	v_not_b32_e32 v17, v17
	v_not_b32_e32 v16, v16
	v_lshlrev_b64 v[32:33], v20, 1
	v_lshrrev_b32_e32 v20, 23, v34
	v_and_b32_e32 v17, 0, v17
	v_and_b32_e32 v16, v60, v16
	v_add3_u32 v20, v6, v3, v20
	v_bfe_u32 v3, v34, 20, 1
	v_add_u32_e32 v3, -1, v3
	v_cmp_eq_u64_e32 vcc, v[16:17], v[32:33]
	v_cndmask_b32_e32 v3, 0, v3, vcc
	v_add_u32_e32 v3, v3, v34
	v_and_b32_e32 v3, 0xfffff, v3
	v_add_co_u32_e32 v16, vcc, v3, v34
	v_add_u32_e32 v6, 6, v20
	v_addc_co_u32_e32 v17, vcc, 0, v35, vcc
	v_cmp_ne_u32_e32 vcc, 0, v6
                                        ; implicit-def: $vgpr3
	s_and_saveexec_b64 s[28:29], vcc
	s_xor_b64 s[28:29], exec, s[28:29]
; %bb.724:                              ;   in Loop: Header=BB2_468 Depth=4
	v_add_u32_e32 v3, 7, v20
	v_cmp_lt_u64_e32 vcc, s[58:59], v[16:17]
	v_cndmask_b32_e32 v3, v6, v3, vcc
	v_cndmask_b32_e64 v6, 0, 1, vcc
	v_lshrrev_b64 v[16:17], v6, v[16:17]
; %bb.725:                              ;   in Loop: Header=BB2_468 Depth=4
	s_andn2_saveexec_b64 s[28:29], s[28:29]
; %bb.726:                              ;   in Loop: Header=BB2_468 Depth=4
	v_bfe_u32 v3, v16, 23, 1
; %bb.727:                              ;   in Loop: Header=BB2_468 Depth=4
	s_or_b64 exec, exec, s[28:29]
	v_lshrrev_b64 v[16:17], 20, v[16:17]
	v_cmp_gt_i32_e32 vcc, 16, v3
	v_cndmask_b32_e32 v17, 0, v17, vcc
	v_cndmask_b32_e32 v16, 7, v16, vcc
	v_cmp_eq_u32_e32 vcc, 0, v3
	v_min_i32_e32 v3, 15, v3
	v_cmp_eq_u64_e64 s[28:29], 0, v[16:17]
	v_lshlrev_b32_e32 v3, 3, v3
	v_and_or_b32 v3, v16, 7, v3
	s_and_b64 s[28:29], vcc, s[28:29]
	v_cndmask_b32_e64 v3, v3, 0, s[28:29]
	v_or_b32_e32 v29, v3, v1
.LBB2_728:                              ;   in Loop: Header=BB2_468 Depth=4
	s_or_b64 exec, exec, s[68:69]
.LBB2_729:                              ;   in Loop: Header=BB2_468 Depth=4
	s_or_b64 exec, exec, s[66:67]
                                        ; implicit-def: $vgpr3
.LBB2_730:                              ;   in Loop: Header=BB2_468 Depth=4
	s_andn2_saveexec_b64 s[28:29], s[64:65]
; %bb.731:                              ;   in Loop: Header=BB2_468 Depth=4
	v_or_b32_sdwa v1, v3, s92 dst_sel:DWORD dst_unused:UNUSED_PAD src0_sel:BYTE_3 src1_sel:DWORD
	v_cmp_eq_u64_e32 vcc, 0, v[60:61]
	v_cndmask_b32_e32 v29, v1, v29, vcc
; %bb.732:                              ;   in Loop: Header=BB2_468 Depth=4
	s_or_b64 exec, exec, s[28:29]
	v_cmp_lt_u32_e32 vcc, s45, v22
	v_mov_b32_e32 v1, 0
	v_mov_b32_e32 v3, 0
	s_and_saveexec_b64 s[28:29], vcc
	s_cbranch_execz .LBB2_738
; %bb.733:                              ;   in Loop: Header=BB2_468 Depth=4
	v_lshrrev_b32_e32 v16, 24, v22
	v_cmp_ne_u32_e32 vcc, s91, v16
	v_bfrev_b32_e32 v3, 1
	s_and_saveexec_b64 s[64:65], vcc
	s_cbranch_execz .LBB2_737
; %bb.734:                              ;   in Loop: Header=BB2_468 Depth=4
	v_bfe_u32 v6, v22, 24, 7
	v_cmp_ne_u32_e32 vcc, s92, v6
	v_mov_b32_e32 v3, 0x7f800001
	s_and_saveexec_b64 s[66:67], vcc
	s_cbranch_execz .LBB2_736
; %bb.735:                              ;   in Loop: Header=BB2_468 Depth=4
	v_and_b32_e32 v3, 7, v16
	v_ffbh_u32_e32 v20, v3
	v_min_u32_e32 v20, 32, v20
	v_lshrrev_b32_e32 v17, 3, v6
	v_subrev_u32_e32 v27, 28, v20
	v_lshlrev_b64 v[32:33], v27, v[16:17]
	v_sub_u32_e32 v20, 29, v20
	v_and_b32_e32 v27, 7, v32
	v_cmp_gt_u32_e32 vcc, 8, v6
	v_cndmask_b32_e32 v6, v17, v20, vcc
	v_cndmask_b32_e32 v3, v3, v27, vcc
	v_lshlrev_b32_e32 v16, 24, v16
	v_lshlrev_b32_e32 v3, 20, v3
	v_and_b32_e32 v16, 0x80000000, v16
	v_lshl_add_u32 v6, v6, 23, v0
	v_or3_b32 v3, v16, v6, v3
.LBB2_736:                              ;   in Loop: Header=BB2_468 Depth=4
	s_or_b64 exec, exec, s[66:67]
.LBB2_737:                              ;   in Loop: Header=BB2_468 Depth=4
	s_or_b64 exec, exec, s[64:65]
.LBB2_738:                              ;   in Loop: Header=BB2_468 Depth=4
	s_or_b64 exec, exec, s[28:29]
	v_cmp_lt_u32_e32 vcc, s45, v18
	s_and_saveexec_b64 s[28:29], vcc
	s_cbranch_execz .LBB2_744
; %bb.739:                              ;   in Loop: Header=BB2_468 Depth=4
	v_lshrrev_b32_e32 v16, 24, v18
	v_cmp_ne_u32_e32 vcc, s91, v16
	v_bfrev_b32_e32 v1, 1
	s_and_saveexec_b64 s[64:65], vcc
	s_cbranch_execz .LBB2_743
; %bb.740:                              ;   in Loop: Header=BB2_468 Depth=4
	v_bfe_u32 v6, v18, 24, 7
	v_cmp_ne_u32_e32 vcc, s92, v6
	v_mov_b32_e32 v1, 0x7f800001
	s_and_saveexec_b64 s[66:67], vcc
	s_cbranch_execz .LBB2_742
; %bb.741:                              ;   in Loop: Header=BB2_468 Depth=4
	v_and_b32_e32 v1, 7, v16
	v_ffbh_u32_e32 v20, v1
	v_min_u32_e32 v20, 32, v20
	v_lshrrev_b32_e32 v17, 3, v6
	v_subrev_u32_e32 v27, 28, v20
	v_lshlrev_b64 v[32:33], v27, v[16:17]
	v_sub_u32_e32 v20, 29, v20
	v_and_b32_e32 v27, 7, v32
	v_cmp_gt_u32_e32 vcc, 8, v6
	v_cndmask_b32_e32 v6, v17, v20, vcc
	v_cndmask_b32_e32 v1, v1, v27, vcc
	v_lshlrev_b32_e32 v16, 24, v16
	v_lshlrev_b32_e32 v1, 20, v1
	v_and_b32_e32 v16, 0x80000000, v16
	v_lshl_add_u32 v6, v6, 23, v0
	v_or3_b32 v1, v16, v6, v1
.LBB2_742:                              ;   in Loop: Header=BB2_468 Depth=4
	s_or_b64 exec, exec, s[66:67]
.LBB2_743:                              ;   in Loop: Header=BB2_468 Depth=4
	s_or_b64 exec, exec, s[64:65]
.LBB2_744:                              ;   in Loop: Header=BB2_468 Depth=4
	s_or_b64 exec, exec, s[28:29]
	v_add_f32_e32 v3, v3, v1
	v_and_b32_sdwa v1, v3, s91 dst_sel:DWORD dst_unused:UNUSED_PAD src0_sel:BYTE_3 src1_sel:DWORD
	v_and_b32_e32 v16, 0x7f800000, v3
	v_mov_b32_e32 v17, v61
	v_and_b32_e32 v60, 0x7fffff, v3
	v_or_b32_e32 v6, 0x7e, v1
	v_cmp_ne_u64_e32 vcc, s[54:55], v[16:17]
	s_and_saveexec_b64 s[28:29], vcc
	s_xor_b64 s[64:65], exec, s[28:29]
	s_cbranch_execz .LBB2_754
; %bb.745:                              ;   in Loop: Header=BB2_468 Depth=4
	v_and_b32_e32 v16, 0x7fffffff, v3
	v_mov_b32_e32 v17, v61
	v_cmp_gt_u64_e32 vcc, s[56:57], v[16:17]
	s_and_saveexec_b64 s[66:67], vcc
	s_cbranch_execz .LBB2_753
; %bb.746:                              ;   in Loop: Header=BB2_468 Depth=4
	v_cmp_ne_u32_e32 vcc, 0, v3
	v_mov_b32_e32 v6, 0
	s_and_saveexec_b64 s[68:69], vcc
	s_cbranch_execz .LBB2_752
; %bb.747:                              ;   in Loop: Header=BB2_468 Depth=4
	v_bfe_u32 v3, v3, 23, 8
	v_sub_u32_e32 v16, 0x79, v3
	v_cmp_gt_u32_e32 vcc, s93, v3
	v_add_u32_e32 v6, 0xffffff81, v3
	v_cndmask_b32_e32 v16, 0, v16, vcc
	v_cmp_eq_u32_e32 vcc, 0, v3
	v_mov_b32_e32 v3, 0xffffff82
	v_cndmask_b32_e32 v3, v6, v3, vcc
	v_mov_b32_e32 v6, 0x78
	v_or_b32_e32 v17, 0x800000, v60
	v_cndmask_b32_e32 v6, v16, v6, vcc
	v_cndmask_b32_e32 v60, v17, v60, vcc
	v_add_u32_e32 v16, 20, v6
	v_lshlrev_b64 v[16:17], v16, -1
	v_add_u32_e32 v20, 19, v6
	v_lshrrev_b64 v[34:35], v6, v[60:61]
	v_not_b32_e32 v17, v17
	v_not_b32_e32 v16, v16
	v_lshlrev_b64 v[32:33], v20, 1
	v_lshrrev_b32_e32 v20, 23, v34
	v_and_b32_e32 v17, 0, v17
	v_and_b32_e32 v16, v60, v16
	v_add3_u32 v20, v6, v3, v20
	v_bfe_u32 v3, v34, 20, 1
	v_add_u32_e32 v3, -1, v3
	v_cmp_eq_u64_e32 vcc, v[16:17], v[32:33]
	v_cndmask_b32_e32 v3, 0, v3, vcc
	v_add_u32_e32 v3, v3, v34
	v_and_b32_e32 v3, 0xfffff, v3
	v_add_co_u32_e32 v16, vcc, v3, v34
	v_add_u32_e32 v6, 6, v20
	v_addc_co_u32_e32 v17, vcc, 0, v35, vcc
	v_cmp_ne_u32_e32 vcc, 0, v6
                                        ; implicit-def: $vgpr3
	s_and_saveexec_b64 s[28:29], vcc
	s_xor_b64 s[28:29], exec, s[28:29]
; %bb.748:                              ;   in Loop: Header=BB2_468 Depth=4
	v_add_u32_e32 v3, 7, v20
	v_cmp_lt_u64_e32 vcc, s[58:59], v[16:17]
	v_cndmask_b32_e32 v3, v6, v3, vcc
	v_cndmask_b32_e64 v6, 0, 1, vcc
	v_lshrrev_b64 v[16:17], v6, v[16:17]
; %bb.749:                              ;   in Loop: Header=BB2_468 Depth=4
	s_andn2_saveexec_b64 s[28:29], s[28:29]
; %bb.750:                              ;   in Loop: Header=BB2_468 Depth=4
	v_bfe_u32 v3, v16, 23, 1
; %bb.751:                              ;   in Loop: Header=BB2_468 Depth=4
	s_or_b64 exec, exec, s[28:29]
	v_lshrrev_b64 v[16:17], 20, v[16:17]
	v_cmp_gt_i32_e32 vcc, 16, v3
	v_cndmask_b32_e32 v17, 0, v17, vcc
	v_cndmask_b32_e32 v16, 7, v16, vcc
	v_cmp_eq_u32_e32 vcc, 0, v3
	v_min_i32_e32 v3, 15, v3
	v_cmp_eq_u64_e64 s[28:29], 0, v[16:17]
	v_lshlrev_b32_e32 v3, 3, v3
	v_and_or_b32 v3, v16, 7, v3
	s_and_b64 s[28:29], vcc, s[28:29]
	v_cndmask_b32_e64 v3, v3, 0, s[28:29]
	v_or_b32_e32 v6, v3, v1
.LBB2_752:                              ;   in Loop: Header=BB2_468 Depth=4
	s_or_b64 exec, exec, s[68:69]
.LBB2_753:                              ;   in Loop: Header=BB2_468 Depth=4
	s_or_b64 exec, exec, s[66:67]
                                        ; implicit-def: $vgpr3
.LBB2_754:                              ;   in Loop: Header=BB2_468 Depth=4
	s_andn2_saveexec_b64 s[28:29], s[64:65]
; %bb.755:                              ;   in Loop: Header=BB2_468 Depth=4
	v_or_b32_sdwa v1, v3, s92 dst_sel:DWORD dst_unused:UNUSED_PAD src0_sel:BYTE_3 src1_sel:DWORD
	v_cmp_eq_u64_e32 vcc, 0, v[60:61]
	v_cndmask_b32_e32 v6, v1, v6, vcc
; %bb.756:                              ;   in Loop: Header=BB2_468 Depth=4
	s_or_b64 exec, exec, s[28:29]
	v_mov_b32_e32 v60, v23
	v_cmp_ne_u16_sdwa vcc, v23, v61 src0_sel:BYTE_0 src1_sel:DWORD
	v_mov_b32_e32 v3, 0
	v_mov_b32_e32 v1, 0
	s_and_saveexec_b64 s[28:29], vcc
	s_cbranch_execz .LBB2_762
; %bb.757:                              ;   in Loop: Header=BB2_468 Depth=4
	v_cmp_ne_u16_sdwa vcc, v23, s91 src0_sel:BYTE_0 src1_sel:DWORD
	v_bfrev_b32_e32 v1, 1
	s_and_saveexec_b64 s[64:65], vcc
	s_cbranch_execz .LBB2_761
; %bb.758:                              ;   in Loop: Header=BB2_468 Depth=4
	v_and_b32_e32 v16, 0x7f, v23
	v_cmp_ne_u32_e32 vcc, s92, v16
	v_mov_b32_e32 v1, 0x7f800001
	s_and_saveexec_b64 s[66:67], vcc
	s_cbranch_execz .LBB2_760
; %bb.759:                              ;   in Loop: Header=BB2_468 Depth=4
	v_and_b32_e32 v1, 7, v23
	v_ffbh_u32_e32 v1, v1
	v_min_u32_e32 v1, 32, v1
	v_subrev_u32_e32 v20, 28, v1
	v_cmp_gt_u32_e32 vcc, 8, v16
	v_lshrrev_b32_e32 v17, 3, v16
	v_sub_u32_e32 v1, 29, v1
	v_cndmask_b32_e32 v16, 0, v20, vcc
	v_cndmask_b32_e32 v1, v17, v1, vcc
	v_lshlrev_b64 v[16:17], v16, v[60:61]
	v_lshlrev_b32_e32 v16, 20, v16
	v_lshlrev_b32_e32 v17, 24, v60
	v_and_b32_e32 v16, 0x700000, v16
	v_and_b32_e32 v17, 0x80000000, v17
	v_lshl_add_u32 v1, v1, 23, v0
	v_or3_b32 v1, v17, v1, v16
.LBB2_760:                              ;   in Loop: Header=BB2_468 Depth=4
	s_or_b64 exec, exec, s[66:67]
.LBB2_761:                              ;   in Loop: Header=BB2_468 Depth=4
	s_or_b64 exec, exec, s[64:65]
.LBB2_762:                              ;   in Loop: Header=BB2_468 Depth=4
	s_or_b64 exec, exec, s[28:29]
	v_cmp_ne_u16_sdwa vcc, v19, v61 src0_sel:BYTE_0 src1_sel:DWORD
	s_and_saveexec_b64 s[28:29], vcc
	s_cbranch_execz .LBB2_768
; %bb.763:                              ;   in Loop: Header=BB2_468 Depth=4
	v_cmp_ne_u16_sdwa vcc, v19, s91 src0_sel:BYTE_0 src1_sel:DWORD
	v_bfrev_b32_e32 v3, 1
	s_and_saveexec_b64 s[64:65], vcc
	s_cbranch_execz .LBB2_767
; %bb.764:                              ;   in Loop: Header=BB2_468 Depth=4
	v_and_b32_e32 v16, 0x7f, v19
	v_cmp_ne_u32_e32 vcc, s92, v16
	v_mov_b32_e32 v3, 0x7f800001
	s_and_saveexec_b64 s[66:67], vcc
	s_cbranch_execz .LBB2_766
; %bb.765:                              ;   in Loop: Header=BB2_468 Depth=4
	v_and_b32_e32 v3, 7, v19
	v_ffbh_u32_e32 v3, v3
	v_min_u32_e32 v3, 32, v3
	v_subrev_u32_e32 v20, 28, v3
	v_cmp_gt_u32_e32 vcc, 8, v16
	v_mov_b32_e32 v32, v19
	v_mov_b32_e32 v33, v61
	v_lshrrev_b32_e32 v17, 3, v16
	v_sub_u32_e32 v3, 29, v3
	v_cndmask_b32_e32 v16, 0, v20, vcc
	v_cndmask_b32_e32 v3, v17, v3, vcc
	v_lshlrev_b64 v[16:17], v16, v[32:33]
	v_lshlrev_b32_e32 v16, 20, v16
	v_lshlrev_b32_e32 v17, 24, v32
	v_and_b32_e32 v16, 0x700000, v16
	v_and_b32_e32 v17, 0x80000000, v17
	v_lshl_add_u32 v3, v3, 23, v0
	v_or3_b32 v3, v17, v3, v16
.LBB2_766:                              ;   in Loop: Header=BB2_468 Depth=4
	s_or_b64 exec, exec, s[66:67]
.LBB2_767:                              ;   in Loop: Header=BB2_468 Depth=4
	s_or_b64 exec, exec, s[64:65]
.LBB2_768:                              ;   in Loop: Header=BB2_468 Depth=4
	s_or_b64 exec, exec, s[28:29]
	v_add_f32_e32 v3, v1, v3
	v_and_b32_sdwa v1, v3, s91 dst_sel:DWORD dst_unused:UNUSED_PAD src0_sel:BYTE_3 src1_sel:DWORD
	v_and_b32_e32 v32, 0x7f800000, v3
	v_mov_b32_e32 v33, v61
	v_and_b32_e32 v16, 0x7fffff, v3
	v_mov_b32_e32 v17, v61
	v_or_b32_e32 v55, 0x7e, v1
	v_cmp_ne_u64_e32 vcc, s[54:55], v[32:33]
	s_and_saveexec_b64 s[28:29], vcc
	s_xor_b64 s[64:65], exec, s[28:29]
	s_cbranch_execz .LBB2_778
; %bb.769:                              ;   in Loop: Header=BB2_468 Depth=4
	v_and_b32_e32 v32, 0x7fffffff, v3
	v_mov_b32_e32 v33, v61
	v_cmp_gt_u64_e32 vcc, s[56:57], v[32:33]
	s_and_saveexec_b64 s[66:67], vcc
	s_cbranch_execz .LBB2_777
; %bb.770:                              ;   in Loop: Header=BB2_468 Depth=4
	v_cmp_ne_u32_e32 vcc, 0, v3
	v_mov_b32_e32 v55, 0
	s_and_saveexec_b64 s[68:69], vcc
	s_cbranch_execz .LBB2_776
; %bb.771:                              ;   in Loop: Header=BB2_468 Depth=4
	v_bfe_u32 v3, v3, 23, 8
	v_sub_u32_e32 v27, 0x79, v3
	v_cmp_gt_u32_e32 vcc, s93, v3
	v_add_u32_e32 v20, 0xffffff81, v3
	v_cndmask_b32_e32 v27, 0, v27, vcc
	v_cmp_eq_u32_e32 vcc, 0, v3
	v_mov_b32_e32 v3, 0xffffff82
	v_cndmask_b32_e32 v3, v20, v3, vcc
	v_mov_b32_e32 v20, 0x78
	v_cndmask_b32_e32 v20, v27, v20, vcc
	v_add_u32_e32 v27, 20, v20
	v_or_b32_e32 v31, 0x800000, v16
	v_lshlrev_b64 v[32:33], v27, -1
	v_cndmask_b32_e32 v16, v31, v16, vcc
	v_not_b32_e32 v27, v33
	v_not_b32_e32 v31, v32
	v_and_b32_e32 v33, 0, v27
	v_and_b32_e32 v32, v16, v31
	v_add_u32_e32 v27, 19, v20
	v_lshrrev_b64 v[16:17], v20, v[16:17]
	v_lshlrev_b64 v[34:35], v27, 1
	v_lshrrev_b32_e32 v27, 23, v16
	v_add3_u32 v27, v20, v3, v27
	v_bfe_u32 v3, v16, 20, 1
	v_add_u32_e32 v3, -1, v3
	v_cmp_eq_u64_e32 vcc, v[32:33], v[34:35]
	v_cndmask_b32_e32 v3, 0, v3, vcc
	v_add_u32_e32 v3, v3, v16
	v_and_b32_e32 v3, 0xfffff, v3
	v_add_co_u32_e32 v16, vcc, v3, v16
	v_add_u32_e32 v20, 6, v27
	v_addc_co_u32_e32 v17, vcc, 0, v17, vcc
	v_cmp_ne_u32_e32 vcc, 0, v20
                                        ; implicit-def: $vgpr3
	s_and_saveexec_b64 s[28:29], vcc
	s_xor_b64 s[28:29], exec, s[28:29]
; %bb.772:                              ;   in Loop: Header=BB2_468 Depth=4
	v_add_u32_e32 v3, 7, v27
	v_cmp_lt_u64_e32 vcc, s[58:59], v[16:17]
	v_cndmask_b32_e32 v3, v20, v3, vcc
	v_cndmask_b32_e64 v20, 0, 1, vcc
	v_lshrrev_b64 v[16:17], v20, v[16:17]
; %bb.773:                              ;   in Loop: Header=BB2_468 Depth=4
	s_andn2_saveexec_b64 s[28:29], s[28:29]
; %bb.774:                              ;   in Loop: Header=BB2_468 Depth=4
	v_bfe_u32 v3, v16, 23, 1
; %bb.775:                              ;   in Loop: Header=BB2_468 Depth=4
	s_or_b64 exec, exec, s[28:29]
	v_lshrrev_b64 v[16:17], 20, v[16:17]
	v_cmp_gt_i32_e32 vcc, 16, v3
	v_cndmask_b32_e32 v17, 0, v17, vcc
	v_cndmask_b32_e32 v16, 7, v16, vcc
	v_cmp_eq_u32_e32 vcc, 0, v3
	v_min_i32_e32 v3, 15, v3
	v_cmp_eq_u64_e64 s[28:29], 0, v[16:17]
	v_lshlrev_b32_e32 v3, 3, v3
	v_and_or_b32 v3, v16, 7, v3
	s_and_b64 s[28:29], vcc, s[28:29]
	v_cndmask_b32_e64 v3, v3, 0, s[28:29]
	v_or_b32_e32 v55, v3, v1
.LBB2_776:                              ;   in Loop: Header=BB2_468 Depth=4
	s_or_b64 exec, exec, s[68:69]
.LBB2_777:                              ;   in Loop: Header=BB2_468 Depth=4
	s_or_b64 exec, exec, s[66:67]
                                        ; implicit-def: $vgpr3
                                        ; implicit-def: $vgpr16_vgpr17
.LBB2_778:                              ;   in Loop: Header=BB2_468 Depth=4
	s_andn2_saveexec_b64 s[28:29], s[64:65]
; %bb.779:                              ;   in Loop: Header=BB2_468 Depth=4
	v_or_b32_sdwa v1, v3, s92 dst_sel:DWORD dst_unused:UNUSED_PAD src0_sel:BYTE_3 src1_sel:DWORD
	v_cmp_eq_u64_e32 vcc, 0, v[16:17]
	v_cndmask_b32_e32 v55, v1, v55, vcc
; %bb.780:                              ;   in Loop: Header=BB2_468 Depth=4
	s_or_b64 exec, exec, s[28:29]
	v_lshrrev_b16_e32 v16, 8, v60
	v_cmp_ne_u16_e32 vcc, 0, v16
	v_mov_b32_e32 v1, 0
	v_mov_b32_e32 v3, 0
	s_and_saveexec_b64 s[28:29], vcc
	s_cbranch_execz .LBB2_786
; %bb.781:                              ;   in Loop: Header=BB2_468 Depth=4
	v_cmp_ne_u16_e32 vcc, s91, v16
	v_bfrev_b32_e32 v3, 1
	s_and_saveexec_b64 s[64:65], vcc
	s_cbranch_execz .LBB2_785
; %bb.782:                              ;   in Loop: Header=BB2_468 Depth=4
	v_and_b32_e32 v17, 0x7f, v16
	v_cmp_ne_u32_e32 vcc, s92, v17
	v_mov_b32_e32 v3, 0x7f800001
	s_and_saveexec_b64 s[66:67], vcc
	s_cbranch_execz .LBB2_784
; %bb.783:                              ;   in Loop: Header=BB2_468 Depth=4
	v_and_b32_e32 v3, 7, v16
	v_ffbh_u32_e32 v27, v3
	v_min_u32_e32 v27, 32, v27
	v_subrev_u32_e32 v31, 28, v27
	v_lshlrev_b64 v[32:33], v31, v[16:17]
	v_lshrrev_b32_e32 v20, 3, v17
	v_sub_u32_e32 v16, 29, v27
	v_and_b32_e32 v27, 7, v32
	v_cmp_gt_u32_e32 vcc, 8, v17
	v_cndmask_b32_e32 v16, v20, v16, vcc
	v_cndmask_b32_e32 v3, v3, v27, vcc
	v_lshlrev_b32_e32 v17, 16, v60
	v_lshlrev_b32_e32 v3, 20, v3
	v_and_b32_e32 v17, 0x80000000, v17
	v_lshl_add_u32 v16, v16, 23, v0
	v_or3_b32 v3, v17, v16, v3
.LBB2_784:                              ;   in Loop: Header=BB2_468 Depth=4
	s_or_b64 exec, exec, s[66:67]
.LBB2_785:                              ;   in Loop: Header=BB2_468 Depth=4
	s_or_b64 exec, exec, s[64:65]
.LBB2_786:                              ;   in Loop: Header=BB2_468 Depth=4
	s_or_b64 exec, exec, s[28:29]
	v_mov_b32_e32 v16, v19
	v_lshrrev_b16_e32 v20, 8, v16
	v_cmp_ne_u16_e32 vcc, 0, v20
	s_and_saveexec_b64 s[28:29], vcc
	s_cbranch_execz .LBB2_792
; %bb.787:                              ;   in Loop: Header=BB2_468 Depth=4
	v_cmp_ne_u16_e32 vcc, s91, v20
	v_bfrev_b32_e32 v1, 1
	s_and_saveexec_b64 s[64:65], vcc
	s_cbranch_execz .LBB2_791
; %bb.788:                              ;   in Loop: Header=BB2_468 Depth=4
	v_and_b32_e32 v17, 0x7f, v20
	v_cmp_ne_u32_e32 vcc, s92, v17
	v_mov_b32_e32 v1, 0x7f800001
	s_and_saveexec_b64 s[66:67], vcc
	s_cbranch_execz .LBB2_790
; %bb.789:                              ;   in Loop: Header=BB2_468 Depth=4
	v_and_b32_e32 v1, 7, v20
	v_ffbh_u32_e32 v31, v1
	v_min_u32_e32 v31, 32, v31
	v_subrev_u32_e32 v32, 28, v31
	v_lshlrev_b64 v[32:33], v32, v[20:21]
	v_lshrrev_b32_e32 v27, 3, v17
	v_sub_u32_e32 v20, 29, v31
	v_and_b32_e32 v31, 7, v32
	v_cmp_gt_u32_e32 vcc, 8, v17
	v_cndmask_b32_e32 v17, v27, v20, vcc
	v_cndmask_b32_e32 v1, v1, v31, vcc
	v_lshlrev_b32_e32 v16, 16, v16
	v_lshlrev_b32_e32 v1, 20, v1
	v_and_b32_e32 v16, 0x80000000, v16
	v_lshl_add_u32 v17, v17, 23, v0
	v_or3_b32 v1, v16, v17, v1
.LBB2_790:                              ;   in Loop: Header=BB2_468 Depth=4
	s_or_b64 exec, exec, s[66:67]
.LBB2_791:                              ;   in Loop: Header=BB2_468 Depth=4
	s_or_b64 exec, exec, s[64:65]
.LBB2_792:                              ;   in Loop: Header=BB2_468 Depth=4
	s_or_b64 exec, exec, s[28:29]
	v_add_f32_e32 v3, v3, v1
	v_and_b32_sdwa v1, v3, s91 dst_sel:DWORD dst_unused:UNUSED_PAD src0_sel:BYTE_3 src1_sel:DWORD
	v_and_b32_e32 v16, 0x7f800000, v3
	v_mov_b32_e32 v17, v61
	v_and_b32_e32 v60, 0x7fffff, v3
	v_or_b32_e32 v20, 0x7e, v1
	v_cmp_ne_u64_e32 vcc, s[54:55], v[16:17]
	s_and_saveexec_b64 s[28:29], vcc
	s_xor_b64 s[64:65], exec, s[28:29]
	s_cbranch_execz .LBB2_802
; %bb.793:                              ;   in Loop: Header=BB2_468 Depth=4
	v_and_b32_e32 v16, 0x7fffffff, v3
	v_mov_b32_e32 v17, v61
	v_cmp_gt_u64_e32 vcc, s[56:57], v[16:17]
	s_and_saveexec_b64 s[66:67], vcc
	s_cbranch_execz .LBB2_801
; %bb.794:                              ;   in Loop: Header=BB2_468 Depth=4
	v_cmp_ne_u32_e32 vcc, 0, v3
	v_mov_b32_e32 v20, 0
	s_and_saveexec_b64 s[68:69], vcc
	s_cbranch_execz .LBB2_800
; %bb.795:                              ;   in Loop: Header=BB2_468 Depth=4
	v_bfe_u32 v3, v3, 23, 8
	v_sub_u32_e32 v17, 0x79, v3
	v_cmp_gt_u32_e32 vcc, s93, v3
	v_add_u32_e32 v16, 0xffffff81, v3
	v_cndmask_b32_e32 v17, 0, v17, vcc
	v_cmp_eq_u32_e32 vcc, 0, v3
	v_mov_b32_e32 v3, 0xffffff82
	v_cndmask_b32_e32 v3, v16, v3, vcc
	v_mov_b32_e32 v16, 0x78
	v_or_b32_e32 v20, 0x800000, v60
	v_cndmask_b32_e32 v27, v17, v16, vcc
	v_cndmask_b32_e32 v60, v20, v60, vcc
	v_add_u32_e32 v16, 20, v27
	v_lshlrev_b64 v[16:17], v16, -1
	v_add_u32_e32 v20, 19, v27
	v_lshrrev_b64 v[34:35], v27, v[60:61]
	v_not_b32_e32 v17, v17
	v_not_b32_e32 v16, v16
	v_lshlrev_b64 v[32:33], v20, 1
	v_lshrrev_b32_e32 v20, 23, v34
	v_and_b32_e32 v17, 0, v17
	v_and_b32_e32 v16, v60, v16
	v_add3_u32 v27, v27, v3, v20
	v_bfe_u32 v3, v34, 20, 1
	v_add_u32_e32 v3, -1, v3
	v_cmp_eq_u64_e32 vcc, v[16:17], v[32:33]
	v_cndmask_b32_e32 v3, 0, v3, vcc
	v_add_u32_e32 v3, v3, v34
	v_and_b32_e32 v3, 0xfffff, v3
	v_add_co_u32_e32 v16, vcc, v3, v34
	v_add_u32_e32 v20, 6, v27
	v_addc_co_u32_e32 v17, vcc, 0, v35, vcc
	v_cmp_ne_u32_e32 vcc, 0, v20
                                        ; implicit-def: $vgpr3
	s_and_saveexec_b64 s[28:29], vcc
	s_xor_b64 s[28:29], exec, s[28:29]
; %bb.796:                              ;   in Loop: Header=BB2_468 Depth=4
	v_add_u32_e32 v3, 7, v27
	v_cmp_lt_u64_e32 vcc, s[58:59], v[16:17]
	v_cndmask_b32_e32 v3, v20, v3, vcc
	v_cndmask_b32_e64 v20, 0, 1, vcc
	v_lshrrev_b64 v[16:17], v20, v[16:17]
; %bb.797:                              ;   in Loop: Header=BB2_468 Depth=4
	s_andn2_saveexec_b64 s[28:29], s[28:29]
; %bb.798:                              ;   in Loop: Header=BB2_468 Depth=4
	v_bfe_u32 v3, v16, 23, 1
; %bb.799:                              ;   in Loop: Header=BB2_468 Depth=4
	s_or_b64 exec, exec, s[28:29]
	v_lshrrev_b64 v[16:17], 20, v[16:17]
	v_cmp_gt_i32_e32 vcc, 16, v3
	v_cndmask_b32_e32 v17, 0, v17, vcc
	v_cndmask_b32_e32 v16, 7, v16, vcc
	v_cmp_eq_u32_e32 vcc, 0, v3
	v_min_i32_e32 v3, 15, v3
	v_cmp_eq_u64_e64 s[28:29], 0, v[16:17]
	v_lshlrev_b32_e32 v3, 3, v3
	v_and_or_b32 v3, v16, 7, v3
	s_and_b64 s[28:29], vcc, s[28:29]
	v_cndmask_b32_e64 v3, v3, 0, s[28:29]
	v_or_b32_e32 v20, v3, v1
.LBB2_800:                              ;   in Loop: Header=BB2_468 Depth=4
	s_or_b64 exec, exec, s[68:69]
.LBB2_801:                              ;   in Loop: Header=BB2_468 Depth=4
	s_or_b64 exec, exec, s[66:67]
                                        ; implicit-def: $vgpr3
.LBB2_802:                              ;   in Loop: Header=BB2_468 Depth=4
	s_andn2_saveexec_b64 s[28:29], s[64:65]
; %bb.803:                              ;   in Loop: Header=BB2_468 Depth=4
	v_or_b32_sdwa v1, v3, s92 dst_sel:DWORD dst_unused:UNUSED_PAD src0_sel:BYTE_3 src1_sel:DWORD
	v_cmp_eq_u64_e32 vcc, 0, v[60:61]
	v_cndmask_b32_e32 v20, v1, v20, vcc
; %bb.804:                              ;   in Loop: Header=BB2_468 Depth=4
	s_or_b64 exec, exec, s[28:29]
	v_lshrrev_b32_e32 v16, 16, v23
	v_cmp_ne_u16_sdwa vcc, v16, v61 src0_sel:BYTE_0 src1_sel:DWORD
	v_mov_b32_e32 v1, 0
	v_mov_b32_e32 v3, 0
	s_and_saveexec_b64 s[28:29], vcc
	s_cbranch_execz .LBB2_810
; %bb.805:                              ;   in Loop: Header=BB2_468 Depth=4
	v_cmp_ne_u16_sdwa vcc, v16, s91 src0_sel:BYTE_0 src1_sel:DWORD
	v_bfrev_b32_e32 v3, 1
	s_and_saveexec_b64 s[64:65], vcc
	s_cbranch_execz .LBB2_809
; %bb.806:                              ;   in Loop: Header=BB2_468 Depth=4
	v_bfe_u32 v17, v23, 16, 7
	v_cmp_ne_u32_e32 vcc, s92, v17
	v_mov_b32_e32 v3, 0x7f800001
	s_and_saveexec_b64 s[66:67], vcc
	s_cbranch_execz .LBB2_808
; %bb.807:                              ;   in Loop: Header=BB2_468 Depth=4
	v_and_b32_e32 v3, 7, v16
	v_ffbh_u32_e32 v31, v3
	v_min_u32_e32 v31, 32, v31
	v_subrev_u32_e32 v32, 28, v31
	v_lshlrev_b64 v[32:33], v32, v[16:17]
	v_lshrrev_b32_e32 v27, 3, v17
	v_sub_u32_e32 v31, 29, v31
	v_and_b32_e32 v32, 7, v32
	v_cmp_gt_u32_e32 vcc, 8, v17
	v_cndmask_b32_e32 v17, v27, v31, vcc
	v_cndmask_b32_e32 v3, v3, v32, vcc
	v_lshlrev_b32_e32 v16, 24, v16
	v_lshlrev_b32_e32 v3, 20, v3
	v_and_b32_e32 v16, 0x80000000, v16
	v_lshl_add_u32 v17, v17, 23, v0
	v_or3_b32 v3, v16, v17, v3
.LBB2_808:                              ;   in Loop: Header=BB2_468 Depth=4
	s_or_b64 exec, exec, s[66:67]
.LBB2_809:                              ;   in Loop: Header=BB2_468 Depth=4
	s_or_b64 exec, exec, s[64:65]
.LBB2_810:                              ;   in Loop: Header=BB2_468 Depth=4
	s_or_b64 exec, exec, s[28:29]
	v_lshrrev_b32_e32 v16, 16, v19
	v_cmp_ne_u16_sdwa vcc, v16, v61 src0_sel:BYTE_0 src1_sel:DWORD
	s_and_saveexec_b64 s[28:29], vcc
	s_cbranch_execz .LBB2_816
; %bb.811:                              ;   in Loop: Header=BB2_468 Depth=4
	v_cmp_ne_u16_sdwa vcc, v16, s91 src0_sel:BYTE_0 src1_sel:DWORD
	v_bfrev_b32_e32 v1, 1
	s_and_saveexec_b64 s[64:65], vcc
	s_cbranch_execz .LBB2_815
; %bb.812:                              ;   in Loop: Header=BB2_468 Depth=4
	v_bfe_u32 v17, v19, 16, 7
	v_cmp_ne_u32_e32 vcc, s92, v17
	v_mov_b32_e32 v1, 0x7f800001
	s_and_saveexec_b64 s[66:67], vcc
	s_cbranch_execz .LBB2_814
; %bb.813:                              ;   in Loop: Header=BB2_468 Depth=4
	v_and_b32_e32 v1, 7, v16
	v_ffbh_u32_e32 v31, v1
	v_min_u32_e32 v31, 32, v31
	v_subrev_u32_e32 v32, 28, v31
	v_lshlrev_b64 v[32:33], v32, v[16:17]
	v_lshrrev_b32_e32 v27, 3, v17
	v_sub_u32_e32 v16, 29, v31
	v_and_b32_e32 v31, 7, v32
	v_cmp_gt_u32_e32 vcc, 8, v17
	v_cndmask_b32_e32 v16, v27, v16, vcc
	v_cndmask_b32_e32 v1, v1, v31, vcc
	v_lshlrev_b32_e32 v17, 8, v19
	v_lshlrev_b32_e32 v1, 20, v1
	v_and_b32_e32 v17, 0x80000000, v17
	v_lshl_add_u32 v16, v16, 23, v0
	v_or3_b32 v1, v17, v16, v1
.LBB2_814:                              ;   in Loop: Header=BB2_468 Depth=4
	s_or_b64 exec, exec, s[66:67]
.LBB2_815:                              ;   in Loop: Header=BB2_468 Depth=4
	s_or_b64 exec, exec, s[64:65]
.LBB2_816:                              ;   in Loop: Header=BB2_468 Depth=4
	s_or_b64 exec, exec, s[28:29]
	v_add_f32_e32 v3, v3, v1
	v_and_b32_sdwa v1, v3, s91 dst_sel:DWORD dst_unused:UNUSED_PAD src0_sel:BYTE_3 src1_sel:DWORD
	v_and_b32_e32 v16, 0x7f800000, v3
	v_mov_b32_e32 v17, v61
	v_and_b32_e32 v60, 0x7fffff, v3
	v_or_b32_e32 v27, 0x7e, v1
	v_cmp_ne_u64_e32 vcc, s[54:55], v[16:17]
	s_and_saveexec_b64 s[28:29], vcc
	s_xor_b64 s[64:65], exec, s[28:29]
	s_cbranch_execz .LBB2_826
; %bb.817:                              ;   in Loop: Header=BB2_468 Depth=4
	v_and_b32_e32 v16, 0x7fffffff, v3
	v_mov_b32_e32 v17, v61
	v_cmp_gt_u64_e32 vcc, s[56:57], v[16:17]
	s_and_saveexec_b64 s[66:67], vcc
	s_cbranch_execz .LBB2_825
; %bb.818:                              ;   in Loop: Header=BB2_468 Depth=4
	v_cmp_ne_u32_e32 vcc, 0, v3
	v_mov_b32_e32 v27, 0
	s_and_saveexec_b64 s[68:69], vcc
	s_cbranch_execz .LBB2_824
; %bb.819:                              ;   in Loop: Header=BB2_468 Depth=4
	v_bfe_u32 v3, v3, 23, 8
	v_sub_u32_e32 v17, 0x79, v3
	v_cmp_gt_u32_e32 vcc, s93, v3
	v_add_u32_e32 v16, 0xffffff81, v3
	v_cndmask_b32_e32 v17, 0, v17, vcc
	v_cmp_eq_u32_e32 vcc, 0, v3
	v_mov_b32_e32 v3, 0xffffff82
	v_cndmask_b32_e32 v3, v16, v3, vcc
	v_mov_b32_e32 v16, 0x78
	v_or_b32_e32 v27, 0x800000, v60
	v_cndmask_b32_e32 v31, v17, v16, vcc
	v_cndmask_b32_e32 v60, v27, v60, vcc
	v_add_u32_e32 v16, 20, v31
	v_lshlrev_b64 v[16:17], v16, -1
	v_add_u32_e32 v27, 19, v31
	v_lshrrev_b64 v[34:35], v31, v[60:61]
	v_not_b32_e32 v17, v17
	v_not_b32_e32 v16, v16
	v_lshlrev_b64 v[32:33], v27, 1
	v_lshrrev_b32_e32 v27, 23, v34
	v_and_b32_e32 v17, 0, v17
	v_and_b32_e32 v16, v60, v16
	v_add3_u32 v31, v31, v3, v27
	v_bfe_u32 v3, v34, 20, 1
	v_add_u32_e32 v3, -1, v3
	v_cmp_eq_u64_e32 vcc, v[16:17], v[32:33]
	v_cndmask_b32_e32 v3, 0, v3, vcc
	v_add_u32_e32 v3, v3, v34
	v_and_b32_e32 v3, 0xfffff, v3
	v_add_co_u32_e32 v16, vcc, v3, v34
	v_add_u32_e32 v27, 6, v31
	v_addc_co_u32_e32 v17, vcc, 0, v35, vcc
	v_cmp_ne_u32_e32 vcc, 0, v27
                                        ; implicit-def: $vgpr3
	s_and_saveexec_b64 s[28:29], vcc
	s_xor_b64 s[28:29], exec, s[28:29]
; %bb.820:                              ;   in Loop: Header=BB2_468 Depth=4
	v_add_u32_e32 v3, 7, v31
	v_cmp_lt_u64_e32 vcc, s[58:59], v[16:17]
	v_cndmask_b32_e32 v3, v27, v3, vcc
	v_cndmask_b32_e64 v27, 0, 1, vcc
	v_lshrrev_b64 v[16:17], v27, v[16:17]
; %bb.821:                              ;   in Loop: Header=BB2_468 Depth=4
	s_andn2_saveexec_b64 s[28:29], s[28:29]
; %bb.822:                              ;   in Loop: Header=BB2_468 Depth=4
	v_bfe_u32 v3, v16, 23, 1
; %bb.823:                              ;   in Loop: Header=BB2_468 Depth=4
	s_or_b64 exec, exec, s[28:29]
	v_lshrrev_b64 v[16:17], 20, v[16:17]
	v_cmp_gt_i32_e32 vcc, 16, v3
	v_cndmask_b32_e32 v17, 0, v17, vcc
	v_cndmask_b32_e32 v16, 7, v16, vcc
	v_cmp_eq_u32_e32 vcc, 0, v3
	v_min_i32_e32 v3, 15, v3
	v_lshlrev_b32_e32 v3, 3, v3
	v_cmp_eq_u64_e64 s[28:29], 0, v[16:17]
	v_and_b32_e32 v3, 0xf8, v3
	v_and_or_b32 v3, v16, 7, v3
	s_and_b64 s[28:29], vcc, s[28:29]
	v_cndmask_b32_e64 v3, v3, 0, s[28:29]
	v_or_b32_e32 v27, v3, v1
.LBB2_824:                              ;   in Loop: Header=BB2_468 Depth=4
	s_or_b64 exec, exec, s[68:69]
.LBB2_825:                              ;   in Loop: Header=BB2_468 Depth=4
	s_or_b64 exec, exec, s[66:67]
                                        ; implicit-def: $vgpr3
.LBB2_826:                              ;   in Loop: Header=BB2_468 Depth=4
	s_andn2_saveexec_b64 s[28:29], s[64:65]
; %bb.827:                              ;   in Loop: Header=BB2_468 Depth=4
	v_or_b32_sdwa v1, v3, s92 dst_sel:DWORD dst_unused:UNUSED_PAD src0_sel:BYTE_3 src1_sel:DWORD
	v_cmp_eq_u64_e32 vcc, 0, v[60:61]
	v_cndmask_b32_e32 v27, v1, v27, vcc
; %bb.828:                              ;   in Loop: Header=BB2_468 Depth=4
	s_or_b64 exec, exec, s[28:29]
	v_cmp_lt_u64_e32 vcc, s[44:45], v[22:23]
	v_mov_b32_e32 v1, 0
	v_mov_b32_e32 v3, 0
	s_and_saveexec_b64 s[28:29], vcc
	s_cbranch_execz .LBB2_834
; %bb.829:                              ;   in Loop: Header=BB2_468 Depth=4
	v_lshrrev_b32_e32 v16, 24, v23
	v_cmp_ne_u32_e32 vcc, s91, v16
	v_bfrev_b32_e32 v3, 1
	s_and_saveexec_b64 s[64:65], vcc
	s_cbranch_execz .LBB2_833
; %bb.830:                              ;   in Loop: Header=BB2_468 Depth=4
	v_bfe_u32 v17, v23, 24, 7
	v_cmp_ne_u32_e32 vcc, s92, v17
	v_mov_b32_e32 v3, 0x7f800001
	s_and_saveexec_b64 s[66:67], vcc
	s_cbranch_execz .LBB2_832
; %bb.831:                              ;   in Loop: Header=BB2_468 Depth=4
	v_and_b32_e32 v3, 7, v16
	v_ffbh_u32_e32 v22, v3
	v_min_u32_e32 v32, 32, v22
	v_subrev_u32_e32 v22, 28, v32
	v_lshlrev_b64 v[22:23], v22, v[16:17]
	v_lshrrev_b32_e32 v31, 3, v17
	v_sub_u32_e32 v23, 29, v32
	v_and_b32_e32 v22, 7, v22
	v_cmp_gt_u32_e32 vcc, 8, v17
	v_cndmask_b32_e32 v17, v31, v23, vcc
	v_cndmask_b32_e32 v3, v3, v22, vcc
	v_lshlrev_b32_e32 v16, 24, v16
	v_lshlrev_b32_e32 v3, 20, v3
	v_and_b32_e32 v16, 0x80000000, v16
	v_lshl_add_u32 v17, v17, 23, v0
	v_or3_b32 v3, v16, v17, v3
.LBB2_832:                              ;   in Loop: Header=BB2_468 Depth=4
	s_or_b64 exec, exec, s[66:67]
.LBB2_833:                              ;   in Loop: Header=BB2_468 Depth=4
	s_or_b64 exec, exec, s[64:65]
.LBB2_834:                              ;   in Loop: Header=BB2_468 Depth=4
	s_or_b64 exec, exec, s[28:29]
	v_cmp_lt_u64_e32 vcc, s[44:45], v[18:19]
	s_and_saveexec_b64 s[28:29], vcc
	s_cbranch_execz .LBB2_840
; %bb.835:                              ;   in Loop: Header=BB2_468 Depth=4
	v_lshrrev_b32_e32 v16, 24, v19
	v_cmp_ne_u32_e32 vcc, s91, v16
	v_bfrev_b32_e32 v1, 1
	s_and_saveexec_b64 s[64:65], vcc
	s_cbranch_execz .LBB2_839
; %bb.836:                              ;   in Loop: Header=BB2_468 Depth=4
	v_bfe_u32 v17, v19, 24, 7
	v_cmp_ne_u32_e32 vcc, s92, v17
	v_mov_b32_e32 v1, 0x7f800001
	s_and_saveexec_b64 s[66:67], vcc
	s_cbranch_execz .LBB2_838
; %bb.837:                              ;   in Loop: Header=BB2_468 Depth=4
	v_and_b32_e32 v1, 7, v16
	v_ffbh_u32_e32 v18, v1
	v_min_u32_e32 v23, 32, v18
	v_subrev_u32_e32 v18, 28, v23
	v_lshlrev_b64 v[18:19], v18, v[16:17]
	v_lshrrev_b32_e32 v22, 3, v17
	v_sub_u32_e32 v19, 29, v23
	v_and_b32_e32 v18, 7, v18
	v_cmp_gt_u32_e32 vcc, 8, v17
	v_cndmask_b32_e32 v17, v22, v19, vcc
	v_cndmask_b32_e32 v1, v1, v18, vcc
	v_lshlrev_b32_e32 v16, 24, v16
	v_lshlrev_b32_e32 v1, 20, v1
	v_and_b32_e32 v16, 0x80000000, v16
	v_lshl_add_u32 v17, v17, 23, v0
	v_or3_b32 v1, v16, v17, v1
.LBB2_838:                              ;   in Loop: Header=BB2_468 Depth=4
	s_or_b64 exec, exec, s[66:67]
.LBB2_839:                              ;   in Loop: Header=BB2_468 Depth=4
	s_or_b64 exec, exec, s[64:65]
.LBB2_840:                              ;   in Loop: Header=BB2_468 Depth=4
	s_or_b64 exec, exec, s[28:29]
	v_add_f32_e32 v3, v3, v1
	v_and_b32_sdwa v1, v3, s91 dst_sel:DWORD dst_unused:UNUSED_PAD src0_sel:BYTE_3 src1_sel:DWORD
	v_and_b32_e32 v16, 0x7f800000, v3
	v_mov_b32_e32 v17, v61
	v_and_b32_e32 v60, 0x7fffff, v3
	v_or_b32_e32 v19, 0x7e, v1
	v_cmp_ne_u64_e32 vcc, s[54:55], v[16:17]
	s_and_saveexec_b64 s[28:29], vcc
	s_xor_b64 s[64:65], exec, s[28:29]
	s_cbranch_execz .LBB2_850
; %bb.841:                              ;   in Loop: Header=BB2_468 Depth=4
	v_and_b32_e32 v16, 0x7fffffff, v3
	v_mov_b32_e32 v17, v61
	v_cmp_gt_u64_e32 vcc, s[56:57], v[16:17]
	s_and_saveexec_b64 s[66:67], vcc
	s_cbranch_execz .LBB2_849
; %bb.842:                              ;   in Loop: Header=BB2_468 Depth=4
	v_cmp_ne_u32_e32 vcc, 0, v3
	v_mov_b32_e32 v19, 0
	s_and_saveexec_b64 s[68:69], vcc
	s_cbranch_execz .LBB2_848
; %bb.843:                              ;   in Loop: Header=BB2_468 Depth=4
	v_bfe_u32 v3, v3, 23, 8
	v_sub_u32_e32 v17, 0x79, v3
	v_cmp_gt_u32_e32 vcc, s93, v3
	v_add_u32_e32 v16, 0xffffff81, v3
	v_cndmask_b32_e32 v17, 0, v17, vcc
	v_cmp_eq_u32_e32 vcc, 0, v3
	v_mov_b32_e32 v3, 0xffffff82
	v_cndmask_b32_e32 v3, v16, v3, vcc
	v_mov_b32_e32 v16, 0x78
	v_or_b32_e32 v18, 0x800000, v60
	v_cndmask_b32_e32 v19, v17, v16, vcc
	v_cndmask_b32_e32 v60, v18, v60, vcc
	v_add_u32_e32 v16, 20, v19
	v_lshlrev_b64 v[16:17], v16, -1
	v_add_u32_e32 v18, 19, v19
	v_lshrrev_b64 v[32:33], v19, v[60:61]
	v_not_b32_e32 v17, v17
	v_not_b32_e32 v16, v16
	v_lshlrev_b64 v[22:23], v18, 1
	v_lshrrev_b32_e32 v18, 23, v32
	v_and_b32_e32 v17, 0, v17
	v_and_b32_e32 v16, v60, v16
	v_add3_u32 v19, v19, v3, v18
	v_bfe_u32 v3, v32, 20, 1
	v_add_u32_e32 v3, -1, v3
	v_cmp_eq_u64_e32 vcc, v[16:17], v[22:23]
	v_cndmask_b32_e32 v3, 0, v3, vcc
	v_add_u32_e32 v3, v3, v32
	v_and_b32_e32 v3, 0xfffff, v3
	v_add_co_u32_e32 v16, vcc, v3, v32
	v_add_u32_e32 v18, 6, v19
	v_addc_co_u32_e32 v17, vcc, 0, v33, vcc
	v_cmp_ne_u32_e32 vcc, 0, v18
                                        ; implicit-def: $vgpr3
	s_and_saveexec_b64 s[28:29], vcc
	s_xor_b64 s[28:29], exec, s[28:29]
; %bb.844:                              ;   in Loop: Header=BB2_468 Depth=4
	v_add_u32_e32 v3, 7, v19
	v_cmp_lt_u64_e32 vcc, s[58:59], v[16:17]
	v_cndmask_b32_e32 v3, v18, v3, vcc
	v_cndmask_b32_e64 v18, 0, 1, vcc
	v_lshrrev_b64 v[16:17], v18, v[16:17]
; %bb.845:                              ;   in Loop: Header=BB2_468 Depth=4
	s_andn2_saveexec_b64 s[28:29], s[28:29]
; %bb.846:                              ;   in Loop: Header=BB2_468 Depth=4
	v_bfe_u32 v3, v16, 23, 1
; %bb.847:                              ;   in Loop: Header=BB2_468 Depth=4
	s_or_b64 exec, exec, s[28:29]
	v_lshrrev_b64 v[16:17], 20, v[16:17]
	v_cmp_gt_i32_e32 vcc, 16, v3
	v_cndmask_b32_e32 v17, 0, v17, vcc
	v_cndmask_b32_e32 v16, 7, v16, vcc
	v_cmp_eq_u32_e32 vcc, 0, v3
	v_min_i32_e32 v3, 15, v3
	v_lshlrev_b32_e32 v3, 3, v3
	v_cmp_eq_u64_e64 s[28:29], 0, v[16:17]
	v_and_b32_e32 v3, 0xf8, v3
	v_and_or_b32 v3, v16, 7, v3
	s_and_b64 s[28:29], vcc, s[28:29]
	v_cndmask_b32_e64 v3, v3, 0, s[28:29]
	v_or_b32_e32 v19, v3, v1
.LBB2_848:                              ;   in Loop: Header=BB2_468 Depth=4
	s_or_b64 exec, exec, s[68:69]
.LBB2_849:                              ;   in Loop: Header=BB2_468 Depth=4
	s_or_b64 exec, exec, s[66:67]
                                        ; implicit-def: $vgpr3
.LBB2_850:                              ;   in Loop: Header=BB2_468 Depth=4
	s_andn2_saveexec_b64 s[28:29], s[64:65]
; %bb.851:                              ;   in Loop: Header=BB2_468 Depth=4
	v_or_b32_sdwa v1, v3, s92 dst_sel:DWORD dst_unused:UNUSED_PAD src0_sel:BYTE_3 src1_sel:DWORD
	v_cmp_eq_u64_e32 vcc, 0, v[60:61]
	v_cndmask_b32_e32 v19, v1, v19, vcc
; %bb.852:                              ;   in Loop: Header=BB2_468 Depth=4
	s_or_b64 exec, exec, s[28:29]
	v_cmp_ne_u16_sdwa vcc, v12, v61 src0_sel:BYTE_0 src1_sel:DWORD
	v_mov_b32_e32 v1, 0
	v_mov_b32_e32 v3, 0
	s_and_saveexec_b64 s[28:29], vcc
	s_cbranch_execz .LBB2_858
; %bb.853:                              ;   in Loop: Header=BB2_468 Depth=4
	v_cmp_ne_u16_sdwa vcc, v12, s91 src0_sel:BYTE_0 src1_sel:DWORD
	v_bfrev_b32_e32 v3, 1
	s_and_saveexec_b64 s[64:65], vcc
	s_cbranch_execz .LBB2_857
; %bb.854:                              ;   in Loop: Header=BB2_468 Depth=4
	v_and_b32_e32 v16, 0x7f, v12
	v_cmp_ne_u32_e32 vcc, s92, v16
	v_mov_b32_e32 v3, 0x7f800001
	s_and_saveexec_b64 s[66:67], vcc
	s_cbranch_execz .LBB2_856
; %bb.855:                              ;   in Loop: Header=BB2_468 Depth=4
	v_and_b32_e32 v3, 7, v12
	v_ffbh_u32_e32 v3, v3
	v_min_u32_e32 v3, 32, v3
	v_subrev_u32_e32 v18, 28, v3
	v_cmp_gt_u32_e32 vcc, 8, v16
	v_lshrrev_b32_e32 v17, 3, v16
	v_sub_u32_e32 v3, 29, v3
	v_cndmask_b32_e32 v16, 0, v18, vcc
	v_cndmask_b32_e32 v3, v17, v3, vcc
	v_lshlrev_b64 v[16:17], v16, v[12:13]
	v_lshlrev_b32_e32 v16, 20, v16
	v_lshlrev_b32_e32 v17, 24, v12
	v_and_b32_e32 v16, 0x700000, v16
	v_and_b32_e32 v17, 0x80000000, v17
	v_lshl_add_u32 v3, v3, 23, v0
	v_or3_b32 v3, v17, v3, v16
.LBB2_856:                              ;   in Loop: Header=BB2_468 Depth=4
	s_or_b64 exec, exec, s[66:67]
.LBB2_857:                              ;   in Loop: Header=BB2_468 Depth=4
	s_or_b64 exec, exec, s[64:65]
.LBB2_858:                              ;   in Loop: Header=BB2_468 Depth=4
	s_or_b64 exec, exec, s[28:29]
	v_cmp_ne_u16_sdwa vcc, v8, v61 src0_sel:BYTE_0 src1_sel:DWORD
	s_and_saveexec_b64 s[28:29], vcc
	s_cbranch_execz .LBB2_864
; %bb.859:                              ;   in Loop: Header=BB2_468 Depth=4
	v_cmp_ne_u16_sdwa vcc, v8, s91 src0_sel:BYTE_0 src1_sel:DWORD
	v_bfrev_b32_e32 v1, 1
	s_and_saveexec_b64 s[64:65], vcc
	s_cbranch_execz .LBB2_863
; %bb.860:                              ;   in Loop: Header=BB2_468 Depth=4
	v_and_b32_e32 v16, 0x7f, v8
	v_cmp_ne_u32_e32 vcc, s92, v16
	v_mov_b32_e32 v1, 0x7f800001
	s_and_saveexec_b64 s[66:67], vcc
	s_cbranch_execz .LBB2_862
; %bb.861:                              ;   in Loop: Header=BB2_468 Depth=4
	v_and_b32_e32 v1, 7, v8
	v_ffbh_u32_e32 v1, v1
	v_min_u32_e32 v1, 32, v1
	v_subrev_u32_e32 v18, 28, v1
	v_cmp_gt_u32_e32 vcc, 8, v16
	v_lshrrev_b32_e32 v17, 3, v16
	v_sub_u32_e32 v1, 29, v1
	v_cndmask_b32_e32 v16, 0, v18, vcc
	v_cndmask_b32_e32 v1, v17, v1, vcc
	v_lshlrev_b64 v[16:17], v16, v[8:9]
	v_lshlrev_b32_e32 v16, 20, v16
	v_lshlrev_b32_e32 v17, 24, v8
	v_and_b32_e32 v16, 0x700000, v16
	v_and_b32_e32 v17, 0x80000000, v17
	v_lshl_add_u32 v1, v1, 23, v0
	v_or3_b32 v1, v17, v1, v16
.LBB2_862:                              ;   in Loop: Header=BB2_468 Depth=4
	s_or_b64 exec, exec, s[66:67]
.LBB2_863:                              ;   in Loop: Header=BB2_468 Depth=4
	s_or_b64 exec, exec, s[64:65]
.LBB2_864:                              ;   in Loop: Header=BB2_468 Depth=4
	s_or_b64 exec, exec, s[28:29]
	v_add_f32_e32 v3, v3, v1
	v_and_b32_sdwa v1, v3, s91 dst_sel:DWORD dst_unused:UNUSED_PAD src0_sel:BYTE_3 src1_sel:DWORD
	v_and_b32_e32 v16, 0x7f800000, v3
	v_mov_b32_e32 v17, v61
	v_and_b32_e32 v60, 0x7fffff, v3
	v_or_b32_e32 v22, 0x7e, v1
	v_cmp_ne_u64_e32 vcc, s[54:55], v[16:17]
	s_and_saveexec_b64 s[28:29], vcc
	s_xor_b64 s[64:65], exec, s[28:29]
	s_cbranch_execz .LBB2_874
; %bb.865:                              ;   in Loop: Header=BB2_468 Depth=4
	v_and_b32_e32 v16, 0x7fffffff, v3
	v_mov_b32_e32 v17, v61
	v_cmp_gt_u64_e32 vcc, s[56:57], v[16:17]
	s_and_saveexec_b64 s[66:67], vcc
	s_cbranch_execz .LBB2_873
; %bb.866:                              ;   in Loop: Header=BB2_468 Depth=4
	v_cmp_ne_u32_e32 vcc, 0, v3
	v_mov_b32_e32 v22, 0
	s_and_saveexec_b64 s[68:69], vcc
	s_cbranch_execz .LBB2_872
; %bb.867:                              ;   in Loop: Header=BB2_468 Depth=4
	v_bfe_u32 v3, v3, 23, 8
	v_sub_u32_e32 v17, 0x79, v3
	v_cmp_gt_u32_e32 vcc, s93, v3
	v_add_u32_e32 v16, 0xffffff81, v3
	v_cndmask_b32_e32 v17, 0, v17, vcc
	v_cmp_eq_u32_e32 vcc, 0, v3
	v_mov_b32_e32 v3, 0xffffff82
	v_cndmask_b32_e32 v3, v16, v3, vcc
	v_mov_b32_e32 v16, 0x78
	v_or_b32_e32 v18, 0x800000, v60
	v_cndmask_b32_e32 v22, v17, v16, vcc
	v_cndmask_b32_e32 v60, v18, v60, vcc
	v_add_u32_e32 v16, 20, v22
	v_lshlrev_b64 v[16:17], v16, -1
	v_add_u32_e32 v18, 19, v22
	v_lshrrev_b64 v[34:35], v22, v[60:61]
	v_not_b32_e32 v17, v17
	v_not_b32_e32 v16, v16
	v_lshlrev_b64 v[32:33], v18, 1
	v_lshrrev_b32_e32 v18, 23, v34
	v_and_b32_e32 v17, 0, v17
	v_and_b32_e32 v16, v60, v16
	v_add3_u32 v22, v22, v3, v18
	v_bfe_u32 v3, v34, 20, 1
	v_add_u32_e32 v3, -1, v3
	v_cmp_eq_u64_e32 vcc, v[16:17], v[32:33]
	v_cndmask_b32_e32 v3, 0, v3, vcc
	v_add_u32_e32 v3, v3, v34
	v_and_b32_e32 v3, 0xfffff, v3
	v_add_co_u32_e32 v16, vcc, v3, v34
	v_add_u32_e32 v18, 6, v22
	v_addc_co_u32_e32 v17, vcc, 0, v35, vcc
	v_cmp_ne_u32_e32 vcc, 0, v18
                                        ; implicit-def: $vgpr3
	s_and_saveexec_b64 s[28:29], vcc
	s_xor_b64 s[28:29], exec, s[28:29]
; %bb.868:                              ;   in Loop: Header=BB2_468 Depth=4
	v_add_u32_e32 v3, 7, v22
	v_cmp_lt_u64_e32 vcc, s[58:59], v[16:17]
	v_cndmask_b32_e32 v3, v18, v3, vcc
	v_cndmask_b32_e64 v18, 0, 1, vcc
	v_lshrrev_b64 v[16:17], v18, v[16:17]
; %bb.869:                              ;   in Loop: Header=BB2_468 Depth=4
	s_andn2_saveexec_b64 s[28:29], s[28:29]
; %bb.870:                              ;   in Loop: Header=BB2_468 Depth=4
	v_bfe_u32 v3, v16, 23, 1
; %bb.871:                              ;   in Loop: Header=BB2_468 Depth=4
	s_or_b64 exec, exec, s[28:29]
	v_lshrrev_b64 v[16:17], 20, v[16:17]
	v_cmp_gt_i32_e32 vcc, 16, v3
	v_cndmask_b32_e32 v17, 0, v17, vcc
	v_cndmask_b32_e32 v16, 7, v16, vcc
	v_cmp_eq_u32_e32 vcc, 0, v3
	v_min_i32_e32 v3, 15, v3
	v_cmp_eq_u64_e64 s[28:29], 0, v[16:17]
	v_lshlrev_b32_e32 v3, 3, v3
	v_and_or_b32 v3, v16, 7, v3
	s_and_b64 s[28:29], vcc, s[28:29]
	v_cndmask_b32_e64 v3, v3, 0, s[28:29]
	v_or_b32_e32 v22, v3, v1
.LBB2_872:                              ;   in Loop: Header=BB2_468 Depth=4
	s_or_b64 exec, exec, s[68:69]
.LBB2_873:                              ;   in Loop: Header=BB2_468 Depth=4
	s_or_b64 exec, exec, s[66:67]
                                        ; implicit-def: $vgpr3
.LBB2_874:                              ;   in Loop: Header=BB2_468 Depth=4
	s_andn2_saveexec_b64 s[28:29], s[64:65]
; %bb.875:                              ;   in Loop: Header=BB2_468 Depth=4
	v_or_b32_sdwa v1, v3, s92 dst_sel:DWORD dst_unused:UNUSED_PAD src0_sel:BYTE_3 src1_sel:DWORD
	v_cmp_eq_u64_e32 vcc, 0, v[60:61]
	v_cndmask_b32_e32 v22, v1, v22, vcc
; %bb.876:                              ;   in Loop: Header=BB2_468 Depth=4
	s_or_b64 exec, exec, s[28:29]
	v_lshrrev_b16_e32 v16, 8, v12
	v_cmp_ne_u16_e32 vcc, 0, v16
	v_mov_b32_e32 v1, 0
	v_mov_b32_e32 v3, 0
	s_and_saveexec_b64 s[28:29], vcc
	s_cbranch_execz .LBB2_882
; %bb.877:                              ;   in Loop: Header=BB2_468 Depth=4
	v_cmp_ne_u16_e32 vcc, s91, v16
	v_bfrev_b32_e32 v3, 1
	s_and_saveexec_b64 s[64:65], vcc
	s_cbranch_execz .LBB2_881
; %bb.878:                              ;   in Loop: Header=BB2_468 Depth=4
	v_and_b32_e32 v17, 0x7f, v16
	v_cmp_ne_u32_e32 vcc, s92, v17
	v_mov_b32_e32 v3, 0x7f800001
	s_and_saveexec_b64 s[66:67], vcc
	s_cbranch_execz .LBB2_880
; %bb.879:                              ;   in Loop: Header=BB2_468 Depth=4
	v_and_b32_e32 v3, 7, v16
	v_ffbh_u32_e32 v23, v3
	v_min_u32_e32 v23, 32, v23
	v_subrev_u32_e32 v31, 28, v23
	v_lshlrev_b64 v[32:33], v31, v[16:17]
	v_lshrrev_b32_e32 v18, 3, v17
	v_sub_u32_e32 v16, 29, v23
	v_and_b32_e32 v23, 7, v32
	v_cmp_gt_u32_e32 vcc, 8, v17
	v_cndmask_b32_e32 v16, v18, v16, vcc
	v_cndmask_b32_e32 v3, v3, v23, vcc
	v_lshlrev_b32_e32 v17, 16, v12
	v_lshlrev_b32_e32 v3, 20, v3
	v_and_b32_e32 v17, 0x80000000, v17
	v_lshl_add_u32 v16, v16, 23, v0
	v_or3_b32 v3, v17, v16, v3
.LBB2_880:                              ;   in Loop: Header=BB2_468 Depth=4
	s_or_b64 exec, exec, s[66:67]
.LBB2_881:                              ;   in Loop: Header=BB2_468 Depth=4
	s_or_b64 exec, exec, s[64:65]
.LBB2_882:                              ;   in Loop: Header=BB2_468 Depth=4
	s_or_b64 exec, exec, s[28:29]
	v_lshrrev_b16_e32 v16, 8, v8
	v_cmp_ne_u16_e32 vcc, 0, v16
	s_and_saveexec_b64 s[28:29], vcc
	s_cbranch_execz .LBB2_888
; %bb.883:                              ;   in Loop: Header=BB2_468 Depth=4
	v_cmp_ne_u16_e32 vcc, s91, v16
	v_bfrev_b32_e32 v1, 1
	s_and_saveexec_b64 s[64:65], vcc
	s_cbranch_execz .LBB2_887
; %bb.884:                              ;   in Loop: Header=BB2_468 Depth=4
	v_and_b32_e32 v17, 0x7f, v16
	v_cmp_ne_u32_e32 vcc, s92, v17
	v_mov_b32_e32 v1, 0x7f800001
	s_and_saveexec_b64 s[66:67], vcc
	s_cbranch_execz .LBB2_886
; %bb.885:                              ;   in Loop: Header=BB2_468 Depth=4
	v_and_b32_e32 v1, 7, v16
	v_ffbh_u32_e32 v23, v1
	v_min_u32_e32 v23, 32, v23
	v_subrev_u32_e32 v31, 28, v23
	v_lshlrev_b64 v[32:33], v31, v[16:17]
	v_lshrrev_b32_e32 v18, 3, v17
	v_sub_u32_e32 v16, 29, v23
	v_and_b32_e32 v23, 7, v32
	v_cmp_gt_u32_e32 vcc, 8, v17
	v_cndmask_b32_e32 v16, v18, v16, vcc
	v_cndmask_b32_e32 v1, v1, v23, vcc
	v_lshlrev_b32_e32 v17, 16, v8
	v_lshlrev_b32_e32 v1, 20, v1
	v_and_b32_e32 v17, 0x80000000, v17
	v_lshl_add_u32 v16, v16, 23, v0
	v_or3_b32 v1, v17, v16, v1
.LBB2_886:                              ;   in Loop: Header=BB2_468 Depth=4
	s_or_b64 exec, exec, s[66:67]
.LBB2_887:                              ;   in Loop: Header=BB2_468 Depth=4
	s_or_b64 exec, exec, s[64:65]
.LBB2_888:                              ;   in Loop: Header=BB2_468 Depth=4
	s_or_b64 exec, exec, s[28:29]
	v_add_f32_e32 v3, v3, v1
	v_and_b32_sdwa v1, v3, s91 dst_sel:DWORD dst_unused:UNUSED_PAD src0_sel:BYTE_3 src1_sel:DWORD
	v_and_b32_e32 v16, 0x7f800000, v3
	v_mov_b32_e32 v17, v61
	v_and_b32_e32 v60, 0x7fffff, v3
	v_or_b32_e32 v23, 0x7e, v1
	v_cmp_ne_u64_e32 vcc, s[54:55], v[16:17]
	s_and_saveexec_b64 s[28:29], vcc
	s_xor_b64 s[64:65], exec, s[28:29]
	s_cbranch_execz .LBB2_898
; %bb.889:                              ;   in Loop: Header=BB2_468 Depth=4
	v_and_b32_e32 v16, 0x7fffffff, v3
	v_mov_b32_e32 v17, v61
	v_cmp_gt_u64_e32 vcc, s[56:57], v[16:17]
	s_and_saveexec_b64 s[66:67], vcc
	s_cbranch_execz .LBB2_897
; %bb.890:                              ;   in Loop: Header=BB2_468 Depth=4
	v_cmp_ne_u32_e32 vcc, 0, v3
	v_mov_b32_e32 v23, 0
	s_and_saveexec_b64 s[68:69], vcc
	s_cbranch_execz .LBB2_896
; %bb.891:                              ;   in Loop: Header=BB2_468 Depth=4
	v_bfe_u32 v3, v3, 23, 8
	v_sub_u32_e32 v17, 0x79, v3
	v_cmp_gt_u32_e32 vcc, s93, v3
	v_add_u32_e32 v16, 0xffffff81, v3
	v_cndmask_b32_e32 v17, 0, v17, vcc
	v_cmp_eq_u32_e32 vcc, 0, v3
	v_mov_b32_e32 v3, 0xffffff82
	v_cndmask_b32_e32 v3, v16, v3, vcc
	v_mov_b32_e32 v16, 0x78
	v_or_b32_e32 v18, 0x800000, v60
	v_cndmask_b32_e32 v23, v17, v16, vcc
	v_cndmask_b32_e32 v60, v18, v60, vcc
	v_add_u32_e32 v16, 20, v23
	v_lshlrev_b64 v[16:17], v16, -1
	v_add_u32_e32 v18, 19, v23
	v_lshrrev_b64 v[34:35], v23, v[60:61]
	v_not_b32_e32 v17, v17
	v_not_b32_e32 v16, v16
	v_lshlrev_b64 v[32:33], v18, 1
	v_lshrrev_b32_e32 v18, 23, v34
	v_and_b32_e32 v17, 0, v17
	v_and_b32_e32 v16, v60, v16
	v_add3_u32 v23, v23, v3, v18
	v_bfe_u32 v3, v34, 20, 1
	v_add_u32_e32 v3, -1, v3
	v_cmp_eq_u64_e32 vcc, v[16:17], v[32:33]
	v_cndmask_b32_e32 v3, 0, v3, vcc
	v_add_u32_e32 v3, v3, v34
	v_and_b32_e32 v3, 0xfffff, v3
	v_add_co_u32_e32 v16, vcc, v3, v34
	v_add_u32_e32 v18, 6, v23
	v_addc_co_u32_e32 v17, vcc, 0, v35, vcc
	v_cmp_ne_u32_e32 vcc, 0, v18
                                        ; implicit-def: $vgpr3
	s_and_saveexec_b64 s[28:29], vcc
	s_xor_b64 s[28:29], exec, s[28:29]
; %bb.892:                              ;   in Loop: Header=BB2_468 Depth=4
	v_add_u32_e32 v3, 7, v23
	v_cmp_lt_u64_e32 vcc, s[58:59], v[16:17]
	v_cndmask_b32_e32 v3, v18, v3, vcc
	v_cndmask_b32_e64 v18, 0, 1, vcc
	v_lshrrev_b64 v[16:17], v18, v[16:17]
; %bb.893:                              ;   in Loop: Header=BB2_468 Depth=4
	s_andn2_saveexec_b64 s[28:29], s[28:29]
; %bb.894:                              ;   in Loop: Header=BB2_468 Depth=4
	v_bfe_u32 v3, v16, 23, 1
; %bb.895:                              ;   in Loop: Header=BB2_468 Depth=4
	s_or_b64 exec, exec, s[28:29]
	v_lshrrev_b64 v[16:17], 20, v[16:17]
	v_cmp_gt_i32_e32 vcc, 16, v3
	v_cndmask_b32_e32 v17, 0, v17, vcc
	v_cndmask_b32_e32 v16, 7, v16, vcc
	v_cmp_eq_u32_e32 vcc, 0, v3
	v_min_i32_e32 v3, 15, v3
	v_cmp_eq_u64_e64 s[28:29], 0, v[16:17]
	v_lshlrev_b32_e32 v3, 3, v3
	v_and_or_b32 v3, v16, 7, v3
	s_and_b64 s[28:29], vcc, s[28:29]
	v_cndmask_b32_e64 v3, v3, 0, s[28:29]
	v_or_b32_e32 v23, v3, v1
.LBB2_896:                              ;   in Loop: Header=BB2_468 Depth=4
	s_or_b64 exec, exec, s[68:69]
.LBB2_897:                              ;   in Loop: Header=BB2_468 Depth=4
	s_or_b64 exec, exec, s[66:67]
                                        ; implicit-def: $vgpr3
.LBB2_898:                              ;   in Loop: Header=BB2_468 Depth=4
	s_andn2_saveexec_b64 s[28:29], s[64:65]
; %bb.899:                              ;   in Loop: Header=BB2_468 Depth=4
	v_or_b32_sdwa v1, v3, s92 dst_sel:DWORD dst_unused:UNUSED_PAD src0_sel:BYTE_3 src1_sel:DWORD
	v_cmp_eq_u64_e32 vcc, 0, v[60:61]
	v_cndmask_b32_e32 v23, v1, v23, vcc
; %bb.900:                              ;   in Loop: Header=BB2_468 Depth=4
	s_or_b64 exec, exec, s[28:29]
	v_lshrrev_b32_e32 v16, 16, v12
	v_cmp_ne_u16_sdwa vcc, v16, v61 src0_sel:BYTE_0 src1_sel:DWORD
	v_mov_b32_e32 v1, 0
	v_mov_b32_e32 v3, 0
	s_and_saveexec_b64 s[28:29], vcc
	s_cbranch_execz .LBB2_906
; %bb.901:                              ;   in Loop: Header=BB2_468 Depth=4
	v_cmp_ne_u16_sdwa vcc, v16, s91 src0_sel:BYTE_0 src1_sel:DWORD
	v_bfrev_b32_e32 v3, 1
	s_and_saveexec_b64 s[64:65], vcc
	s_cbranch_execz .LBB2_905
; %bb.902:                              ;   in Loop: Header=BB2_468 Depth=4
	v_bfe_u32 v17, v12, 16, 7
	v_cmp_ne_u32_e32 vcc, s92, v17
	v_mov_b32_e32 v3, 0x7f800001
	s_and_saveexec_b64 s[66:67], vcc
	s_cbranch_execz .LBB2_904
; %bb.903:                              ;   in Loop: Header=BB2_468 Depth=4
	v_and_b32_e32 v3, 7, v16
	v_ffbh_u32_e32 v31, v3
	v_min_u32_e32 v31, 32, v31
	v_subrev_u32_e32 v32, 28, v31
	v_lshlrev_b64 v[32:33], v32, v[16:17]
	v_lshrrev_b32_e32 v18, 3, v17
	v_sub_u32_e32 v31, 29, v31
	v_and_b32_e32 v32, 7, v32
	v_cmp_gt_u32_e32 vcc, 8, v17
	v_cndmask_b32_e32 v17, v18, v31, vcc
	v_cndmask_b32_e32 v3, v3, v32, vcc
	v_lshlrev_b32_e32 v16, 24, v16
	v_lshlrev_b32_e32 v3, 20, v3
	v_and_b32_e32 v16, 0x80000000, v16
	v_lshl_add_u32 v17, v17, 23, v0
	v_or3_b32 v3, v16, v17, v3
.LBB2_904:                              ;   in Loop: Header=BB2_468 Depth=4
	s_or_b64 exec, exec, s[66:67]
.LBB2_905:                              ;   in Loop: Header=BB2_468 Depth=4
	s_or_b64 exec, exec, s[64:65]
.LBB2_906:                              ;   in Loop: Header=BB2_468 Depth=4
	s_or_b64 exec, exec, s[28:29]
	v_lshrrev_b32_e32 v16, 16, v8
	v_cmp_ne_u16_sdwa vcc, v16, v61 src0_sel:BYTE_0 src1_sel:DWORD
	s_and_saveexec_b64 s[28:29], vcc
	s_cbranch_execz .LBB2_912
; %bb.907:                              ;   in Loop: Header=BB2_468 Depth=4
	v_cmp_ne_u16_sdwa vcc, v16, s91 src0_sel:BYTE_0 src1_sel:DWORD
	v_bfrev_b32_e32 v1, 1
	s_and_saveexec_b64 s[64:65], vcc
	s_cbranch_execz .LBB2_911
; %bb.908:                              ;   in Loop: Header=BB2_468 Depth=4
	v_bfe_u32 v17, v8, 16, 7
	v_cmp_ne_u32_e32 vcc, s92, v17
	v_mov_b32_e32 v1, 0x7f800001
	s_and_saveexec_b64 s[66:67], vcc
	s_cbranch_execz .LBB2_910
; %bb.909:                              ;   in Loop: Header=BB2_468 Depth=4
	v_and_b32_e32 v1, 7, v16
	v_ffbh_u32_e32 v31, v1
	v_min_u32_e32 v31, 32, v31
	v_subrev_u32_e32 v32, 28, v31
	v_lshlrev_b64 v[32:33], v32, v[16:17]
	v_lshrrev_b32_e32 v18, 3, v17
	v_sub_u32_e32 v16, 29, v31
	v_and_b32_e32 v31, 7, v32
	v_cmp_gt_u32_e32 vcc, 8, v17
	v_cndmask_b32_e32 v16, v18, v16, vcc
	v_cndmask_b32_e32 v1, v1, v31, vcc
	v_lshlrev_b32_e32 v17, 8, v8
	v_lshlrev_b32_e32 v1, 20, v1
	v_and_b32_e32 v17, 0x80000000, v17
	v_lshl_add_u32 v16, v16, 23, v0
	v_or3_b32 v1, v17, v16, v1
.LBB2_910:                              ;   in Loop: Header=BB2_468 Depth=4
	s_or_b64 exec, exec, s[66:67]
.LBB2_911:                              ;   in Loop: Header=BB2_468 Depth=4
	s_or_b64 exec, exec, s[64:65]
.LBB2_912:                              ;   in Loop: Header=BB2_468 Depth=4
	s_or_b64 exec, exec, s[28:29]
	v_add_f32_e32 v3, v3, v1
	v_and_b32_sdwa v1, v3, s91 dst_sel:DWORD dst_unused:UNUSED_PAD src0_sel:BYTE_3 src1_sel:DWORD
	v_and_b32_e32 v16, 0x7f800000, v3
	v_mov_b32_e32 v17, v61
	v_and_b32_e32 v60, 0x7fffff, v3
	v_or_b32_e32 v38, 0x7e, v1
	v_cmp_ne_u64_e32 vcc, s[54:55], v[16:17]
	s_and_saveexec_b64 s[28:29], vcc
	s_xor_b64 s[64:65], exec, s[28:29]
	s_cbranch_execz .LBB2_922
; %bb.913:                              ;   in Loop: Header=BB2_468 Depth=4
	v_and_b32_e32 v16, 0x7fffffff, v3
	v_mov_b32_e32 v17, v61
	v_cmp_gt_u64_e32 vcc, s[56:57], v[16:17]
	s_and_saveexec_b64 s[66:67], vcc
	s_cbranch_execz .LBB2_921
; %bb.914:                              ;   in Loop: Header=BB2_468 Depth=4
	v_cmp_ne_u32_e32 vcc, 0, v3
	v_mov_b32_e32 v38, 0
	s_and_saveexec_b64 s[68:69], vcc
	s_cbranch_execz .LBB2_920
; %bb.915:                              ;   in Loop: Header=BB2_468 Depth=4
	v_bfe_u32 v3, v3, 23, 8
	v_sub_u32_e32 v17, 0x79, v3
	v_cmp_gt_u32_e32 vcc, s93, v3
	v_add_u32_e32 v16, 0xffffff81, v3
	v_cndmask_b32_e32 v17, 0, v17, vcc
	v_cmp_eq_u32_e32 vcc, 0, v3
	v_mov_b32_e32 v3, 0xffffff82
	v_cndmask_b32_e32 v3, v16, v3, vcc
	v_mov_b32_e32 v16, 0x78
	v_or_b32_e32 v18, 0x800000, v60
	v_cndmask_b32_e32 v31, v17, v16, vcc
	v_cndmask_b32_e32 v60, v18, v60, vcc
	v_add_u32_e32 v16, 20, v31
	v_lshlrev_b64 v[16:17], v16, -1
	v_add_u32_e32 v18, 19, v31
	v_lshrrev_b64 v[34:35], v31, v[60:61]
	v_not_b32_e32 v17, v17
	v_not_b32_e32 v16, v16
	v_lshlrev_b64 v[32:33], v18, 1
	v_lshrrev_b32_e32 v18, 23, v34
	v_and_b32_e32 v17, 0, v17
	v_and_b32_e32 v16, v60, v16
	v_add3_u32 v31, v31, v3, v18
	v_bfe_u32 v3, v34, 20, 1
	v_add_u32_e32 v3, -1, v3
	v_cmp_eq_u64_e32 vcc, v[16:17], v[32:33]
	v_cndmask_b32_e32 v3, 0, v3, vcc
	v_add_u32_e32 v3, v3, v34
	v_and_b32_e32 v3, 0xfffff, v3
	v_add_co_u32_e32 v16, vcc, v3, v34
	v_add_u32_e32 v18, 6, v31
	v_addc_co_u32_e32 v17, vcc, 0, v35, vcc
	v_cmp_ne_u32_e32 vcc, 0, v18
                                        ; implicit-def: $vgpr3
	s_and_saveexec_b64 s[28:29], vcc
	s_xor_b64 s[28:29], exec, s[28:29]
; %bb.916:                              ;   in Loop: Header=BB2_468 Depth=4
	v_add_u32_e32 v3, 7, v31
	v_cmp_lt_u64_e32 vcc, s[58:59], v[16:17]
	v_cndmask_b32_e32 v3, v18, v3, vcc
	v_cndmask_b32_e64 v18, 0, 1, vcc
	v_lshrrev_b64 v[16:17], v18, v[16:17]
; %bb.917:                              ;   in Loop: Header=BB2_468 Depth=4
	s_andn2_saveexec_b64 s[28:29], s[28:29]
; %bb.918:                              ;   in Loop: Header=BB2_468 Depth=4
	v_bfe_u32 v3, v16, 23, 1
; %bb.919:                              ;   in Loop: Header=BB2_468 Depth=4
	s_or_b64 exec, exec, s[28:29]
	v_lshrrev_b64 v[16:17], 20, v[16:17]
	v_cmp_gt_i32_e32 vcc, 16, v3
	v_cndmask_b32_e32 v17, 0, v17, vcc
	v_cndmask_b32_e32 v16, 7, v16, vcc
	v_cmp_eq_u32_e32 vcc, 0, v3
	v_min_i32_e32 v3, 15, v3
	v_cmp_eq_u64_e64 s[28:29], 0, v[16:17]
	v_lshlrev_b32_e32 v3, 3, v3
	v_and_or_b32 v3, v16, 7, v3
	s_and_b64 s[28:29], vcc, s[28:29]
	v_cndmask_b32_e64 v3, v3, 0, s[28:29]
	v_or_b32_e32 v38, v3, v1
.LBB2_920:                              ;   in Loop: Header=BB2_468 Depth=4
	s_or_b64 exec, exec, s[68:69]
.LBB2_921:                              ;   in Loop: Header=BB2_468 Depth=4
	s_or_b64 exec, exec, s[66:67]
                                        ; implicit-def: $vgpr3
.LBB2_922:                              ;   in Loop: Header=BB2_468 Depth=4
	s_andn2_saveexec_b64 s[28:29], s[64:65]
; %bb.923:                              ;   in Loop: Header=BB2_468 Depth=4
	v_or_b32_sdwa v1, v3, s92 dst_sel:DWORD dst_unused:UNUSED_PAD src0_sel:BYTE_3 src1_sel:DWORD
	v_cmp_eq_u64_e32 vcc, 0, v[60:61]
	v_cndmask_b32_e32 v38, v1, v38, vcc
; %bb.924:                              ;   in Loop: Header=BB2_468 Depth=4
	s_or_b64 exec, exec, s[28:29]
	v_cmp_lt_u32_e32 vcc, s45, v12
	v_mov_b32_e32 v1, 0
	v_mov_b32_e32 v3, 0
	s_and_saveexec_b64 s[28:29], vcc
	s_cbranch_execz .LBB2_930
; %bb.925:                              ;   in Loop: Header=BB2_468 Depth=4
	v_lshrrev_b32_e32 v16, 24, v12
	v_cmp_ne_u32_e32 vcc, s91, v16
	v_bfrev_b32_e32 v3, 1
	s_and_saveexec_b64 s[64:65], vcc
	s_cbranch_execz .LBB2_929
; %bb.926:                              ;   in Loop: Header=BB2_468 Depth=4
	v_bfe_u32 v17, v12, 24, 7
	v_cmp_ne_u32_e32 vcc, s92, v17
	v_mov_b32_e32 v3, 0x7f800001
	s_and_saveexec_b64 s[66:67], vcc
	s_cbranch_execz .LBB2_928
; %bb.927:                              ;   in Loop: Header=BB2_468 Depth=4
	v_and_b32_e32 v3, 7, v16
	v_ffbh_u32_e32 v31, v3
	v_min_u32_e32 v31, 32, v31
	v_subrev_u32_e32 v32, 28, v31
	v_lshlrev_b64 v[32:33], v32, v[16:17]
	v_lshrrev_b32_e32 v18, 3, v17
	v_sub_u32_e32 v31, 29, v31
	v_and_b32_e32 v32, 7, v32
	v_cmp_gt_u32_e32 vcc, 8, v17
	v_cndmask_b32_e32 v17, v18, v31, vcc
	v_cndmask_b32_e32 v3, v3, v32, vcc
	v_lshlrev_b32_e32 v16, 24, v16
	v_lshlrev_b32_e32 v3, 20, v3
	v_and_b32_e32 v16, 0x80000000, v16
	v_lshl_add_u32 v17, v17, 23, v0
	v_or3_b32 v3, v16, v17, v3
.LBB2_928:                              ;   in Loop: Header=BB2_468 Depth=4
	s_or_b64 exec, exec, s[66:67]
.LBB2_929:                              ;   in Loop: Header=BB2_468 Depth=4
	s_or_b64 exec, exec, s[64:65]
.LBB2_930:                              ;   in Loop: Header=BB2_468 Depth=4
	s_or_b64 exec, exec, s[28:29]
	v_cmp_lt_u32_e32 vcc, s45, v8
	s_and_saveexec_b64 s[28:29], vcc
	s_cbranch_execz .LBB2_936
; %bb.931:                              ;   in Loop: Header=BB2_468 Depth=4
	v_lshrrev_b32_e32 v16, 24, v8
	v_cmp_ne_u32_e32 vcc, s91, v16
	v_bfrev_b32_e32 v1, 1
	s_and_saveexec_b64 s[64:65], vcc
	s_cbranch_execz .LBB2_935
; %bb.932:                              ;   in Loop: Header=BB2_468 Depth=4
	v_bfe_u32 v17, v8, 24, 7
	v_cmp_ne_u32_e32 vcc, s92, v17
	v_mov_b32_e32 v1, 0x7f800001
	s_and_saveexec_b64 s[66:67], vcc
	s_cbranch_execz .LBB2_934
; %bb.933:                              ;   in Loop: Header=BB2_468 Depth=4
	v_and_b32_e32 v1, 7, v16
	v_ffbh_u32_e32 v31, v1
	v_min_u32_e32 v31, 32, v31
	v_subrev_u32_e32 v32, 28, v31
	v_lshlrev_b64 v[32:33], v32, v[16:17]
	v_lshrrev_b32_e32 v18, 3, v17
	v_sub_u32_e32 v31, 29, v31
	v_and_b32_e32 v32, 7, v32
	v_cmp_gt_u32_e32 vcc, 8, v17
	v_cndmask_b32_e32 v17, v18, v31, vcc
	v_cndmask_b32_e32 v1, v1, v32, vcc
	v_lshlrev_b32_e32 v16, 24, v16
	v_lshlrev_b32_e32 v1, 20, v1
	v_and_b32_e32 v16, 0x80000000, v16
	v_lshl_add_u32 v17, v17, 23, v0
	v_or3_b32 v1, v16, v17, v1
.LBB2_934:                              ;   in Loop: Header=BB2_468 Depth=4
	s_or_b64 exec, exec, s[66:67]
.LBB2_935:                              ;   in Loop: Header=BB2_468 Depth=4
	s_or_b64 exec, exec, s[64:65]
.LBB2_936:                              ;   in Loop: Header=BB2_468 Depth=4
	s_or_b64 exec, exec, s[28:29]
	v_add_f32_e32 v3, v3, v1
	v_and_b32_sdwa v1, v3, s91 dst_sel:DWORD dst_unused:UNUSED_PAD src0_sel:BYTE_3 src1_sel:DWORD
	v_and_b32_e32 v16, 0x7f800000, v3
	v_mov_b32_e32 v17, v61
	v_and_b32_e32 v60, 0x7fffff, v3
	v_or_b32_e32 v39, 0x7e, v1
	v_cmp_ne_u64_e32 vcc, s[54:55], v[16:17]
	s_and_saveexec_b64 s[28:29], vcc
	s_xor_b64 s[64:65], exec, s[28:29]
	s_cbranch_execz .LBB2_946
; %bb.937:                              ;   in Loop: Header=BB2_468 Depth=4
	v_and_b32_e32 v16, 0x7fffffff, v3
	v_mov_b32_e32 v17, v61
	v_cmp_gt_u64_e32 vcc, s[56:57], v[16:17]
	s_and_saveexec_b64 s[66:67], vcc
	s_cbranch_execz .LBB2_945
; %bb.938:                              ;   in Loop: Header=BB2_468 Depth=4
	v_cmp_ne_u32_e32 vcc, 0, v3
	v_mov_b32_e32 v39, 0
	s_and_saveexec_b64 s[68:69], vcc
	s_cbranch_execz .LBB2_944
; %bb.939:                              ;   in Loop: Header=BB2_468 Depth=4
	v_bfe_u32 v3, v3, 23, 8
	v_sub_u32_e32 v17, 0x79, v3
	v_cmp_gt_u32_e32 vcc, s93, v3
	v_add_u32_e32 v16, 0xffffff81, v3
	v_cndmask_b32_e32 v17, 0, v17, vcc
	v_cmp_eq_u32_e32 vcc, 0, v3
	v_mov_b32_e32 v3, 0xffffff82
	v_cndmask_b32_e32 v3, v16, v3, vcc
	v_mov_b32_e32 v16, 0x78
	v_or_b32_e32 v18, 0x800000, v60
	v_cndmask_b32_e32 v31, v17, v16, vcc
	v_cndmask_b32_e32 v60, v18, v60, vcc
	v_add_u32_e32 v16, 20, v31
	v_lshlrev_b64 v[16:17], v16, -1
	v_add_u32_e32 v18, 19, v31
	v_lshrrev_b64 v[34:35], v31, v[60:61]
	v_not_b32_e32 v17, v17
	v_not_b32_e32 v16, v16
	v_lshlrev_b64 v[32:33], v18, 1
	v_lshrrev_b32_e32 v18, 23, v34
	v_and_b32_e32 v17, 0, v17
	v_and_b32_e32 v16, v60, v16
	v_add3_u32 v31, v31, v3, v18
	v_bfe_u32 v3, v34, 20, 1
	v_add_u32_e32 v3, -1, v3
	v_cmp_eq_u64_e32 vcc, v[16:17], v[32:33]
	v_cndmask_b32_e32 v3, 0, v3, vcc
	v_add_u32_e32 v3, v3, v34
	v_and_b32_e32 v3, 0xfffff, v3
	v_add_co_u32_e32 v16, vcc, v3, v34
	v_add_u32_e32 v18, 6, v31
	v_addc_co_u32_e32 v17, vcc, 0, v35, vcc
	v_cmp_ne_u32_e32 vcc, 0, v18
                                        ; implicit-def: $vgpr3
	s_and_saveexec_b64 s[28:29], vcc
	s_xor_b64 s[28:29], exec, s[28:29]
; %bb.940:                              ;   in Loop: Header=BB2_468 Depth=4
	v_add_u32_e32 v3, 7, v31
	v_cmp_lt_u64_e32 vcc, s[58:59], v[16:17]
	v_cndmask_b32_e32 v3, v18, v3, vcc
	v_cndmask_b32_e64 v18, 0, 1, vcc
	v_lshrrev_b64 v[16:17], v18, v[16:17]
; %bb.941:                              ;   in Loop: Header=BB2_468 Depth=4
	s_andn2_saveexec_b64 s[28:29], s[28:29]
; %bb.942:                              ;   in Loop: Header=BB2_468 Depth=4
	v_bfe_u32 v3, v16, 23, 1
; %bb.943:                              ;   in Loop: Header=BB2_468 Depth=4
	s_or_b64 exec, exec, s[28:29]
	v_lshrrev_b64 v[16:17], 20, v[16:17]
	v_cmp_gt_i32_e32 vcc, 16, v3
	v_cndmask_b32_e32 v17, 0, v17, vcc
	v_cndmask_b32_e32 v16, 7, v16, vcc
	v_cmp_eq_u32_e32 vcc, 0, v3
	v_min_i32_e32 v3, 15, v3
	v_cmp_eq_u64_e64 s[28:29], 0, v[16:17]
	v_lshlrev_b32_e32 v3, 3, v3
	v_and_or_b32 v3, v16, 7, v3
	s_and_b64 s[28:29], vcc, s[28:29]
	v_cndmask_b32_e64 v3, v3, 0, s[28:29]
	v_or_b32_e32 v39, v3, v1
.LBB2_944:                              ;   in Loop: Header=BB2_468 Depth=4
	s_or_b64 exec, exec, s[68:69]
.LBB2_945:                              ;   in Loop: Header=BB2_468 Depth=4
	s_or_b64 exec, exec, s[66:67]
                                        ; implicit-def: $vgpr3
.LBB2_946:                              ;   in Loop: Header=BB2_468 Depth=4
	s_andn2_saveexec_b64 s[28:29], s[64:65]
; %bb.947:                              ;   in Loop: Header=BB2_468 Depth=4
	v_or_b32_sdwa v1, v3, s92 dst_sel:DWORD dst_unused:UNUSED_PAD src0_sel:BYTE_3 src1_sel:DWORD
	v_cmp_eq_u64_e32 vcc, 0, v[60:61]
	v_cndmask_b32_e32 v39, v1, v39, vcc
; %bb.948:                              ;   in Loop: Header=BB2_468 Depth=4
	s_or_b64 exec, exec, s[28:29]
	v_mov_b32_e32 v60, v13
	v_cmp_ne_u16_sdwa vcc, v13, v61 src0_sel:BYTE_0 src1_sel:DWORD
	v_mov_b32_e32 v3, 0
	v_mov_b32_e32 v1, 0
	s_and_saveexec_b64 s[28:29], vcc
	s_cbranch_execz .LBB2_954
; %bb.949:                              ;   in Loop: Header=BB2_468 Depth=4
	v_cmp_ne_u16_sdwa vcc, v13, s91 src0_sel:BYTE_0 src1_sel:DWORD
	v_bfrev_b32_e32 v1, 1
	s_and_saveexec_b64 s[64:65], vcc
	s_cbranch_execz .LBB2_953
; %bb.950:                              ;   in Loop: Header=BB2_468 Depth=4
	v_and_b32_e32 v16, 0x7f, v13
	v_cmp_ne_u32_e32 vcc, s92, v16
	v_mov_b32_e32 v1, 0x7f800001
	s_and_saveexec_b64 s[66:67], vcc
	s_cbranch_execz .LBB2_952
; %bb.951:                              ;   in Loop: Header=BB2_468 Depth=4
	v_and_b32_e32 v1, 7, v13
	v_ffbh_u32_e32 v1, v1
	v_min_u32_e32 v1, 32, v1
	v_subrev_u32_e32 v18, 28, v1
	v_cmp_gt_u32_e32 vcc, 8, v16
	v_lshrrev_b32_e32 v17, 3, v16
	v_sub_u32_e32 v1, 29, v1
	v_cndmask_b32_e32 v16, 0, v18, vcc
	v_cndmask_b32_e32 v1, v17, v1, vcc
	v_lshlrev_b64 v[16:17], v16, v[60:61]
	v_lshlrev_b32_e32 v16, 20, v16
	v_lshlrev_b32_e32 v17, 24, v60
	v_and_b32_e32 v16, 0x700000, v16
	v_and_b32_e32 v17, 0x80000000, v17
	v_lshl_add_u32 v1, v1, 23, v0
	v_or3_b32 v1, v17, v1, v16
.LBB2_952:                              ;   in Loop: Header=BB2_468 Depth=4
	s_or_b64 exec, exec, s[66:67]
.LBB2_953:                              ;   in Loop: Header=BB2_468 Depth=4
	s_or_b64 exec, exec, s[64:65]
.LBB2_954:                              ;   in Loop: Header=BB2_468 Depth=4
	s_or_b64 exec, exec, s[28:29]
	v_cmp_ne_u16_sdwa vcc, v9, v61 src0_sel:BYTE_0 src1_sel:DWORD
	s_and_saveexec_b64 s[28:29], vcc
	s_cbranch_execz .LBB2_960
; %bb.955:                              ;   in Loop: Header=BB2_468 Depth=4
	v_cmp_ne_u16_sdwa vcc, v9, s91 src0_sel:BYTE_0 src1_sel:DWORD
	v_bfrev_b32_e32 v3, 1
	s_and_saveexec_b64 s[64:65], vcc
	s_cbranch_execz .LBB2_959
; %bb.956:                              ;   in Loop: Header=BB2_468 Depth=4
	v_and_b32_e32 v16, 0x7f, v9
	v_cmp_ne_u32_e32 vcc, s92, v16
	v_mov_b32_e32 v3, 0x7f800001
	s_and_saveexec_b64 s[66:67], vcc
	s_cbranch_execz .LBB2_958
; %bb.957:                              ;   in Loop: Header=BB2_468 Depth=4
	v_and_b32_e32 v3, 7, v9
	v_ffbh_u32_e32 v3, v3
	v_min_u32_e32 v3, 32, v3
	v_subrev_u32_e32 v18, 28, v3
	v_cmp_gt_u32_e32 vcc, 8, v16
	v_mov_b32_e32 v32, v9
	v_mov_b32_e32 v33, v61
	v_lshrrev_b32_e32 v17, 3, v16
	v_sub_u32_e32 v3, 29, v3
	v_cndmask_b32_e32 v16, 0, v18, vcc
	v_cndmask_b32_e32 v3, v17, v3, vcc
	v_lshlrev_b64 v[16:17], v16, v[32:33]
	v_lshlrev_b32_e32 v16, 20, v16
	v_lshlrev_b32_e32 v17, 24, v32
	v_and_b32_e32 v16, 0x700000, v16
	v_and_b32_e32 v17, 0x80000000, v17
	v_lshl_add_u32 v3, v3, 23, v0
	v_or3_b32 v3, v17, v3, v16
.LBB2_958:                              ;   in Loop: Header=BB2_468 Depth=4
	s_or_b64 exec, exec, s[66:67]
.LBB2_959:                              ;   in Loop: Header=BB2_468 Depth=4
	s_or_b64 exec, exec, s[64:65]
.LBB2_960:                              ;   in Loop: Header=BB2_468 Depth=4
	s_or_b64 exec, exec, s[28:29]
	v_add_f32_e32 v3, v1, v3
	v_and_b32_sdwa v1, v3, s91 dst_sel:DWORD dst_unused:UNUSED_PAD src0_sel:BYTE_3 src1_sel:DWORD
	v_and_b32_e32 v32, 0x7f800000, v3
	v_mov_b32_e32 v33, v61
	v_and_b32_e32 v16, 0x7fffff, v3
	v_mov_b32_e32 v17, v61
	v_or_b32_e32 v31, 0x7e, v1
	v_cmp_ne_u64_e32 vcc, s[54:55], v[32:33]
	s_and_saveexec_b64 s[28:29], vcc
	s_xor_b64 s[64:65], exec, s[28:29]
	s_cbranch_execz .LBB2_970
; %bb.961:                              ;   in Loop: Header=BB2_468 Depth=4
	v_and_b32_e32 v32, 0x7fffffff, v3
	v_mov_b32_e32 v33, v61
	v_cmp_gt_u64_e32 vcc, s[56:57], v[32:33]
	s_and_saveexec_b64 s[66:67], vcc
	s_cbranch_execz .LBB2_969
; %bb.962:                              ;   in Loop: Header=BB2_468 Depth=4
	v_cmp_ne_u32_e32 vcc, 0, v3
	v_mov_b32_e32 v31, 0
	s_and_saveexec_b64 s[68:69], vcc
	s_cbranch_execz .LBB2_968
; %bb.963:                              ;   in Loop: Header=BB2_468 Depth=4
	v_bfe_u32 v3, v3, 23, 8
	v_sub_u32_e32 v31, 0x79, v3
	v_cmp_gt_u32_e32 vcc, s93, v3
	v_add_u32_e32 v18, 0xffffff81, v3
	v_cndmask_b32_e32 v31, 0, v31, vcc
	v_cmp_eq_u32_e32 vcc, 0, v3
	v_mov_b32_e32 v3, 0xffffff82
	v_cndmask_b32_e32 v3, v18, v3, vcc
	v_mov_b32_e32 v18, 0x78
	v_cndmask_b32_e32 v18, v31, v18, vcc
	v_or_b32_e32 v32, 0x800000, v16
	v_add_u32_e32 v31, 20, v18
	v_cndmask_b32_e32 v16, v32, v16, vcc
	v_lshlrev_b64 v[32:33], v31, -1
	v_not_b32_e32 v31, v33
	v_not_b32_e32 v32, v32
	v_and_b32_e32 v33, 0, v31
	v_and_b32_e32 v32, v16, v32
	v_add_u32_e32 v31, 19, v18
	v_lshrrev_b64 v[16:17], v18, v[16:17]
	v_lshlrev_b64 v[34:35], v31, 1
	v_lshrrev_b32_e32 v31, 23, v16
	v_add3_u32 v31, v18, v3, v31
	v_bfe_u32 v3, v16, 20, 1
	v_add_u32_e32 v3, -1, v3
	v_cmp_eq_u64_e32 vcc, v[32:33], v[34:35]
	v_cndmask_b32_e32 v3, 0, v3, vcc
	v_add_u32_e32 v3, v3, v16
	v_and_b32_e32 v3, 0xfffff, v3
	v_add_co_u32_e32 v16, vcc, v3, v16
	v_add_u32_e32 v18, 6, v31
	v_addc_co_u32_e32 v17, vcc, 0, v17, vcc
	v_cmp_ne_u32_e32 vcc, 0, v18
                                        ; implicit-def: $vgpr3
	s_and_saveexec_b64 s[28:29], vcc
	s_xor_b64 s[28:29], exec, s[28:29]
; %bb.964:                              ;   in Loop: Header=BB2_468 Depth=4
	v_add_u32_e32 v3, 7, v31
	v_cmp_lt_u64_e32 vcc, s[58:59], v[16:17]
	v_cndmask_b32_e32 v3, v18, v3, vcc
	v_cndmask_b32_e64 v18, 0, 1, vcc
	v_lshrrev_b64 v[16:17], v18, v[16:17]
; %bb.965:                              ;   in Loop: Header=BB2_468 Depth=4
	s_andn2_saveexec_b64 s[28:29], s[28:29]
; %bb.966:                              ;   in Loop: Header=BB2_468 Depth=4
	v_bfe_u32 v3, v16, 23, 1
; %bb.967:                              ;   in Loop: Header=BB2_468 Depth=4
	s_or_b64 exec, exec, s[28:29]
	v_lshrrev_b64 v[16:17], 20, v[16:17]
	v_cmp_gt_i32_e32 vcc, 16, v3
	v_cndmask_b32_e32 v17, 0, v17, vcc
	v_cndmask_b32_e32 v16, 7, v16, vcc
	v_cmp_eq_u32_e32 vcc, 0, v3
	v_min_i32_e32 v3, 15, v3
	v_cmp_eq_u64_e64 s[28:29], 0, v[16:17]
	v_lshlrev_b32_e32 v3, 3, v3
	v_and_or_b32 v3, v16, 7, v3
	s_and_b64 s[28:29], vcc, s[28:29]
	v_cndmask_b32_e64 v3, v3, 0, s[28:29]
	v_or_b32_e32 v31, v3, v1
.LBB2_968:                              ;   in Loop: Header=BB2_468 Depth=4
	s_or_b64 exec, exec, s[68:69]
.LBB2_969:                              ;   in Loop: Header=BB2_468 Depth=4
	s_or_b64 exec, exec, s[66:67]
                                        ; implicit-def: $vgpr3
                                        ; implicit-def: $vgpr16_vgpr17
.LBB2_970:                              ;   in Loop: Header=BB2_468 Depth=4
	s_andn2_saveexec_b64 s[28:29], s[64:65]
; %bb.971:                              ;   in Loop: Header=BB2_468 Depth=4
	v_or_b32_sdwa v1, v3, s92 dst_sel:DWORD dst_unused:UNUSED_PAD src0_sel:BYTE_3 src1_sel:DWORD
	v_cmp_eq_u64_e32 vcc, 0, v[16:17]
	v_cndmask_b32_e32 v31, v1, v31, vcc
; %bb.972:                              ;   in Loop: Header=BB2_468 Depth=4
	s_or_b64 exec, exec, s[28:29]
	v_lshrrev_b16_e32 v16, 8, v60
	v_cmp_ne_u16_e32 vcc, 0, v16
	v_mov_b32_e32 v1, 0
	v_mov_b32_e32 v3, 0
	s_and_saveexec_b64 s[28:29], vcc
	s_cbranch_execz .LBB2_978
; %bb.973:                              ;   in Loop: Header=BB2_468 Depth=4
	v_cmp_ne_u16_e32 vcc, s91, v16
	v_bfrev_b32_e32 v3, 1
	s_and_saveexec_b64 s[64:65], vcc
	s_cbranch_execz .LBB2_977
; %bb.974:                              ;   in Loop: Header=BB2_468 Depth=4
	v_and_b32_e32 v17, 0x7f, v16
	v_cmp_ne_u32_e32 vcc, s92, v17
	v_mov_b32_e32 v3, 0x7f800001
	s_and_saveexec_b64 s[66:67], vcc
	s_cbranch_execz .LBB2_976
; %bb.975:                              ;   in Loop: Header=BB2_468 Depth=4
	v_and_b32_e32 v3, 7, v16
	v_ffbh_u32_e32 v32, v3
	v_min_u32_e32 v34, 32, v32
	v_subrev_u32_e32 v32, 28, v34
	v_lshlrev_b64 v[32:33], v32, v[16:17]
	v_lshrrev_b32_e32 v18, 3, v17
	v_sub_u32_e32 v16, 29, v34
	v_and_b32_e32 v32, 7, v32
	v_cmp_gt_u32_e32 vcc, 8, v17
	v_cndmask_b32_e32 v16, v18, v16, vcc
	v_cndmask_b32_e32 v3, v3, v32, vcc
	v_lshlrev_b32_e32 v17, 16, v60
	v_lshlrev_b32_e32 v3, 20, v3
	v_and_b32_e32 v17, 0x80000000, v17
	v_lshl_add_u32 v16, v16, 23, v0
	v_or3_b32 v3, v17, v16, v3
.LBB2_976:                              ;   in Loop: Header=BB2_468 Depth=4
	s_or_b64 exec, exec, s[66:67]
.LBB2_977:                              ;   in Loop: Header=BB2_468 Depth=4
	s_or_b64 exec, exec, s[64:65]
.LBB2_978:                              ;   in Loop: Header=BB2_468 Depth=4
	s_or_b64 exec, exec, s[28:29]
	v_mov_b32_e32 v16, v9
	v_lshrrev_b16_e32 v18, 8, v16
	v_cmp_ne_u16_e32 vcc, 0, v18
	s_and_saveexec_b64 s[28:29], vcc
	s_cbranch_execz .LBB2_984
; %bb.979:                              ;   in Loop: Header=BB2_468 Depth=4
	v_cmp_ne_u16_e32 vcc, s91, v18
	v_bfrev_b32_e32 v1, 1
	s_and_saveexec_b64 s[64:65], vcc
	s_cbranch_execz .LBB2_983
; %bb.980:                              ;   in Loop: Header=BB2_468 Depth=4
	v_and_b32_e32 v17, 0x7f, v18
	v_cmp_ne_u32_e32 vcc, s92, v17
	v_mov_b32_e32 v1, 0x7f800001
	s_and_saveexec_b64 s[66:67], vcc
	s_cbranch_execz .LBB2_982
; %bb.981:                              ;   in Loop: Header=BB2_468 Depth=4
	v_and_b32_e32 v1, 7, v18
	v_ffbh_u32_e32 v32, v1
	v_min_u32_e32 v35, 32, v32
	v_subrev_u32_e32 v32, 28, v35
	v_lshlrev_b64 v[32:33], v32, v[18:19]
	v_lshrrev_b32_e32 v34, 3, v17
	v_sub_u32_e32 v18, 29, v35
	v_and_b32_e32 v32, 7, v32
	v_cmp_gt_u32_e32 vcc, 8, v17
	v_cndmask_b32_e32 v17, v34, v18, vcc
	v_cndmask_b32_e32 v1, v1, v32, vcc
	v_lshlrev_b32_e32 v16, 16, v16
	v_lshlrev_b32_e32 v1, 20, v1
	v_and_b32_e32 v16, 0x80000000, v16
	v_lshl_add_u32 v17, v17, 23, v0
	v_or3_b32 v1, v16, v17, v1
.LBB2_982:                              ;   in Loop: Header=BB2_468 Depth=4
	s_or_b64 exec, exec, s[66:67]
.LBB2_983:                              ;   in Loop: Header=BB2_468 Depth=4
	s_or_b64 exec, exec, s[64:65]
.LBB2_984:                              ;   in Loop: Header=BB2_468 Depth=4
	s_or_b64 exec, exec, s[28:29]
	v_add_f32_e32 v3, v3, v1
	v_and_b32_sdwa v1, v3, s91 dst_sel:DWORD dst_unused:UNUSED_PAD src0_sel:BYTE_3 src1_sel:DWORD
	v_and_b32_e32 v16, 0x7f800000, v3
	v_mov_b32_e32 v17, v61
	v_and_b32_e32 v60, 0x7fffff, v3
	v_or_b32_e32 v18, 0x7e, v1
	v_cmp_ne_u64_e32 vcc, s[54:55], v[16:17]
	s_and_saveexec_b64 s[28:29], vcc
	s_xor_b64 s[64:65], exec, s[28:29]
	s_cbranch_execz .LBB2_994
; %bb.985:                              ;   in Loop: Header=BB2_468 Depth=4
	v_and_b32_e32 v16, 0x7fffffff, v3
	v_mov_b32_e32 v17, v61
	v_cmp_gt_u64_e32 vcc, s[56:57], v[16:17]
	s_and_saveexec_b64 s[66:67], vcc
	s_cbranch_execz .LBB2_993
; %bb.986:                              ;   in Loop: Header=BB2_468 Depth=4
	v_cmp_ne_u32_e32 vcc, 0, v3
	v_mov_b32_e32 v18, 0
	s_and_saveexec_b64 s[68:69], vcc
	s_cbranch_execz .LBB2_992
; %bb.987:                              ;   in Loop: Header=BB2_468 Depth=4
	v_bfe_u32 v3, v3, 23, 8
	v_sub_u32_e32 v17, 0x79, v3
	v_cmp_gt_u32_e32 vcc, s93, v3
	v_add_u32_e32 v16, 0xffffff81, v3
	v_cndmask_b32_e32 v17, 0, v17, vcc
	v_cmp_eq_u32_e32 vcc, 0, v3
	v_mov_b32_e32 v3, 0xffffff82
	v_cndmask_b32_e32 v3, v16, v3, vcc
	v_mov_b32_e32 v16, 0x78
	v_or_b32_e32 v18, 0x800000, v60
	v_cndmask_b32_e32 v54, v17, v16, vcc
	v_cndmask_b32_e32 v60, v18, v60, vcc
	v_add_u32_e32 v16, 20, v54
	v_lshlrev_b64 v[16:17], v16, -1
	v_add_u32_e32 v18, 19, v54
	v_lshrrev_b64 v[34:35], v54, v[60:61]
	v_not_b32_e32 v17, v17
	v_not_b32_e32 v16, v16
	v_lshlrev_b64 v[32:33], v18, 1
	v_lshrrev_b32_e32 v18, 23, v34
	v_and_b32_e32 v17, 0, v17
	v_and_b32_e32 v16, v60, v16
	v_add3_u32 v54, v54, v3, v18
	v_bfe_u32 v3, v34, 20, 1
	v_add_u32_e32 v3, -1, v3
	v_cmp_eq_u64_e32 vcc, v[16:17], v[32:33]
	v_cndmask_b32_e32 v3, 0, v3, vcc
	v_add_u32_e32 v3, v3, v34
	v_and_b32_e32 v3, 0xfffff, v3
	v_add_co_u32_e32 v16, vcc, v3, v34
	v_add_u32_e32 v18, 6, v54
	v_addc_co_u32_e32 v17, vcc, 0, v35, vcc
	v_cmp_ne_u32_e32 vcc, 0, v18
                                        ; implicit-def: $vgpr3
	s_and_saveexec_b64 s[28:29], vcc
	s_xor_b64 s[28:29], exec, s[28:29]
; %bb.988:                              ;   in Loop: Header=BB2_468 Depth=4
	v_add_u32_e32 v3, 7, v54
	v_cmp_lt_u64_e32 vcc, s[58:59], v[16:17]
	v_cndmask_b32_e32 v3, v18, v3, vcc
	v_cndmask_b32_e64 v18, 0, 1, vcc
	v_lshrrev_b64 v[16:17], v18, v[16:17]
; %bb.989:                              ;   in Loop: Header=BB2_468 Depth=4
	s_andn2_saveexec_b64 s[28:29], s[28:29]
; %bb.990:                              ;   in Loop: Header=BB2_468 Depth=4
	v_bfe_u32 v3, v16, 23, 1
; %bb.991:                              ;   in Loop: Header=BB2_468 Depth=4
	s_or_b64 exec, exec, s[28:29]
	v_lshrrev_b64 v[16:17], 20, v[16:17]
	v_cmp_gt_i32_e32 vcc, 16, v3
	v_cndmask_b32_e32 v17, 0, v17, vcc
	v_cndmask_b32_e32 v16, 7, v16, vcc
	v_cmp_eq_u32_e32 vcc, 0, v3
	v_min_i32_e32 v3, 15, v3
	v_cmp_eq_u64_e64 s[28:29], 0, v[16:17]
	v_lshlrev_b32_e32 v3, 3, v3
	v_and_or_b32 v3, v16, 7, v3
	s_and_b64 s[28:29], vcc, s[28:29]
	v_cndmask_b32_e64 v3, v3, 0, s[28:29]
	v_or_b32_e32 v18, v3, v1
.LBB2_992:                              ;   in Loop: Header=BB2_468 Depth=4
	s_or_b64 exec, exec, s[68:69]
.LBB2_993:                              ;   in Loop: Header=BB2_468 Depth=4
	s_or_b64 exec, exec, s[66:67]
                                        ; implicit-def: $vgpr3
.LBB2_994:                              ;   in Loop: Header=BB2_468 Depth=4
	s_andn2_saveexec_b64 s[28:29], s[64:65]
; %bb.995:                              ;   in Loop: Header=BB2_468 Depth=4
	v_or_b32_sdwa v1, v3, s92 dst_sel:DWORD dst_unused:UNUSED_PAD src0_sel:BYTE_3 src1_sel:DWORD
	v_cmp_eq_u64_e32 vcc, 0, v[60:61]
	v_cndmask_b32_e32 v18, v1, v18, vcc
; %bb.996:                              ;   in Loop: Header=BB2_468 Depth=4
	s_or_b64 exec, exec, s[28:29]
	v_lshrrev_b32_e32 v16, 16, v13
	v_cmp_ne_u16_sdwa vcc, v16, v61 src0_sel:BYTE_0 src1_sel:DWORD
	v_mov_b32_e32 v1, 0
	v_mov_b32_e32 v3, 0
	s_and_saveexec_b64 s[28:29], vcc
	s_cbranch_execz .LBB2_1002
; %bb.997:                              ;   in Loop: Header=BB2_468 Depth=4
	v_cmp_ne_u16_sdwa vcc, v16, s91 src0_sel:BYTE_0 src1_sel:DWORD
	v_bfrev_b32_e32 v3, 1
	s_and_saveexec_b64 s[64:65], vcc
	s_cbranch_execz .LBB2_1001
; %bb.998:                              ;   in Loop: Header=BB2_468 Depth=4
	v_bfe_u32 v17, v13, 16, 7
	v_cmp_ne_u32_e32 vcc, s92, v17
	v_mov_b32_e32 v3, 0x7f800001
	s_and_saveexec_b64 s[66:67], vcc
	s_cbranch_execz .LBB2_1000
; %bb.999:                              ;   in Loop: Header=BB2_468 Depth=4
	v_and_b32_e32 v3, 7, v16
	v_ffbh_u32_e32 v32, v3
	v_min_u32_e32 v35, 32, v32
	v_subrev_u32_e32 v32, 28, v35
	v_lshlrev_b64 v[32:33], v32, v[16:17]
	v_lshrrev_b32_e32 v34, 3, v17
	v_sub_u32_e32 v33, 29, v35
	v_and_b32_e32 v32, 7, v32
	v_cmp_gt_u32_e32 vcc, 8, v17
	v_cndmask_b32_e32 v17, v34, v33, vcc
	v_cndmask_b32_e32 v3, v3, v32, vcc
	v_lshlrev_b32_e32 v16, 24, v16
	v_lshlrev_b32_e32 v3, 20, v3
	v_and_b32_e32 v16, 0x80000000, v16
	v_lshl_add_u32 v17, v17, 23, v0
	v_or3_b32 v3, v16, v17, v3
.LBB2_1000:                             ;   in Loop: Header=BB2_468 Depth=4
	s_or_b64 exec, exec, s[66:67]
.LBB2_1001:                             ;   in Loop: Header=BB2_468 Depth=4
	s_or_b64 exec, exec, s[64:65]
.LBB2_1002:                             ;   in Loop: Header=BB2_468 Depth=4
	s_or_b64 exec, exec, s[28:29]
	v_lshrrev_b32_e32 v16, 16, v9
	v_cmp_ne_u16_sdwa vcc, v16, v61 src0_sel:BYTE_0 src1_sel:DWORD
	s_and_saveexec_b64 s[28:29], vcc
	s_cbranch_execz .LBB2_1008
; %bb.1003:                             ;   in Loop: Header=BB2_468 Depth=4
	v_cmp_ne_u16_sdwa vcc, v16, s91 src0_sel:BYTE_0 src1_sel:DWORD
	v_bfrev_b32_e32 v1, 1
	s_and_saveexec_b64 s[64:65], vcc
	s_cbranch_execz .LBB2_1007
; %bb.1004:                             ;   in Loop: Header=BB2_468 Depth=4
	v_bfe_u32 v17, v9, 16, 7
	v_cmp_ne_u32_e32 vcc, s92, v17
	v_mov_b32_e32 v1, 0x7f800001
	s_and_saveexec_b64 s[66:67], vcc
	s_cbranch_execz .LBB2_1006
; %bb.1005:                             ;   in Loop: Header=BB2_468 Depth=4
	v_and_b32_e32 v1, 7, v16
	v_ffbh_u32_e32 v32, v1
	v_min_u32_e32 v35, 32, v32
	v_subrev_u32_e32 v32, 28, v35
	v_lshlrev_b64 v[32:33], v32, v[16:17]
	v_lshrrev_b32_e32 v34, 3, v17
	v_sub_u32_e32 v16, 29, v35
	v_and_b32_e32 v32, 7, v32
	v_cmp_gt_u32_e32 vcc, 8, v17
	v_cndmask_b32_e32 v16, v34, v16, vcc
	v_cndmask_b32_e32 v1, v1, v32, vcc
	v_lshlrev_b32_e32 v17, 8, v9
	v_lshlrev_b32_e32 v1, 20, v1
	v_and_b32_e32 v17, 0x80000000, v17
	v_lshl_add_u32 v16, v16, 23, v0
	v_or3_b32 v1, v17, v16, v1
.LBB2_1006:                             ;   in Loop: Header=BB2_468 Depth=4
	s_or_b64 exec, exec, s[66:67]
.LBB2_1007:                             ;   in Loop: Header=BB2_468 Depth=4
	s_or_b64 exec, exec, s[64:65]
.LBB2_1008:                             ;   in Loop: Header=BB2_468 Depth=4
	s_or_b64 exec, exec, s[28:29]
	v_add_f32_e32 v3, v3, v1
	v_and_b32_sdwa v1, v3, s91 dst_sel:DWORD dst_unused:UNUSED_PAD src0_sel:BYTE_3 src1_sel:DWORD
	v_and_b32_e32 v32, 0x7f800000, v3
	v_mov_b32_e32 v33, v61
	v_and_b32_e32 v60, 0x7fffff, v3
	v_or_b32_e32 v16, 0x7e, v1
	v_cmp_ne_u64_e32 vcc, s[54:55], v[32:33]
	s_and_saveexec_b64 s[28:29], vcc
	s_xor_b64 s[64:65], exec, s[28:29]
	s_cbranch_execz .LBB2_1018
; %bb.1009:                             ;   in Loop: Header=BB2_468 Depth=4
	v_and_b32_e32 v32, 0x7fffffff, v3
	v_mov_b32_e32 v33, v61
	v_cmp_gt_u64_e32 vcc, s[56:57], v[32:33]
	s_and_saveexec_b64 s[66:67], vcc
	s_cbranch_execz .LBB2_1017
; %bb.1010:                             ;   in Loop: Header=BB2_468 Depth=4
	v_cmp_ne_u32_e32 vcc, 0, v3
	v_mov_b32_e32 v16, 0
	s_and_saveexec_b64 s[68:69], vcc
	s_cbranch_execz .LBB2_1016
; %bb.1011:                             ;   in Loop: Header=BB2_468 Depth=4
	v_bfe_u32 v3, v3, 23, 8
	v_sub_u32_e32 v17, 0x79, v3
	v_cmp_gt_u32_e32 vcc, s93, v3
	v_add_u32_e32 v16, 0xffffff81, v3
	v_cndmask_b32_e32 v17, 0, v17, vcc
	v_cmp_eq_u32_e32 vcc, 0, v3
	v_mov_b32_e32 v3, 0xffffff82
	v_cndmask_b32_e32 v3, v16, v3, vcc
	v_mov_b32_e32 v16, 0x78
	v_or_b32_e32 v32, 0x800000, v60
	v_cndmask_b32_e32 v54, v17, v16, vcc
	v_cndmask_b32_e32 v60, v32, v60, vcc
	v_add_u32_e32 v16, 20, v54
	v_lshlrev_b64 v[16:17], v16, -1
	v_lshrrev_b64 v[34:35], v54, v[60:61]
	v_not_b32_e32 v17, v17
	v_not_b32_e32 v16, v16
	v_add_u32_e32 v32, 19, v54
	v_lshrrev_b32_e32 v40, 23, v34
	v_and_b32_e32 v17, 0, v17
	v_and_b32_e32 v16, v60, v16
	v_lshlrev_b64 v[32:33], v32, 1
	v_add3_u32 v40, v54, v3, v40
	v_bfe_u32 v3, v34, 20, 1
	v_add_u32_e32 v3, -1, v3
	v_cmp_eq_u64_e32 vcc, v[16:17], v[32:33]
	v_cndmask_b32_e32 v3, 0, v3, vcc
	v_add_u32_e32 v3, v3, v34
	v_and_b32_e32 v3, 0xfffff, v3
	v_add_co_u32_e32 v16, vcc, v3, v34
	v_add_u32_e32 v54, 6, v40
	v_addc_co_u32_e32 v17, vcc, 0, v35, vcc
	v_cmp_ne_u32_e32 vcc, 0, v54
                                        ; implicit-def: $vgpr3
	s_and_saveexec_b64 s[28:29], vcc
	s_xor_b64 s[28:29], exec, s[28:29]
; %bb.1012:                             ;   in Loop: Header=BB2_468 Depth=4
	v_cmp_lt_u64_e32 vcc, s[58:59], v[16:17]
	v_add_u32_e32 v3, 7, v40
	v_cndmask_b32_e64 v32, 0, 1, vcc
	v_cndmask_b32_e32 v3, v54, v3, vcc
	v_lshrrev_b64 v[16:17], v32, v[16:17]
; %bb.1013:                             ;   in Loop: Header=BB2_468 Depth=4
	s_andn2_saveexec_b64 s[28:29], s[28:29]
; %bb.1014:                             ;   in Loop: Header=BB2_468 Depth=4
	v_bfe_u32 v3, v16, 23, 1
; %bb.1015:                             ;   in Loop: Header=BB2_468 Depth=4
	s_or_b64 exec, exec, s[28:29]
	v_lshrrev_b64 v[16:17], 20, v[16:17]
	v_cmp_gt_i32_e32 vcc, 16, v3
	v_cndmask_b32_e32 v17, 0, v17, vcc
	v_cndmask_b32_e32 v16, 7, v16, vcc
	v_cmp_eq_u32_e32 vcc, 0, v3
	v_min_i32_e32 v3, 15, v3
	v_lshlrev_b32_e32 v3, 3, v3
	v_cmp_eq_u64_e64 s[28:29], 0, v[16:17]
	v_and_b32_e32 v3, 0xf8, v3
	v_and_or_b32 v3, v16, 7, v3
	s_and_b64 s[28:29], vcc, s[28:29]
	v_cndmask_b32_e64 v3, v3, 0, s[28:29]
	v_or_b32_e32 v16, v3, v1
.LBB2_1016:                             ;   in Loop: Header=BB2_468 Depth=4
	s_or_b64 exec, exec, s[68:69]
.LBB2_1017:                             ;   in Loop: Header=BB2_468 Depth=4
	s_or_b64 exec, exec, s[66:67]
                                        ; implicit-def: $vgpr3
.LBB2_1018:                             ;   in Loop: Header=BB2_468 Depth=4
	s_andn2_saveexec_b64 s[28:29], s[64:65]
; %bb.1019:                             ;   in Loop: Header=BB2_468 Depth=4
	v_or_b32_sdwa v1, v3, s92 dst_sel:DWORD dst_unused:UNUSED_PAD src0_sel:BYTE_3 src1_sel:DWORD
	v_cmp_eq_u64_e32 vcc, 0, v[60:61]
	v_cndmask_b32_e32 v16, v1, v16, vcc
; %bb.1020:                             ;   in Loop: Header=BB2_468 Depth=4
	s_or_b64 exec, exec, s[28:29]
	v_cmp_lt_u64_e32 vcc, s[44:45], v[12:13]
	v_mov_b32_e32 v1, 0
	v_mov_b32_e32 v3, 0
	s_and_saveexec_b64 s[28:29], vcc
	s_cbranch_execz .LBB2_1026
; %bb.1021:                             ;   in Loop: Header=BB2_468 Depth=4
	v_lshrrev_b32_e32 v12, 24, v13
	v_cmp_ne_u32_e32 vcc, s91, v12
	v_bfrev_b32_e32 v3, 1
	s_and_saveexec_b64 s[64:65], vcc
	s_cbranch_execz .LBB2_1025
; %bb.1022:                             ;   in Loop: Header=BB2_468 Depth=4
	v_bfe_u32 v13, v13, 24, 7
	v_cmp_ne_u32_e32 vcc, s92, v13
	v_mov_b32_e32 v3, 0x7f800001
	s_and_saveexec_b64 s[66:67], vcc
	s_cbranch_execz .LBB2_1024
; %bb.1023:                             ;   in Loop: Header=BB2_468 Depth=4
	v_and_b32_e32 v3, 7, v12
	v_ffbh_u32_e32 v32, v3
	v_min_u32_e32 v34, 32, v32
	v_subrev_u32_e32 v32, 28, v34
	v_lshlrev_b64 v[32:33], v32, v[12:13]
	v_lshrrev_b32_e32 v17, 3, v13
	v_sub_u32_e32 v33, 29, v34
	v_and_b32_e32 v32, 7, v32
	v_cmp_gt_u32_e32 vcc, 8, v13
	v_cndmask_b32_e32 v13, v17, v33, vcc
	v_cndmask_b32_e32 v3, v3, v32, vcc
	v_lshlrev_b32_e32 v12, 24, v12
	v_lshlrev_b32_e32 v3, 20, v3
	v_and_b32_e32 v12, 0x80000000, v12
	v_lshl_add_u32 v13, v13, 23, v0
	v_or3_b32 v3, v12, v13, v3
.LBB2_1024:                             ;   in Loop: Header=BB2_468 Depth=4
	s_or_b64 exec, exec, s[66:67]
.LBB2_1025:                             ;   in Loop: Header=BB2_468 Depth=4
	s_or_b64 exec, exec, s[64:65]
.LBB2_1026:                             ;   in Loop: Header=BB2_468 Depth=4
	s_or_b64 exec, exec, s[28:29]
	v_cmp_lt_u64_e32 vcc, s[44:45], v[8:9]
	s_and_saveexec_b64 s[28:29], vcc
	s_cbranch_execz .LBB2_1032
; %bb.1027:                             ;   in Loop: Header=BB2_468 Depth=4
	v_lshrrev_b32_e32 v8, 24, v9
	v_cmp_ne_u32_e32 vcc, s91, v8
	v_bfrev_b32_e32 v1, 1
	s_and_saveexec_b64 s[64:65], vcc
	s_cbranch_execz .LBB2_1031
; %bb.1028:                             ;   in Loop: Header=BB2_468 Depth=4
	v_bfe_u32 v9, v9, 24, 7
	v_cmp_ne_u32_e32 vcc, s92, v9
	v_mov_b32_e32 v1, 0x7f800001
	s_and_saveexec_b64 s[66:67], vcc
	s_cbranch_execz .LBB2_1030
; %bb.1029:                             ;   in Loop: Header=BB2_468 Depth=4
	v_and_b32_e32 v1, 7, v8
	v_ffbh_u32_e32 v12, v1
	v_min_u32_e32 v32, 32, v12
	v_subrev_u32_e32 v12, 28, v32
	v_lshlrev_b64 v[12:13], v12, v[8:9]
	v_lshrrev_b32_e32 v17, 3, v9
	v_sub_u32_e32 v13, 29, v32
	v_and_b32_e32 v12, 7, v12
	v_cmp_gt_u32_e32 vcc, 8, v9
	v_cndmask_b32_e32 v9, v17, v13, vcc
	v_cndmask_b32_e32 v1, v1, v12, vcc
	v_lshlrev_b32_e32 v8, 24, v8
	v_lshlrev_b32_e32 v1, 20, v1
	v_and_b32_e32 v8, 0x80000000, v8
	v_lshl_add_u32 v9, v9, 23, v0
	v_or3_b32 v1, v8, v9, v1
.LBB2_1030:                             ;   in Loop: Header=BB2_468 Depth=4
	s_or_b64 exec, exec, s[66:67]
.LBB2_1031:                             ;   in Loop: Header=BB2_468 Depth=4
	s_or_b64 exec, exec, s[64:65]
.LBB2_1032:                             ;   in Loop: Header=BB2_468 Depth=4
	s_or_b64 exec, exec, s[28:29]
	v_add_f32_e32 v3, v3, v1
	v_and_b32_sdwa v1, v3, s91 dst_sel:DWORD dst_unused:UNUSED_PAD src0_sel:BYTE_3 src1_sel:DWORD
	v_and_b32_e32 v8, 0x7f800000, v3
	v_mov_b32_e32 v9, v61
	v_and_b32_e32 v60, 0x7fffff, v3
	v_or_b32_e32 v13, 0x7e, v1
	v_cmp_ne_u64_e32 vcc, s[54:55], v[8:9]
	s_and_saveexec_b64 s[28:29], vcc
	s_xor_b64 s[64:65], exec, s[28:29]
	s_cbranch_execz .LBB2_1042
; %bb.1033:                             ;   in Loop: Header=BB2_468 Depth=4
	v_and_b32_e32 v8, 0x7fffffff, v3
	v_mov_b32_e32 v9, v61
	v_cmp_gt_u64_e32 vcc, s[56:57], v[8:9]
	s_and_saveexec_b64 s[66:67], vcc
	s_cbranch_execz .LBB2_1041
; %bb.1034:                             ;   in Loop: Header=BB2_468 Depth=4
	v_cmp_ne_u32_e32 vcc, 0, v3
	v_mov_b32_e32 v13, 0
	s_and_saveexec_b64 s[68:69], vcc
	s_cbranch_execz .LBB2_1040
; %bb.1035:                             ;   in Loop: Header=BB2_468 Depth=4
	v_bfe_u32 v3, v3, 23, 8
	v_sub_u32_e32 v9, 0x79, v3
	v_cmp_gt_u32_e32 vcc, s93, v3
	v_add_u32_e32 v8, 0xffffff81, v3
	v_cndmask_b32_e32 v9, 0, v9, vcc
	v_cmp_eq_u32_e32 vcc, 0, v3
	v_mov_b32_e32 v3, 0xffffff82
	v_cndmask_b32_e32 v3, v8, v3, vcc
	v_mov_b32_e32 v8, 0x78
	v_or_b32_e32 v12, 0x800000, v60
	v_cndmask_b32_e32 v13, v9, v8, vcc
	v_cndmask_b32_e32 v60, v12, v60, vcc
	v_add_u32_e32 v8, 20, v13
	v_lshlrev_b64 v[8:9], v8, -1
	v_add_u32_e32 v12, 19, v13
	v_lshrrev_b64 v[34:35], v13, v[60:61]
	v_not_b32_e32 v9, v9
	v_not_b32_e32 v8, v8
	v_lshlrev_b64 v[32:33], v12, 1
	v_lshrrev_b32_e32 v12, 23, v34
	v_and_b32_e32 v9, 0, v9
	v_and_b32_e32 v8, v60, v8
	v_add3_u32 v13, v13, v3, v12
	v_bfe_u32 v3, v34, 20, 1
	v_add_u32_e32 v3, -1, v3
	v_cmp_eq_u64_e32 vcc, v[8:9], v[32:33]
	v_cndmask_b32_e32 v3, 0, v3, vcc
	v_add_u32_e32 v3, v3, v34
	v_and_b32_e32 v3, 0xfffff, v3
	v_add_co_u32_e32 v8, vcc, v3, v34
	v_add_u32_e32 v12, 6, v13
	v_addc_co_u32_e32 v9, vcc, 0, v35, vcc
	v_cmp_ne_u32_e32 vcc, 0, v12
                                        ; implicit-def: $vgpr3
	s_and_saveexec_b64 s[28:29], vcc
	s_xor_b64 s[28:29], exec, s[28:29]
; %bb.1036:                             ;   in Loop: Header=BB2_468 Depth=4
	v_add_u32_e32 v3, 7, v13
	v_cmp_lt_u64_e32 vcc, s[58:59], v[8:9]
	v_cndmask_b32_e32 v3, v12, v3, vcc
	v_cndmask_b32_e64 v12, 0, 1, vcc
	v_lshrrev_b64 v[8:9], v12, v[8:9]
; %bb.1037:                             ;   in Loop: Header=BB2_468 Depth=4
	s_andn2_saveexec_b64 s[28:29], s[28:29]
; %bb.1038:                             ;   in Loop: Header=BB2_468 Depth=4
	v_bfe_u32 v3, v8, 23, 1
; %bb.1039:                             ;   in Loop: Header=BB2_468 Depth=4
	s_or_b64 exec, exec, s[28:29]
	v_lshrrev_b64 v[8:9], 20, v[8:9]
	v_cmp_gt_i32_e32 vcc, 16, v3
	v_cndmask_b32_e32 v9, 0, v9, vcc
	v_cndmask_b32_e32 v8, 7, v8, vcc
	v_cmp_eq_u32_e32 vcc, 0, v3
	v_min_i32_e32 v3, 15, v3
	v_lshlrev_b32_e32 v3, 3, v3
	v_cmp_eq_u64_e64 s[28:29], 0, v[8:9]
	v_and_b32_e32 v3, 0xf8, v3
	v_and_or_b32 v3, v8, 7, v3
	s_and_b64 s[28:29], vcc, s[28:29]
	v_cndmask_b32_e64 v3, v3, 0, s[28:29]
	v_or_b32_e32 v13, v3, v1
.LBB2_1040:                             ;   in Loop: Header=BB2_468 Depth=4
	s_or_b64 exec, exec, s[68:69]
.LBB2_1041:                             ;   in Loop: Header=BB2_468 Depth=4
	s_or_b64 exec, exec, s[66:67]
                                        ; implicit-def: $vgpr3
.LBB2_1042:                             ;   in Loop: Header=BB2_468 Depth=4
	s_andn2_saveexec_b64 s[28:29], s[64:65]
; %bb.1043:                             ;   in Loop: Header=BB2_468 Depth=4
	v_or_b32_sdwa v1, v3, s92 dst_sel:DWORD dst_unused:UNUSED_PAD src0_sel:BYTE_3 src1_sel:DWORD
	v_cmp_eq_u64_e32 vcc, 0, v[60:61]
	v_cndmask_b32_e32 v13, v1, v13, vcc
; %bb.1044:                             ;   in Loop: Header=BB2_468 Depth=4
	s_or_b64 exec, exec, s[28:29]
	v_cmp_ne_u16_sdwa vcc, v14, v61 src0_sel:BYTE_0 src1_sel:DWORD
	v_mov_b32_e32 v1, 0
	v_mov_b32_e32 v3, 0
	s_and_saveexec_b64 s[28:29], vcc
	s_cbranch_execz .LBB2_1050
; %bb.1045:                             ;   in Loop: Header=BB2_468 Depth=4
	v_cmp_ne_u16_sdwa vcc, v14, s91 src0_sel:BYTE_0 src1_sel:DWORD
	v_bfrev_b32_e32 v3, 1
	s_and_saveexec_b64 s[64:65], vcc
	s_cbranch_execz .LBB2_1049
; %bb.1046:                             ;   in Loop: Header=BB2_468 Depth=4
	v_and_b32_e32 v8, 0x7f, v14
	v_cmp_ne_u32_e32 vcc, s92, v8
	v_mov_b32_e32 v3, 0x7f800001
	s_and_saveexec_b64 s[66:67], vcc
	s_cbranch_execz .LBB2_1048
; %bb.1047:                             ;   in Loop: Header=BB2_468 Depth=4
	v_and_b32_e32 v3, 7, v14
	v_ffbh_u32_e32 v3, v3
	v_min_u32_e32 v3, 32, v3
	v_subrev_u32_e32 v12, 28, v3
	v_cmp_gt_u32_e32 vcc, 8, v8
	v_lshrrev_b32_e32 v9, 3, v8
	v_sub_u32_e32 v3, 29, v3
	v_cndmask_b32_e32 v8, 0, v12, vcc
	v_cndmask_b32_e32 v3, v9, v3, vcc
	v_lshlrev_b64 v[8:9], v8, v[14:15]
	v_lshlrev_b32_e32 v8, 20, v8
	v_lshlrev_b32_e32 v9, 24, v14
	v_and_b32_e32 v8, 0x700000, v8
	v_and_b32_e32 v9, 0x80000000, v9
	v_lshl_add_u32 v3, v3, 23, v0
	v_or3_b32 v3, v9, v3, v8
.LBB2_1048:                             ;   in Loop: Header=BB2_468 Depth=4
	s_or_b64 exec, exec, s[66:67]
.LBB2_1049:                             ;   in Loop: Header=BB2_468 Depth=4
	s_or_b64 exec, exec, s[64:65]
.LBB2_1050:                             ;   in Loop: Header=BB2_468 Depth=4
	s_or_b64 exec, exec, s[28:29]
	v_cmp_ne_u16_sdwa vcc, v10, v61 src0_sel:BYTE_0 src1_sel:DWORD
	s_and_saveexec_b64 s[28:29], vcc
	s_cbranch_execz .LBB2_1056
; %bb.1051:                             ;   in Loop: Header=BB2_468 Depth=4
	v_cmp_ne_u16_sdwa vcc, v10, s91 src0_sel:BYTE_0 src1_sel:DWORD
	v_bfrev_b32_e32 v1, 1
	s_and_saveexec_b64 s[64:65], vcc
	s_cbranch_execz .LBB2_1055
; %bb.1052:                             ;   in Loop: Header=BB2_468 Depth=4
	v_and_b32_e32 v8, 0x7f, v10
	v_cmp_ne_u32_e32 vcc, s92, v8
	v_mov_b32_e32 v1, 0x7f800001
	s_and_saveexec_b64 s[66:67], vcc
	s_cbranch_execz .LBB2_1054
; %bb.1053:                             ;   in Loop: Header=BB2_468 Depth=4
	v_and_b32_e32 v1, 7, v10
	v_ffbh_u32_e32 v1, v1
	v_min_u32_e32 v1, 32, v1
	v_subrev_u32_e32 v12, 28, v1
	v_cmp_gt_u32_e32 vcc, 8, v8
	v_lshrrev_b32_e32 v9, 3, v8
	v_sub_u32_e32 v1, 29, v1
	v_cndmask_b32_e32 v8, 0, v12, vcc
	v_cndmask_b32_e32 v1, v9, v1, vcc
	v_lshlrev_b64 v[8:9], v8, v[10:11]
	v_lshlrev_b32_e32 v8, 20, v8
	v_lshlrev_b32_e32 v9, 24, v10
	v_and_b32_e32 v8, 0x700000, v8
	v_and_b32_e32 v9, 0x80000000, v9
	v_lshl_add_u32 v1, v1, 23, v0
	v_or3_b32 v1, v9, v1, v8
.LBB2_1054:                             ;   in Loop: Header=BB2_468 Depth=4
	s_or_b64 exec, exec, s[66:67]
.LBB2_1055:                             ;   in Loop: Header=BB2_468 Depth=4
	s_or_b64 exec, exec, s[64:65]
.LBB2_1056:                             ;   in Loop: Header=BB2_468 Depth=4
	s_or_b64 exec, exec, s[28:29]
	v_add_f32_e32 v3, v3, v1
	v_and_b32_sdwa v1, v3, s91 dst_sel:DWORD dst_unused:UNUSED_PAD src0_sel:BYTE_3 src1_sel:DWORD
	v_and_b32_e32 v8, 0x7f800000, v3
	v_mov_b32_e32 v9, v61
	v_and_b32_e32 v60, 0x7fffff, v3
	v_or_b32_e32 v17, 0x7e, v1
	v_cmp_ne_u64_e32 vcc, s[54:55], v[8:9]
	s_and_saveexec_b64 s[28:29], vcc
	s_xor_b64 s[64:65], exec, s[28:29]
	s_cbranch_execz .LBB2_1066
; %bb.1057:                             ;   in Loop: Header=BB2_468 Depth=4
	v_and_b32_e32 v8, 0x7fffffff, v3
	v_mov_b32_e32 v9, v61
	v_cmp_gt_u64_e32 vcc, s[56:57], v[8:9]
	s_and_saveexec_b64 s[66:67], vcc
	s_cbranch_execz .LBB2_1065
; %bb.1058:                             ;   in Loop: Header=BB2_468 Depth=4
	v_cmp_ne_u32_e32 vcc, 0, v3
	v_mov_b32_e32 v17, 0
	s_and_saveexec_b64 s[68:69], vcc
	s_cbranch_execz .LBB2_1064
; %bb.1059:                             ;   in Loop: Header=BB2_468 Depth=4
	v_bfe_u32 v3, v3, 23, 8
	v_sub_u32_e32 v9, 0x79, v3
	v_cmp_gt_u32_e32 vcc, s93, v3
	v_add_u32_e32 v8, 0xffffff81, v3
	v_cndmask_b32_e32 v9, 0, v9, vcc
	v_cmp_eq_u32_e32 vcc, 0, v3
	v_mov_b32_e32 v3, 0xffffff82
	v_cndmask_b32_e32 v3, v8, v3, vcc
	v_mov_b32_e32 v8, 0x78
	v_or_b32_e32 v12, 0x800000, v60
	v_cndmask_b32_e32 v17, v9, v8, vcc
	v_cndmask_b32_e32 v60, v12, v60, vcc
	v_add_u32_e32 v8, 20, v17
	v_lshlrev_b64 v[8:9], v8, -1
	v_add_u32_e32 v12, 19, v17
	v_lshrrev_b64 v[34:35], v17, v[60:61]
	v_not_b32_e32 v9, v9
	v_not_b32_e32 v8, v8
	v_lshlrev_b64 v[32:33], v12, 1
	v_lshrrev_b32_e32 v12, 23, v34
	v_and_b32_e32 v9, 0, v9
	v_and_b32_e32 v8, v60, v8
	v_add3_u32 v17, v17, v3, v12
	v_bfe_u32 v3, v34, 20, 1
	v_add_u32_e32 v3, -1, v3
	v_cmp_eq_u64_e32 vcc, v[8:9], v[32:33]
	v_cndmask_b32_e32 v3, 0, v3, vcc
	v_add_u32_e32 v3, v3, v34
	v_and_b32_e32 v3, 0xfffff, v3
	v_add_co_u32_e32 v8, vcc, v3, v34
	v_add_u32_e32 v12, 6, v17
	v_addc_co_u32_e32 v9, vcc, 0, v35, vcc
	v_cmp_ne_u32_e32 vcc, 0, v12
                                        ; implicit-def: $vgpr3
	s_and_saveexec_b64 s[28:29], vcc
	s_xor_b64 s[28:29], exec, s[28:29]
; %bb.1060:                             ;   in Loop: Header=BB2_468 Depth=4
	v_add_u32_e32 v3, 7, v17
	v_cmp_lt_u64_e32 vcc, s[58:59], v[8:9]
	v_cndmask_b32_e32 v3, v12, v3, vcc
	v_cndmask_b32_e64 v12, 0, 1, vcc
	v_lshrrev_b64 v[8:9], v12, v[8:9]
; %bb.1061:                             ;   in Loop: Header=BB2_468 Depth=4
	s_andn2_saveexec_b64 s[28:29], s[28:29]
; %bb.1062:                             ;   in Loop: Header=BB2_468 Depth=4
	v_bfe_u32 v3, v8, 23, 1
; %bb.1063:                             ;   in Loop: Header=BB2_468 Depth=4
	s_or_b64 exec, exec, s[28:29]
	v_lshrrev_b64 v[8:9], 20, v[8:9]
	v_cmp_gt_i32_e32 vcc, 16, v3
	v_cndmask_b32_e32 v9, 0, v9, vcc
	v_cndmask_b32_e32 v8, 7, v8, vcc
	v_cmp_eq_u32_e32 vcc, 0, v3
	v_min_i32_e32 v3, 15, v3
	v_cmp_eq_u64_e64 s[28:29], 0, v[8:9]
	v_lshlrev_b32_e32 v3, 3, v3
	v_and_or_b32 v3, v8, 7, v3
	s_and_b64 s[28:29], vcc, s[28:29]
	v_cndmask_b32_e64 v3, v3, 0, s[28:29]
	v_or_b32_e32 v17, v3, v1
.LBB2_1064:                             ;   in Loop: Header=BB2_468 Depth=4
	s_or_b64 exec, exec, s[68:69]
.LBB2_1065:                             ;   in Loop: Header=BB2_468 Depth=4
	s_or_b64 exec, exec, s[66:67]
                                        ; implicit-def: $vgpr3
.LBB2_1066:                             ;   in Loop: Header=BB2_468 Depth=4
	s_andn2_saveexec_b64 s[28:29], s[64:65]
; %bb.1067:                             ;   in Loop: Header=BB2_468 Depth=4
	v_or_b32_sdwa v1, v3, s92 dst_sel:DWORD dst_unused:UNUSED_PAD src0_sel:BYTE_3 src1_sel:DWORD
	v_cmp_eq_u64_e32 vcc, 0, v[60:61]
	v_cndmask_b32_e32 v17, v1, v17, vcc
; %bb.1068:                             ;   in Loop: Header=BB2_468 Depth=4
	s_or_b64 exec, exec, s[28:29]
	v_lshrrev_b16_e32 v8, 8, v14
	v_cmp_ne_u16_e32 vcc, 0, v8
	v_mov_b32_e32 v1, 0
	v_mov_b32_e32 v3, 0
	s_and_saveexec_b64 s[28:29], vcc
	s_cbranch_execz .LBB2_1074
; %bb.1069:                             ;   in Loop: Header=BB2_468 Depth=4
	v_cmp_ne_u16_e32 vcc, s91, v8
	v_bfrev_b32_e32 v3, 1
	s_and_saveexec_b64 s[64:65], vcc
	s_cbranch_execz .LBB2_1073
; %bb.1070:                             ;   in Loop: Header=BB2_468 Depth=4
	v_and_b32_e32 v9, 0x7f, v8
	v_cmp_ne_u32_e32 vcc, s92, v9
	v_mov_b32_e32 v3, 0x7f800001
	s_and_saveexec_b64 s[66:67], vcc
	s_cbranch_execz .LBB2_1072
; %bb.1071:                             ;   in Loop: Header=BB2_468 Depth=4
	v_and_b32_e32 v3, 7, v8
	v_ffbh_u32_e32 v32, v3
	v_min_u32_e32 v34, 32, v32
	v_subrev_u32_e32 v32, 28, v34
	v_lshlrev_b64 v[32:33], v32, v[8:9]
	v_lshrrev_b32_e32 v12, 3, v9
	v_sub_u32_e32 v8, 29, v34
	v_and_b32_e32 v32, 7, v32
	v_cmp_gt_u32_e32 vcc, 8, v9
	v_cndmask_b32_e32 v8, v12, v8, vcc
	v_cndmask_b32_e32 v3, v3, v32, vcc
	v_lshlrev_b32_e32 v9, 16, v14
	v_lshlrev_b32_e32 v3, 20, v3
	v_and_b32_e32 v9, 0x80000000, v9
	v_lshl_add_u32 v8, v8, 23, v0
	v_or3_b32 v3, v9, v8, v3
.LBB2_1072:                             ;   in Loop: Header=BB2_468 Depth=4
	s_or_b64 exec, exec, s[66:67]
.LBB2_1073:                             ;   in Loop: Header=BB2_468 Depth=4
	s_or_b64 exec, exec, s[64:65]
.LBB2_1074:                             ;   in Loop: Header=BB2_468 Depth=4
	s_or_b64 exec, exec, s[28:29]
	v_lshrrev_b16_e32 v8, 8, v10
	v_cmp_ne_u16_e32 vcc, 0, v8
	s_and_saveexec_b64 s[28:29], vcc
	s_cbranch_execz .LBB2_1080
; %bb.1075:                             ;   in Loop: Header=BB2_468 Depth=4
	v_cmp_ne_u16_e32 vcc, s91, v8
	v_bfrev_b32_e32 v1, 1
	s_and_saveexec_b64 s[64:65], vcc
	s_cbranch_execz .LBB2_1079
; %bb.1076:                             ;   in Loop: Header=BB2_468 Depth=4
	v_and_b32_e32 v9, 0x7f, v8
	v_cmp_ne_u32_e32 vcc, s92, v9
	v_mov_b32_e32 v1, 0x7f800001
	s_and_saveexec_b64 s[66:67], vcc
	s_cbranch_execz .LBB2_1078
; %bb.1077:                             ;   in Loop: Header=BB2_468 Depth=4
	v_and_b32_e32 v1, 7, v8
	v_ffbh_u32_e32 v32, v1
	v_min_u32_e32 v34, 32, v32
	v_subrev_u32_e32 v32, 28, v34
	v_lshlrev_b64 v[32:33], v32, v[8:9]
	v_lshrrev_b32_e32 v12, 3, v9
	v_sub_u32_e32 v8, 29, v34
	v_and_b32_e32 v32, 7, v32
	v_cmp_gt_u32_e32 vcc, 8, v9
	v_cndmask_b32_e32 v8, v12, v8, vcc
	v_cndmask_b32_e32 v1, v1, v32, vcc
	v_lshlrev_b32_e32 v9, 16, v10
	v_lshlrev_b32_e32 v1, 20, v1
	v_and_b32_e32 v9, 0x80000000, v9
	v_lshl_add_u32 v8, v8, 23, v0
	v_or3_b32 v1, v9, v8, v1
.LBB2_1078:                             ;   in Loop: Header=BB2_468 Depth=4
	s_or_b64 exec, exec, s[66:67]
.LBB2_1079:                             ;   in Loop: Header=BB2_468 Depth=4
	s_or_b64 exec, exec, s[64:65]
.LBB2_1080:                             ;   in Loop: Header=BB2_468 Depth=4
	s_or_b64 exec, exec, s[28:29]
	v_add_f32_e32 v8, v3, v1
	v_and_b32_sdwa v3, v8, s91 dst_sel:DWORD dst_unused:UNUSED_PAD src0_sel:BYTE_3 src1_sel:DWORD
	v_and_b32_e32 v32, 0x7f800000, v8
	v_mov_b32_e32 v33, v61
	v_and_b32_e32 v60, 0x7fffff, v8
	v_or_b32_e32 v1, 0x7e, v3
	v_cmp_ne_u64_e32 vcc, s[54:55], v[32:33]
	s_and_saveexec_b64 s[28:29], vcc
	s_xor_b64 s[64:65], exec, s[28:29]
	s_cbranch_execz .LBB2_1090
; %bb.1081:                             ;   in Loop: Header=BB2_468 Depth=4
	v_and_b32_e32 v32, 0x7fffffff, v8
	v_mov_b32_e32 v33, v61
	v_cmp_gt_u64_e32 vcc, s[56:57], v[32:33]
	s_and_saveexec_b64 s[66:67], vcc
	s_cbranch_execz .LBB2_1089
; %bb.1082:                             ;   in Loop: Header=BB2_468 Depth=4
	v_cmp_ne_u32_e32 vcc, 0, v8
	v_mov_b32_e32 v1, 0
	s_and_saveexec_b64 s[68:69], vcc
	s_cbranch_execz .LBB2_1088
; %bb.1083:                             ;   in Loop: Header=BB2_468 Depth=4
	v_bfe_u32 v1, v8, 23, 8
	v_sub_u32_e32 v9, 0x79, v1
	v_cmp_gt_u32_e32 vcc, s93, v1
	v_add_u32_e32 v8, 0xffffff81, v1
	v_cndmask_b32_e32 v9, 0, v9, vcc
	v_cmp_eq_u32_e32 vcc, 0, v1
	v_mov_b32_e32 v1, 0xffffff82
	v_cndmask_b32_e32 v1, v8, v1, vcc
	v_mov_b32_e32 v8, 0x78
	v_or_b32_e32 v12, 0x800000, v60
	v_cndmask_b32_e32 v54, v9, v8, vcc
	v_cndmask_b32_e32 v60, v12, v60, vcc
	v_add_u32_e32 v8, 20, v54
	v_lshlrev_b64 v[8:9], v8, -1
	v_add_u32_e32 v12, 19, v54
	v_lshrrev_b64 v[34:35], v54, v[60:61]
	v_not_b32_e32 v9, v9
	v_not_b32_e32 v8, v8
	v_lshlrev_b64 v[32:33], v12, 1
	v_lshrrev_b32_e32 v12, 23, v34
	v_and_b32_e32 v9, 0, v9
	v_and_b32_e32 v8, v60, v8
	v_add3_u32 v54, v54, v1, v12
	v_bfe_u32 v1, v34, 20, 1
	v_add_u32_e32 v1, -1, v1
	v_cmp_eq_u64_e32 vcc, v[8:9], v[32:33]
	v_cndmask_b32_e32 v1, 0, v1, vcc
	v_add_u32_e32 v1, v1, v34
	v_and_b32_e32 v1, 0xfffff, v1
	v_add_co_u32_e32 v8, vcc, v1, v34
	v_add_u32_e32 v12, 6, v54
	v_addc_co_u32_e32 v9, vcc, 0, v35, vcc
	v_cmp_ne_u32_e32 vcc, 0, v12
                                        ; implicit-def: $vgpr1
	s_and_saveexec_b64 s[28:29], vcc
	s_xor_b64 s[28:29], exec, s[28:29]
; %bb.1084:                             ;   in Loop: Header=BB2_468 Depth=4
	v_add_u32_e32 v1, 7, v54
	v_cmp_lt_u64_e32 vcc, s[58:59], v[8:9]
	v_cndmask_b32_e32 v1, v12, v1, vcc
	v_cndmask_b32_e64 v12, 0, 1, vcc
	v_lshrrev_b64 v[8:9], v12, v[8:9]
; %bb.1085:                             ;   in Loop: Header=BB2_468 Depth=4
	s_andn2_saveexec_b64 s[28:29], s[28:29]
; %bb.1086:                             ;   in Loop: Header=BB2_468 Depth=4
	v_bfe_u32 v1, v8, 23, 1
; %bb.1087:                             ;   in Loop: Header=BB2_468 Depth=4
	s_or_b64 exec, exec, s[28:29]
	v_lshrrev_b64 v[8:9], 20, v[8:9]
	v_cmp_gt_i32_e32 vcc, 16, v1
	v_cndmask_b32_e32 v9, 0, v9, vcc
	v_cndmask_b32_e32 v8, 7, v8, vcc
	v_cmp_eq_u32_e32 vcc, 0, v1
	v_min_i32_e32 v1, 15, v1
	v_cmp_eq_u64_e64 s[28:29], 0, v[8:9]
	v_lshlrev_b32_e32 v1, 3, v1
	v_and_or_b32 v1, v8, 7, v1
	s_and_b64 s[28:29], vcc, s[28:29]
	v_cndmask_b32_e64 v1, v1, 0, s[28:29]
	v_or_b32_e32 v1, v1, v3
.LBB2_1088:                             ;   in Loop: Header=BB2_468 Depth=4
	s_or_b64 exec, exec, s[68:69]
.LBB2_1089:                             ;   in Loop: Header=BB2_468 Depth=4
	s_or_b64 exec, exec, s[66:67]
                                        ; implicit-def: $vgpr8
.LBB2_1090:                             ;   in Loop: Header=BB2_468 Depth=4
	s_andn2_saveexec_b64 s[28:29], s[64:65]
; %bb.1091:                             ;   in Loop: Header=BB2_468 Depth=4
	v_or_b32_sdwa v3, v8, s92 dst_sel:DWORD dst_unused:UNUSED_PAD src0_sel:BYTE_3 src1_sel:DWORD
	v_cmp_eq_u64_e32 vcc, 0, v[60:61]
	v_cndmask_b32_e32 v1, v3, v1, vcc
; %bb.1092:                             ;   in Loop: Header=BB2_468 Depth=4
	s_or_b64 exec, exec, s[28:29]
	v_lshrrev_b32_e32 v8, 16, v14
	v_cmp_ne_u16_sdwa vcc, v8, v61 src0_sel:BYTE_0 src1_sel:DWORD
	v_mov_b32_e32 v3, 0
	v_mov_b32_e32 v9, 0
	s_and_saveexec_b64 s[28:29], vcc
	s_cbranch_execz .LBB2_1098
; %bb.1093:                             ;   in Loop: Header=BB2_468 Depth=4
	v_cmp_ne_u16_sdwa vcc, v8, s91 src0_sel:BYTE_0 src1_sel:DWORD
	v_bfrev_b32_e32 v9, 1
	s_and_saveexec_b64 s[64:65], vcc
	s_cbranch_execz .LBB2_1097
; %bb.1094:                             ;   in Loop: Header=BB2_468 Depth=4
	v_bfe_u32 v12, v14, 16, 7
	v_cmp_ne_u32_e32 vcc, s92, v12
	v_mov_b32_e32 v9, 0x7f800001
	s_and_saveexec_b64 s[66:67], vcc
	s_cbranch_execz .LBB2_1096
; %bb.1095:                             ;   in Loop: Header=BB2_468 Depth=4
	v_and_b32_e32 v9, 7, v8
	v_ffbh_u32_e32 v32, v9
	v_min_u32_e32 v35, 32, v32
	v_subrev_u32_e32 v32, 28, v35
	v_lshlrev_b64 v[32:33], v32, v[8:9]
	v_lshrrev_b32_e32 v34, 3, v12
	v_sub_u32_e32 v33, 29, v35
	v_and_b32_e32 v32, 7, v32
	v_cmp_gt_u32_e32 vcc, 8, v12
	v_cndmask_b32_e32 v12, v34, v33, vcc
	v_cndmask_b32_e32 v9, v9, v32, vcc
	v_lshlrev_b32_e32 v8, 24, v8
	v_lshlrev_b32_e32 v9, 20, v9
	v_and_b32_e32 v8, 0x80000000, v8
	v_lshl_add_u32 v12, v12, 23, v0
	v_or3_b32 v9, v8, v12, v9
.LBB2_1096:                             ;   in Loop: Header=BB2_468 Depth=4
	s_or_b64 exec, exec, s[66:67]
.LBB2_1097:                             ;   in Loop: Header=BB2_468 Depth=4
	s_or_b64 exec, exec, s[64:65]
.LBB2_1098:                             ;   in Loop: Header=BB2_468 Depth=4
	s_or_b64 exec, exec, s[28:29]
	v_lshrrev_b32_e32 v8, 16, v10
	v_cmp_ne_u16_sdwa vcc, v8, v61 src0_sel:BYTE_0 src1_sel:DWORD
	s_and_saveexec_b64 s[28:29], vcc
	s_cbranch_execz .LBB2_1104
; %bb.1099:                             ;   in Loop: Header=BB2_468 Depth=4
	v_cmp_ne_u16_sdwa vcc, v8, s91 src0_sel:BYTE_0 src1_sel:DWORD
	v_bfrev_b32_e32 v3, 1
	s_and_saveexec_b64 s[64:65], vcc
	s_cbranch_execz .LBB2_1103
; %bb.1100:                             ;   in Loop: Header=BB2_468 Depth=4
	v_bfe_u32 v12, v10, 16, 7
	v_cmp_ne_u32_e32 vcc, s92, v12
	v_mov_b32_e32 v3, 0x7f800001
	s_and_saveexec_b64 s[66:67], vcc
	s_cbranch_execz .LBB2_1102
; %bb.1101:                             ;   in Loop: Header=BB2_468 Depth=4
	v_and_b32_e32 v3, 7, v8
	v_ffbh_u32_e32 v32, v3
	v_min_u32_e32 v35, 32, v32
	v_subrev_u32_e32 v32, 28, v35
	v_lshlrev_b64 v[32:33], v32, v[8:9]
	v_lshrrev_b32_e32 v34, 3, v12
	v_sub_u32_e32 v8, 29, v35
	v_and_b32_e32 v32, 7, v32
	v_cmp_gt_u32_e32 vcc, 8, v12
	v_cndmask_b32_e32 v8, v34, v8, vcc
	v_cndmask_b32_e32 v3, v3, v32, vcc
	v_lshlrev_b32_e32 v12, 8, v10
	v_lshlrev_b32_e32 v3, 20, v3
	v_and_b32_e32 v12, 0x80000000, v12
	v_lshl_add_u32 v8, v8, 23, v0
	v_or3_b32 v3, v12, v8, v3
.LBB2_1102:                             ;   in Loop: Header=BB2_468 Depth=4
	s_or_b64 exec, exec, s[66:67]
.LBB2_1103:                             ;   in Loop: Header=BB2_468 Depth=4
	s_or_b64 exec, exec, s[64:65]
.LBB2_1104:                             ;   in Loop: Header=BB2_468 Depth=4
	s_or_b64 exec, exec, s[28:29]
	v_add_f32_e32 v8, v9, v3
	v_and_b32_sdwa v3, v8, s91 dst_sel:DWORD dst_unused:UNUSED_PAD src0_sel:BYTE_3 src1_sel:DWORD
	v_and_b32_e32 v32, 0x7f800000, v8
	v_mov_b32_e32 v33, v61
	v_and_b32_e32 v60, 0x7fffff, v8
	v_or_b32_e32 v58, 0x7e, v3
	v_cmp_ne_u64_e32 vcc, s[54:55], v[32:33]
	s_and_saveexec_b64 s[28:29], vcc
	s_xor_b64 s[64:65], exec, s[28:29]
	s_cbranch_execz .LBB2_1114
; %bb.1105:                             ;   in Loop: Header=BB2_468 Depth=4
	v_and_b32_e32 v32, 0x7fffffff, v8
	v_mov_b32_e32 v33, v61
	v_cmp_gt_u64_e32 vcc, s[56:57], v[32:33]
	s_and_saveexec_b64 s[66:67], vcc
	s_cbranch_execz .LBB2_1113
; %bb.1106:                             ;   in Loop: Header=BB2_468 Depth=4
	v_cmp_ne_u32_e32 vcc, 0, v8
	v_mov_b32_e32 v58, 0
	s_and_saveexec_b64 s[68:69], vcc
	s_cbranch_execz .LBB2_1112
; %bb.1107:                             ;   in Loop: Header=BB2_468 Depth=4
	v_bfe_u32 v8, v8, 23, 8
	v_sub_u32_e32 v12, 0x79, v8
	v_cmp_gt_u32_e32 vcc, s93, v8
	v_add_u32_e32 v9, 0xffffff81, v8
	v_cndmask_b32_e32 v12, 0, v12, vcc
	v_cmp_eq_u32_e32 vcc, 0, v8
	v_mov_b32_e32 v8, 0xffffff82
	v_cndmask_b32_e32 v54, v9, v8, vcc
	v_mov_b32_e32 v8, 0x78
	v_or_b32_e32 v32, 0x800000, v60
	v_cndmask_b32_e32 v12, v12, v8, vcc
	v_cndmask_b32_e32 v60, v32, v60, vcc
	v_add_u32_e32 v8, 20, v12
	v_lshlrev_b64 v[8:9], v8, -1
	v_lshrrev_b64 v[34:35], v12, v[60:61]
	v_not_b32_e32 v9, v9
	v_not_b32_e32 v8, v8
	v_add_u32_e32 v32, 19, v12
	v_lshrrev_b32_e32 v40, 23, v34
	v_and_b32_e32 v9, 0, v9
	v_and_b32_e32 v8, v60, v8
	v_lshlrev_b64 v[32:33], v32, 1
	v_add3_u32 v40, v12, v54, v40
	v_bfe_u32 v12, v34, 20, 1
	v_add_u32_e32 v12, -1, v12
	v_cmp_eq_u64_e32 vcc, v[8:9], v[32:33]
	v_cndmask_b32_e32 v8, 0, v12, vcc
	v_add_u32_e32 v8, v8, v34
	v_and_b32_e32 v8, 0xfffff, v8
	v_add_co_u32_e32 v8, vcc, v8, v34
	v_add_u32_e32 v54, 6, v40
	v_addc_co_u32_e32 v9, vcc, 0, v35, vcc
	v_cmp_ne_u32_e32 vcc, 0, v54
                                        ; implicit-def: $vgpr12
	s_and_saveexec_b64 s[28:29], vcc
	s_xor_b64 s[28:29], exec, s[28:29]
; %bb.1108:                             ;   in Loop: Header=BB2_468 Depth=4
	v_cmp_lt_u64_e32 vcc, s[58:59], v[8:9]
	v_add_u32_e32 v12, 7, v40
	v_cndmask_b32_e64 v32, 0, 1, vcc
	v_cndmask_b32_e32 v12, v54, v12, vcc
	v_lshrrev_b64 v[8:9], v32, v[8:9]
; %bb.1109:                             ;   in Loop: Header=BB2_468 Depth=4
	s_andn2_saveexec_b64 s[28:29], s[28:29]
; %bb.1110:                             ;   in Loop: Header=BB2_468 Depth=4
	v_bfe_u32 v12, v8, 23, 1
; %bb.1111:                             ;   in Loop: Header=BB2_468 Depth=4
	s_or_b64 exec, exec, s[28:29]
	v_lshrrev_b64 v[8:9], 20, v[8:9]
	v_cmp_gt_i32_e32 vcc, 16, v12
	v_cndmask_b32_e32 v9, 0, v9, vcc
	v_cndmask_b32_e32 v8, 7, v8, vcc
	v_cmp_eq_u64_e64 s[28:29], 0, v[8:9]
	v_min_i32_e32 v9, 15, v12
	v_cmp_eq_u32_e32 vcc, 0, v12
	v_lshlrev_b32_e32 v9, 3, v9
	v_and_or_b32 v8, v8, 7, v9
	s_and_b64 s[28:29], vcc, s[28:29]
	v_cndmask_b32_e64 v8, v8, 0, s[28:29]
	v_or_b32_e32 v58, v8, v3
.LBB2_1112:                             ;   in Loop: Header=BB2_468 Depth=4
	s_or_b64 exec, exec, s[68:69]
.LBB2_1113:                             ;   in Loop: Header=BB2_468 Depth=4
	s_or_b64 exec, exec, s[66:67]
                                        ; implicit-def: $vgpr8
.LBB2_1114:                             ;   in Loop: Header=BB2_468 Depth=4
	s_andn2_saveexec_b64 s[28:29], s[64:65]
; %bb.1115:                             ;   in Loop: Header=BB2_468 Depth=4
	v_or_b32_sdwa v3, v8, s92 dst_sel:DWORD dst_unused:UNUSED_PAD src0_sel:BYTE_3 src1_sel:DWORD
	v_cmp_eq_u64_e32 vcc, 0, v[60:61]
	v_cndmask_b32_e32 v58, v3, v58, vcc
; %bb.1116:                             ;   in Loop: Header=BB2_468 Depth=4
	s_or_b64 exec, exec, s[28:29]
	v_cmp_lt_u32_e32 vcc, s45, v14
	v_mov_b32_e32 v3, 0
	v_mov_b32_e32 v9, 0
	s_and_saveexec_b64 s[28:29], vcc
	s_cbranch_execz .LBB2_1122
; %bb.1117:                             ;   in Loop: Header=BB2_468 Depth=4
	v_lshrrev_b32_e32 v8, 24, v14
	v_cmp_ne_u32_e32 vcc, s91, v8
	v_bfrev_b32_e32 v9, 1
	s_and_saveexec_b64 s[64:65], vcc
	s_cbranch_execz .LBB2_1121
; %bb.1118:                             ;   in Loop: Header=BB2_468 Depth=4
	v_bfe_u32 v12, v14, 24, 7
	v_cmp_ne_u32_e32 vcc, s92, v12
	v_mov_b32_e32 v9, 0x7f800001
	s_and_saveexec_b64 s[66:67], vcc
	s_cbranch_execz .LBB2_1120
; %bb.1119:                             ;   in Loop: Header=BB2_468 Depth=4
	v_and_b32_e32 v9, 7, v8
	v_ffbh_u32_e32 v32, v9
	v_min_u32_e32 v35, 32, v32
	v_subrev_u32_e32 v32, 28, v35
	v_lshlrev_b64 v[32:33], v32, v[8:9]
	v_lshrrev_b32_e32 v34, 3, v12
	v_sub_u32_e32 v33, 29, v35
	v_and_b32_e32 v32, 7, v32
	v_cmp_gt_u32_e32 vcc, 8, v12
	v_cndmask_b32_e32 v12, v34, v33, vcc
	v_cndmask_b32_e32 v9, v9, v32, vcc
	v_lshlrev_b32_e32 v8, 24, v8
	v_lshlrev_b32_e32 v9, 20, v9
	v_and_b32_e32 v8, 0x80000000, v8
	v_lshl_add_u32 v12, v12, 23, v0
	v_or3_b32 v9, v8, v12, v9
.LBB2_1120:                             ;   in Loop: Header=BB2_468 Depth=4
	s_or_b64 exec, exec, s[66:67]
.LBB2_1121:                             ;   in Loop: Header=BB2_468 Depth=4
	s_or_b64 exec, exec, s[64:65]
.LBB2_1122:                             ;   in Loop: Header=BB2_468 Depth=4
	s_or_b64 exec, exec, s[28:29]
	v_cmp_lt_u32_e32 vcc, s45, v10
	s_and_saveexec_b64 s[28:29], vcc
	s_cbranch_execz .LBB2_1128
; %bb.1123:                             ;   in Loop: Header=BB2_468 Depth=4
	v_lshrrev_b32_e32 v8, 24, v10
	v_cmp_ne_u32_e32 vcc, s91, v8
	v_bfrev_b32_e32 v3, 1
	s_and_saveexec_b64 s[64:65], vcc
	s_cbranch_execz .LBB2_1127
; %bb.1124:                             ;   in Loop: Header=BB2_468 Depth=4
	v_bfe_u32 v12, v10, 24, 7
	v_cmp_ne_u32_e32 vcc, s92, v12
	v_mov_b32_e32 v3, 0x7f800001
	s_and_saveexec_b64 s[66:67], vcc
	s_cbranch_execz .LBB2_1126
; %bb.1125:                             ;   in Loop: Header=BB2_468 Depth=4
	v_and_b32_e32 v3, 7, v8
	v_ffbh_u32_e32 v32, v3
	v_min_u32_e32 v35, 32, v32
	v_subrev_u32_e32 v32, 28, v35
	v_lshlrev_b64 v[32:33], v32, v[8:9]
	v_lshrrev_b32_e32 v34, 3, v12
	v_sub_u32_e32 v33, 29, v35
	v_and_b32_e32 v32, 7, v32
	v_cmp_gt_u32_e32 vcc, 8, v12
	v_cndmask_b32_e32 v12, v34, v33, vcc
	v_cndmask_b32_e32 v3, v3, v32, vcc
	v_lshlrev_b32_e32 v8, 24, v8
	v_lshlrev_b32_e32 v3, 20, v3
	v_and_b32_e32 v8, 0x80000000, v8
	v_lshl_add_u32 v12, v12, 23, v0
	v_or3_b32 v3, v8, v12, v3
.LBB2_1126:                             ;   in Loop: Header=BB2_468 Depth=4
	s_or_b64 exec, exec, s[66:67]
.LBB2_1127:                             ;   in Loop: Header=BB2_468 Depth=4
	s_or_b64 exec, exec, s[64:65]
.LBB2_1128:                             ;   in Loop: Header=BB2_468 Depth=4
	s_or_b64 exec, exec, s[28:29]
	v_add_f32_e32 v8, v9, v3
	v_and_b32_sdwa v3, v8, s91 dst_sel:DWORD dst_unused:UNUSED_PAD src0_sel:BYTE_3 src1_sel:DWORD
	v_and_b32_e32 v32, 0x7f800000, v8
	v_mov_b32_e32 v33, v61
	v_and_b32_e32 v60, 0x7fffff, v8
	v_or_b32_e32 v59, 0x7e, v3
	v_cmp_ne_u64_e32 vcc, s[54:55], v[32:33]
	s_and_saveexec_b64 s[28:29], vcc
	s_xor_b64 s[64:65], exec, s[28:29]
	s_cbranch_execz .LBB2_1138
; %bb.1129:                             ;   in Loop: Header=BB2_468 Depth=4
	v_and_b32_e32 v32, 0x7fffffff, v8
	v_mov_b32_e32 v33, v61
	v_cmp_gt_u64_e32 vcc, s[56:57], v[32:33]
	s_and_saveexec_b64 s[66:67], vcc
	s_cbranch_execz .LBB2_1137
; %bb.1130:                             ;   in Loop: Header=BB2_468 Depth=4
	v_cmp_ne_u32_e32 vcc, 0, v8
	v_mov_b32_e32 v59, 0
	s_and_saveexec_b64 s[68:69], vcc
	s_cbranch_execz .LBB2_1136
; %bb.1131:                             ;   in Loop: Header=BB2_468 Depth=4
	v_bfe_u32 v8, v8, 23, 8
	v_sub_u32_e32 v12, 0x79, v8
	v_cmp_gt_u32_e32 vcc, s93, v8
	v_add_u32_e32 v9, 0xffffff81, v8
	v_cndmask_b32_e32 v12, 0, v12, vcc
	v_cmp_eq_u32_e32 vcc, 0, v8
	v_mov_b32_e32 v8, 0xffffff82
	v_cndmask_b32_e32 v54, v9, v8, vcc
	v_mov_b32_e32 v8, 0x78
	v_or_b32_e32 v32, 0x800000, v60
	v_cndmask_b32_e32 v12, v12, v8, vcc
	v_cndmask_b32_e32 v60, v32, v60, vcc
	v_add_u32_e32 v8, 20, v12
	v_lshlrev_b64 v[8:9], v8, -1
	v_lshrrev_b64 v[34:35], v12, v[60:61]
	v_not_b32_e32 v9, v9
	v_not_b32_e32 v8, v8
	v_add_u32_e32 v32, 19, v12
	v_lshrrev_b32_e32 v40, 23, v34
	v_and_b32_e32 v9, 0, v9
	v_and_b32_e32 v8, v60, v8
	v_lshlrev_b64 v[32:33], v32, 1
	v_add3_u32 v40, v12, v54, v40
	v_bfe_u32 v12, v34, 20, 1
	v_add_u32_e32 v12, -1, v12
	v_cmp_eq_u64_e32 vcc, v[8:9], v[32:33]
	v_cndmask_b32_e32 v8, 0, v12, vcc
	v_add_u32_e32 v8, v8, v34
	v_and_b32_e32 v8, 0xfffff, v8
	v_add_co_u32_e32 v8, vcc, v8, v34
	v_add_u32_e32 v54, 6, v40
	v_addc_co_u32_e32 v9, vcc, 0, v35, vcc
	v_cmp_ne_u32_e32 vcc, 0, v54
                                        ; implicit-def: $vgpr12
	s_and_saveexec_b64 s[28:29], vcc
	s_xor_b64 s[28:29], exec, s[28:29]
; %bb.1132:                             ;   in Loop: Header=BB2_468 Depth=4
	v_cmp_lt_u64_e32 vcc, s[58:59], v[8:9]
	v_add_u32_e32 v12, 7, v40
	v_cndmask_b32_e64 v32, 0, 1, vcc
	v_cndmask_b32_e32 v12, v54, v12, vcc
	v_lshrrev_b64 v[8:9], v32, v[8:9]
; %bb.1133:                             ;   in Loop: Header=BB2_468 Depth=4
	s_andn2_saveexec_b64 s[28:29], s[28:29]
; %bb.1134:                             ;   in Loop: Header=BB2_468 Depth=4
	v_bfe_u32 v12, v8, 23, 1
; %bb.1135:                             ;   in Loop: Header=BB2_468 Depth=4
	s_or_b64 exec, exec, s[28:29]
	v_lshrrev_b64 v[8:9], 20, v[8:9]
	v_cmp_gt_i32_e32 vcc, 16, v12
	v_cndmask_b32_e32 v9, 0, v9, vcc
	v_cndmask_b32_e32 v8, 7, v8, vcc
	v_cmp_eq_u64_e64 s[28:29], 0, v[8:9]
	v_min_i32_e32 v9, 15, v12
	v_cmp_eq_u32_e32 vcc, 0, v12
	v_lshlrev_b32_e32 v9, 3, v9
	v_and_or_b32 v8, v8, 7, v9
	s_and_b64 s[28:29], vcc, s[28:29]
	v_cndmask_b32_e64 v8, v8, 0, s[28:29]
	v_or_b32_e32 v59, v8, v3
.LBB2_1136:                             ;   in Loop: Header=BB2_468 Depth=4
	s_or_b64 exec, exec, s[68:69]
.LBB2_1137:                             ;   in Loop: Header=BB2_468 Depth=4
	s_or_b64 exec, exec, s[66:67]
                                        ; implicit-def: $vgpr8
.LBB2_1138:                             ;   in Loop: Header=BB2_468 Depth=4
	s_andn2_saveexec_b64 s[28:29], s[64:65]
; %bb.1139:                             ;   in Loop: Header=BB2_468 Depth=4
	v_or_b32_sdwa v3, v8, s92 dst_sel:DWORD dst_unused:UNUSED_PAD src0_sel:BYTE_3 src1_sel:DWORD
	v_cmp_eq_u64_e32 vcc, 0, v[60:61]
	v_cndmask_b32_e32 v59, v3, v59, vcc
; %bb.1140:                             ;   in Loop: Header=BB2_468 Depth=4
	s_or_b64 exec, exec, s[28:29]
	v_mov_b32_e32 v60, v15
	v_cmp_ne_u16_sdwa vcc, v15, v61 src0_sel:BYTE_0 src1_sel:DWORD
	v_mov_b32_e32 v8, 0
	v_mov_b32_e32 v3, 0
	s_and_saveexec_b64 s[28:29], vcc
	s_cbranch_execz .LBB2_1146
; %bb.1141:                             ;   in Loop: Header=BB2_468 Depth=4
	v_cmp_ne_u16_sdwa vcc, v15, s91 src0_sel:BYTE_0 src1_sel:DWORD
	v_bfrev_b32_e32 v3, 1
	s_and_saveexec_b64 s[64:65], vcc
	s_cbranch_execz .LBB2_1145
; %bb.1142:                             ;   in Loop: Header=BB2_468 Depth=4
	v_and_b32_e32 v9, 0x7f, v15
	v_cmp_ne_u32_e32 vcc, s92, v9
	v_mov_b32_e32 v3, 0x7f800001
	s_and_saveexec_b64 s[66:67], vcc
	s_cbranch_execz .LBB2_1144
; %bb.1143:                             ;   in Loop: Header=BB2_468 Depth=4
	v_and_b32_e32 v3, 7, v15
	v_ffbh_u32_e32 v3, v3
	v_min_u32_e32 v3, 32, v3
	v_subrev_u32_e32 v32, 28, v3
	v_cmp_gt_u32_e32 vcc, 8, v9
	v_lshrrev_b32_e32 v12, 3, v9
	v_cndmask_b32_e32 v9, 0, v32, vcc
	v_sub_u32_e32 v3, 29, v3
	v_lshlrev_b64 v[32:33], v9, v[60:61]
	v_cndmask_b32_e32 v3, v12, v3, vcc
	v_lshlrev_b32_e32 v9, 20, v32
	v_lshlrev_b32_e32 v12, 24, v60
	v_and_b32_e32 v9, 0x700000, v9
	v_and_b32_e32 v12, 0x80000000, v12
	v_lshl_add_u32 v3, v3, 23, v0
	v_or3_b32 v3, v12, v3, v9
.LBB2_1144:                             ;   in Loop: Header=BB2_468 Depth=4
	s_or_b64 exec, exec, s[66:67]
.LBB2_1145:                             ;   in Loop: Header=BB2_468 Depth=4
	s_or_b64 exec, exec, s[64:65]
.LBB2_1146:                             ;   in Loop: Header=BB2_468 Depth=4
	s_or_b64 exec, exec, s[28:29]
	v_cmp_ne_u16_sdwa vcc, v11, v61 src0_sel:BYTE_0 src1_sel:DWORD
	s_and_saveexec_b64 s[28:29], vcc
	s_cbranch_execz .LBB2_1152
; %bb.1147:                             ;   in Loop: Header=BB2_468 Depth=4
	v_cmp_ne_u16_sdwa vcc, v11, s91 src0_sel:BYTE_0 src1_sel:DWORD
	v_bfrev_b32_e32 v8, 1
	s_and_saveexec_b64 s[64:65], vcc
	s_cbranch_execz .LBB2_1151
; %bb.1148:                             ;   in Loop: Header=BB2_468 Depth=4
	v_and_b32_e32 v9, 0x7f, v11
	v_cmp_ne_u32_e32 vcc, s92, v9
	v_mov_b32_e32 v8, 0x7f800001
	s_and_saveexec_b64 s[66:67], vcc
	s_cbranch_execz .LBB2_1150
; %bb.1149:                             ;   in Loop: Header=BB2_468 Depth=4
	v_and_b32_e32 v8, 7, v11
	v_ffbh_u32_e32 v8, v8
	v_min_u32_e32 v8, 32, v8
	v_lshrrev_b32_e32 v12, 3, v9
	v_subrev_u32_e32 v34, 28, v8
	v_sub_u32_e32 v8, 29, v8
	v_cmp_gt_u32_e32 vcc, 8, v9
	v_mov_b32_e32 v32, v11
	v_mov_b32_e32 v33, v61
	v_cndmask_b32_e32 v12, v12, v8, vcc
	v_cndmask_b32_e32 v8, 0, v34, vcc
	v_lshlrev_b64 v[8:9], v8, v[32:33]
	v_lshlrev_b32_e32 v8, 20, v8
	v_lshlrev_b32_e32 v9, 24, v32
	v_and_b32_e32 v8, 0x700000, v8
	v_and_b32_e32 v9, 0x80000000, v9
	v_lshl_add_u32 v12, v12, 23, v0
	v_or3_b32 v8, v9, v12, v8
.LBB2_1150:                             ;   in Loop: Header=BB2_468 Depth=4
	s_or_b64 exec, exec, s[66:67]
.LBB2_1151:                             ;   in Loop: Header=BB2_468 Depth=4
	s_or_b64 exec, exec, s[64:65]
.LBB2_1152:                             ;   in Loop: Header=BB2_468 Depth=4
	s_or_b64 exec, exec, s[28:29]
	v_add_f32_e32 v12, v3, v8
	v_and_b32_sdwa v3, v12, s91 dst_sel:DWORD dst_unused:UNUSED_PAD src0_sel:BYTE_3 src1_sel:DWORD
	v_and_b32_e32 v32, 0x7f800000, v12
	v_mov_b32_e32 v33, v61
	v_and_b32_e32 v8, 0x7fffff, v12
	v_mov_b32_e32 v9, v61
	v_or_b32_e32 v54, 0x7e, v3
	v_cmp_ne_u64_e32 vcc, s[54:55], v[32:33]
	s_and_saveexec_b64 s[28:29], vcc
	s_xor_b64 s[64:65], exec, s[28:29]
	s_cbranch_execz .LBB2_1162
; %bb.1153:                             ;   in Loop: Header=BB2_468 Depth=4
	v_and_b32_e32 v32, 0x7fffffff, v12
	v_mov_b32_e32 v33, v61
	v_cmp_gt_u64_e32 vcc, s[56:57], v[32:33]
	s_and_saveexec_b64 s[66:67], vcc
	s_cbranch_execz .LBB2_1161
; %bb.1154:                             ;   in Loop: Header=BB2_468 Depth=4
	v_cmp_ne_u32_e32 vcc, 0, v12
	v_mov_b32_e32 v54, 0
	s_and_saveexec_b64 s[68:69], vcc
	s_cbranch_execz .LBB2_1160
; %bb.1155:                             ;   in Loop: Header=BB2_468 Depth=4
	v_bfe_u32 v12, v12, 23, 8
	v_sub_u32_e32 v33, 0x79, v12
	v_cmp_gt_u32_e32 vcc, s93, v12
	v_add_u32_e32 v32, 0xffffff81, v12
	v_cndmask_b32_e32 v33, 0, v33, vcc
	v_cmp_eq_u32_e32 vcc, 0, v12
	v_mov_b32_e32 v12, 0xffffff82
	v_cndmask_b32_e32 v12, v32, v12, vcc
	v_mov_b32_e32 v32, 0x78
	v_cndmask_b32_e32 v54, v33, v32, vcc
	v_add_u32_e32 v32, 20, v54
	v_or_b32_e32 v34, 0x800000, v8
	v_lshlrev_b64 v[32:33], v32, -1
	v_cndmask_b32_e32 v8, v34, v8, vcc
	v_not_b32_e32 v32, v32
	v_and_b32_e32 v32, v8, v32
	v_lshrrev_b64 v[8:9], v54, v[8:9]
	v_not_b32_e32 v33, v33
	v_add_u32_e32 v34, 19, v54
	v_lshrrev_b32_e32 v40, 23, v8
	v_and_b32_e32 v33, 0, v33
	v_lshlrev_b64 v[34:35], v34, 1
	v_add3_u32 v40, v54, v12, v40
	v_bfe_u32 v12, v8, 20, 1
	v_add_u32_e32 v12, -1, v12
	v_cmp_eq_u64_e32 vcc, v[32:33], v[34:35]
	v_cndmask_b32_e32 v12, 0, v12, vcc
	v_add_u32_e32 v12, v12, v8
	v_and_b32_e32 v12, 0xfffff, v12
	v_add_co_u32_e32 v8, vcc, v12, v8
	v_add_u32_e32 v54, 6, v40
	v_addc_co_u32_e32 v9, vcc, 0, v9, vcc
	v_cmp_ne_u32_e32 vcc, 0, v54
                                        ; implicit-def: $vgpr12
	s_and_saveexec_b64 s[28:29], vcc
	s_xor_b64 s[28:29], exec, s[28:29]
; %bb.1156:                             ;   in Loop: Header=BB2_468 Depth=4
	v_cmp_lt_u64_e32 vcc, s[58:59], v[8:9]
	v_add_u32_e32 v12, 7, v40
	v_cndmask_b32_e64 v32, 0, 1, vcc
	v_cndmask_b32_e32 v12, v54, v12, vcc
	v_lshrrev_b64 v[8:9], v32, v[8:9]
; %bb.1157:                             ;   in Loop: Header=BB2_468 Depth=4
	s_andn2_saveexec_b64 s[28:29], s[28:29]
; %bb.1158:                             ;   in Loop: Header=BB2_468 Depth=4
	v_bfe_u32 v12, v8, 23, 1
; %bb.1159:                             ;   in Loop: Header=BB2_468 Depth=4
	s_or_b64 exec, exec, s[28:29]
	v_lshrrev_b64 v[8:9], 20, v[8:9]
	v_cmp_gt_i32_e32 vcc, 16, v12
	v_cndmask_b32_e32 v9, 0, v9, vcc
	v_cndmask_b32_e32 v8, 7, v8, vcc
	v_cmp_eq_u64_e64 s[28:29], 0, v[8:9]
	v_min_i32_e32 v9, 15, v12
	v_cmp_eq_u32_e32 vcc, 0, v12
	v_lshlrev_b32_e32 v9, 3, v9
	v_and_or_b32 v8, v8, 7, v9
	s_and_b64 s[28:29], vcc, s[28:29]
	v_cndmask_b32_e64 v8, v8, 0, s[28:29]
	v_or_b32_e32 v54, v8, v3
.LBB2_1160:                             ;   in Loop: Header=BB2_468 Depth=4
	s_or_b64 exec, exec, s[68:69]
.LBB2_1161:                             ;   in Loop: Header=BB2_468 Depth=4
	s_or_b64 exec, exec, s[66:67]
                                        ; implicit-def: $vgpr12
                                        ; implicit-def: $vgpr8_vgpr9
.LBB2_1162:                             ;   in Loop: Header=BB2_468 Depth=4
	s_andn2_saveexec_b64 s[28:29], s[64:65]
; %bb.1163:                             ;   in Loop: Header=BB2_468 Depth=4
	v_or_b32_sdwa v3, v12, s92 dst_sel:DWORD dst_unused:UNUSED_PAD src0_sel:BYTE_3 src1_sel:DWORD
	v_cmp_eq_u64_e32 vcc, 0, v[8:9]
	v_cndmask_b32_e32 v54, v3, v54, vcc
; %bb.1164:                             ;   in Loop: Header=BB2_468 Depth=4
	s_or_b64 exec, exec, s[28:29]
	v_lshrrev_b16_e32 v8, 8, v60
	v_cmp_ne_u16_e32 vcc, 0, v8
	v_mov_b32_e32 v3, 0
	v_mov_b32_e32 v9, 0
	s_and_saveexec_b64 s[28:29], vcc
	s_cbranch_execz .LBB2_1170
; %bb.1165:                             ;   in Loop: Header=BB2_468 Depth=4
	v_cmp_ne_u16_e32 vcc, s91, v8
	v_bfrev_b32_e32 v9, 1
	s_and_saveexec_b64 s[64:65], vcc
	s_cbranch_execz .LBB2_1169
; %bb.1166:                             ;   in Loop: Header=BB2_468 Depth=4
	v_and_b32_e32 v12, 0x7f, v8
	v_cmp_ne_u32_e32 vcc, s92, v12
	v_mov_b32_e32 v9, 0x7f800001
	s_and_saveexec_b64 s[66:67], vcc
	s_cbranch_execz .LBB2_1168
; %bb.1167:                             ;   in Loop: Header=BB2_468 Depth=4
	v_and_b32_e32 v32, 7, v8
	v_ffbh_u32_e32 v9, v32
	v_min_u32_e32 v34, 32, v9
	v_subrev_u32_e32 v9, 28, v34
	v_lshlrev_b64 v[8:9], v9, v[8:9]
	v_lshrrev_b32_e32 v33, 3, v12
	v_sub_u32_e32 v9, 29, v34
	v_and_b32_e32 v8, 7, v8
	v_cmp_gt_u32_e32 vcc, 8, v12
	v_cndmask_b32_e32 v9, v33, v9, vcc
	v_cndmask_b32_e32 v8, v32, v8, vcc
	v_lshlrev_b32_e32 v12, 16, v60
	v_lshlrev_b32_e32 v8, 20, v8
	v_and_b32_e32 v12, 0x80000000, v12
	v_lshl_add_u32 v9, v9, 23, v0
	v_or3_b32 v9, v12, v9, v8
.LBB2_1168:                             ;   in Loop: Header=BB2_468 Depth=4
	s_or_b64 exec, exec, s[66:67]
.LBB2_1169:                             ;   in Loop: Header=BB2_468 Depth=4
	s_or_b64 exec, exec, s[64:65]
.LBB2_1170:                             ;   in Loop: Header=BB2_468 Depth=4
	s_or_b64 exec, exec, s[28:29]
	v_mov_b32_e32 v8, v11
	v_lshrrev_b16_e32 v12, 8, v8
	v_cmp_ne_u16_e32 vcc, 0, v12
	s_and_saveexec_b64 s[28:29], vcc
	s_cbranch_execz .LBB2_1176
; %bb.1171:                             ;   in Loop: Header=BB2_468 Depth=4
	v_cmp_ne_u16_e32 vcc, s91, v12
	v_bfrev_b32_e32 v3, 1
	s_and_saveexec_b64 s[64:65], vcc
	s_cbranch_execz .LBB2_1175
; %bb.1172:                             ;   in Loop: Header=BB2_468 Depth=4
	v_and_b32_e32 v40, 0x7f, v12
	v_cmp_ne_u32_e32 vcc, s92, v40
	v_mov_b32_e32 v3, 0x7f800001
	s_and_saveexec_b64 s[66:67], vcc
	s_cbranch_execz .LBB2_1174
; %bb.1173:                             ;   in Loop: Header=BB2_468 Depth=4
	v_and_b32_e32 v3, 7, v12
	v_ffbh_u32_e32 v32, v3
	v_min_u32_e32 v35, 32, v32
	v_subrev_u32_e32 v32, 28, v35
	v_lshlrev_b64 v[32:33], v32, v[12:13]
	v_lshrrev_b32_e32 v34, 3, v40
	v_sub_u32_e32 v12, 29, v35
	v_and_b32_e32 v32, 7, v32
	v_cmp_gt_u32_e32 vcc, 8, v40
	v_cndmask_b32_e32 v12, v34, v12, vcc
	v_cndmask_b32_e32 v3, v3, v32, vcc
	v_lshlrev_b32_e32 v8, 16, v8
	v_lshlrev_b32_e32 v3, 20, v3
	v_and_b32_e32 v8, 0x80000000, v8
	v_lshl_add_u32 v12, v12, 23, v0
	v_or3_b32 v3, v8, v12, v3
.LBB2_1174:                             ;   in Loop: Header=BB2_468 Depth=4
	s_or_b64 exec, exec, s[66:67]
.LBB2_1175:                             ;   in Loop: Header=BB2_468 Depth=4
	s_or_b64 exec, exec, s[64:65]
.LBB2_1176:                             ;   in Loop: Header=BB2_468 Depth=4
	s_or_b64 exec, exec, s[28:29]
	v_add_f32_e32 v8, v9, v3
	v_and_b32_sdwa v3, v8, s91 dst_sel:DWORD dst_unused:UNUSED_PAD src0_sel:BYTE_3 src1_sel:DWORD
	v_and_b32_e32 v32, 0x7f800000, v8
	v_mov_b32_e32 v33, v61
	v_and_b32_e32 v60, 0x7fffff, v8
	v_or_b32_e32 v12, 0x7e, v3
	v_cmp_ne_u64_e32 vcc, s[54:55], v[32:33]
	s_and_saveexec_b64 s[28:29], vcc
	s_xor_b64 s[64:65], exec, s[28:29]
	s_cbranch_execz .LBB2_1186
; %bb.1177:                             ;   in Loop: Header=BB2_468 Depth=4
	v_and_b32_e32 v32, 0x7fffffff, v8
	v_mov_b32_e32 v33, v61
	v_cmp_gt_u64_e32 vcc, s[56:57], v[32:33]
	s_and_saveexec_b64 s[66:67], vcc
	s_cbranch_execz .LBB2_1185
; %bb.1178:                             ;   in Loop: Header=BB2_468 Depth=4
	v_cmp_ne_u32_e32 vcc, 0, v8
	v_mov_b32_e32 v12, 0
	s_and_saveexec_b64 s[68:69], vcc
	s_cbranch_execz .LBB2_1184
; %bb.1179:                             ;   in Loop: Header=BB2_468 Depth=4
	v_bfe_u32 v8, v8, 23, 8
	v_sub_u32_e32 v12, 0x79, v8
	v_cmp_gt_u32_e32 vcc, s93, v8
	v_add_u32_e32 v9, 0xffffff81, v8
	v_cndmask_b32_e32 v12, 0, v12, vcc
	v_cmp_eq_u32_e32 vcc, 0, v8
	v_mov_b32_e32 v8, 0xffffff82
	v_cndmask_b32_e32 v40, v9, v8, vcc
	v_mov_b32_e32 v8, 0x78
	v_or_b32_e32 v32, 0x800000, v60
	v_cndmask_b32_e32 v12, v12, v8, vcc
	v_cndmask_b32_e32 v60, v32, v60, vcc
	v_add_u32_e32 v8, 20, v12
	v_lshlrev_b64 v[8:9], v8, -1
	v_lshrrev_b64 v[34:35], v12, v[60:61]
	v_not_b32_e32 v9, v9
	v_not_b32_e32 v8, v8
	v_add_u32_e32 v32, 19, v12
	v_lshrrev_b32_e32 v41, 23, v34
	v_and_b32_e32 v9, 0, v9
	v_and_b32_e32 v8, v60, v8
	v_lshlrev_b64 v[32:33], v32, 1
	v_add3_u32 v60, v12, v40, v41
	v_bfe_u32 v12, v34, 20, 1
	v_add_u32_e32 v12, -1, v12
	v_cmp_eq_u64_e32 vcc, v[8:9], v[32:33]
	v_cndmask_b32_e32 v8, 0, v12, vcc
	v_add_u32_e32 v8, v8, v34
	v_and_b32_e32 v8, 0xfffff, v8
	v_add_co_u32_e32 v8, vcc, v8, v34
	v_add_u32_e32 v40, 6, v60
	v_addc_co_u32_e32 v9, vcc, 0, v35, vcc
	v_cmp_ne_u32_e32 vcc, 0, v40
                                        ; implicit-def: $vgpr12
	s_and_saveexec_b64 s[28:29], vcc
	s_xor_b64 s[28:29], exec, s[28:29]
; %bb.1180:                             ;   in Loop: Header=BB2_468 Depth=4
	v_cmp_lt_u64_e32 vcc, s[58:59], v[8:9]
	v_add_u32_e32 v12, 7, v60
	v_cndmask_b32_e64 v32, 0, 1, vcc
	v_cndmask_b32_e32 v12, v40, v12, vcc
	v_lshrrev_b64 v[8:9], v32, v[8:9]
; %bb.1181:                             ;   in Loop: Header=BB2_468 Depth=4
	s_andn2_saveexec_b64 s[28:29], s[28:29]
; %bb.1182:                             ;   in Loop: Header=BB2_468 Depth=4
	v_bfe_u32 v12, v8, 23, 1
; %bb.1183:                             ;   in Loop: Header=BB2_468 Depth=4
	s_or_b64 exec, exec, s[28:29]
	v_lshrrev_b64 v[8:9], 20, v[8:9]
	v_cmp_gt_i32_e32 vcc, 16, v12
	v_cndmask_b32_e32 v9, 0, v9, vcc
	v_cndmask_b32_e32 v8, 7, v8, vcc
	v_cmp_eq_u64_e64 s[28:29], 0, v[8:9]
	v_min_i32_e32 v9, 15, v12
	v_cmp_eq_u32_e32 vcc, 0, v12
	v_lshlrev_b32_e32 v9, 3, v9
	v_and_or_b32 v8, v8, 7, v9
	s_and_b64 s[28:29], vcc, s[28:29]
	v_cndmask_b32_e64 v8, v8, 0, s[28:29]
	v_or_b32_e32 v12, v8, v3
.LBB2_1184:                             ;   in Loop: Header=BB2_468 Depth=4
	s_or_b64 exec, exec, s[68:69]
.LBB2_1185:                             ;   in Loop: Header=BB2_468 Depth=4
	s_or_b64 exec, exec, s[66:67]
                                        ; implicit-def: $vgpr8
.LBB2_1186:                             ;   in Loop: Header=BB2_468 Depth=4
	s_andn2_saveexec_b64 s[28:29], s[64:65]
; %bb.1187:                             ;   in Loop: Header=BB2_468 Depth=4
	v_or_b32_sdwa v3, v8, s92 dst_sel:DWORD dst_unused:UNUSED_PAD src0_sel:BYTE_3 src1_sel:DWORD
	v_cmp_eq_u64_e32 vcc, 0, v[60:61]
	v_cndmask_b32_e32 v12, v3, v12, vcc
; %bb.1188:                             ;   in Loop: Header=BB2_468 Depth=4
	s_or_b64 exec, exec, s[28:29]
	v_lshrrev_b32_e32 v8, 16, v15
	v_cmp_ne_u16_sdwa vcc, v8, v61 src0_sel:BYTE_0 src1_sel:DWORD
	v_mov_b32_e32 v3, 0
	v_mov_b32_e32 v9, 0
	s_and_saveexec_b64 s[28:29], vcc
	s_cbranch_execz .LBB2_1194
; %bb.1189:                             ;   in Loop: Header=BB2_468 Depth=4
	v_cmp_ne_u16_sdwa vcc, v8, s91 src0_sel:BYTE_0 src1_sel:DWORD
	v_bfrev_b32_e32 v9, 1
	s_and_saveexec_b64 s[64:65], vcc
	s_cbranch_execz .LBB2_1193
; %bb.1190:                             ;   in Loop: Header=BB2_468 Depth=4
	v_bfe_u32 v40, v15, 16, 7
	v_cmp_ne_u32_e32 vcc, s92, v40
	v_mov_b32_e32 v9, 0x7f800001
	s_and_saveexec_b64 s[66:67], vcc
	s_cbranch_execz .LBB2_1192
; %bb.1191:                             ;   in Loop: Header=BB2_468 Depth=4
	v_and_b32_e32 v9, 7, v8
	v_ffbh_u32_e32 v32, v9
	v_min_u32_e32 v35, 32, v32
	v_subrev_u32_e32 v32, 28, v35
	v_lshlrev_b64 v[32:33], v32, v[8:9]
	v_lshrrev_b32_e32 v34, 3, v40
	v_sub_u32_e32 v33, 29, v35
	v_and_b32_e32 v32, 7, v32
	v_cmp_gt_u32_e32 vcc, 8, v40
	v_cndmask_b32_e32 v33, v34, v33, vcc
	v_cndmask_b32_e32 v9, v9, v32, vcc
	v_lshlrev_b32_e32 v8, 24, v8
	v_lshlrev_b32_e32 v9, 20, v9
	v_and_b32_e32 v8, 0x80000000, v8
	v_lshl_add_u32 v32, v33, 23, v0
	v_or3_b32 v9, v8, v32, v9
.LBB2_1192:                             ;   in Loop: Header=BB2_468 Depth=4
	s_or_b64 exec, exec, s[66:67]
.LBB2_1193:                             ;   in Loop: Header=BB2_468 Depth=4
	s_or_b64 exec, exec, s[64:65]
.LBB2_1194:                             ;   in Loop: Header=BB2_468 Depth=4
	s_or_b64 exec, exec, s[28:29]
	v_lshrrev_b32_e32 v8, 16, v11
	v_cmp_ne_u16_sdwa vcc, v8, v61 src0_sel:BYTE_0 src1_sel:DWORD
	s_and_saveexec_b64 s[28:29], vcc
	s_cbranch_execz .LBB2_1200
; %bb.1195:                             ;   in Loop: Header=BB2_468 Depth=4
	v_cmp_ne_u16_sdwa vcc, v8, s91 src0_sel:BYTE_0 src1_sel:DWORD
	v_bfrev_b32_e32 v3, 1
	s_and_saveexec_b64 s[64:65], vcc
	s_cbranch_execz .LBB2_1199
; %bb.1196:                             ;   in Loop: Header=BB2_468 Depth=4
	v_bfe_u32 v40, v11, 16, 7
	v_cmp_ne_u32_e32 vcc, s92, v40
	v_mov_b32_e32 v3, 0x7f800001
	s_and_saveexec_b64 s[66:67], vcc
	s_cbranch_execz .LBB2_1198
; %bb.1197:                             ;   in Loop: Header=BB2_468 Depth=4
	v_and_b32_e32 v3, 7, v8
	v_ffbh_u32_e32 v32, v3
	v_min_u32_e32 v35, 32, v32
	v_subrev_u32_e32 v32, 28, v35
	v_lshlrev_b64 v[32:33], v32, v[8:9]
	v_lshrrev_b32_e32 v34, 3, v40
	v_sub_u32_e32 v8, 29, v35
	v_and_b32_e32 v32, 7, v32
	v_cmp_gt_u32_e32 vcc, 8, v40
	v_cndmask_b32_e32 v8, v34, v8, vcc
	v_cndmask_b32_e32 v3, v3, v32, vcc
	v_lshlrev_b32_e32 v32, 8, v11
	v_lshlrev_b32_e32 v3, 20, v3
	v_and_b32_e32 v32, 0x80000000, v32
	v_lshl_add_u32 v8, v8, 23, v0
	v_or3_b32 v3, v32, v8, v3
.LBB2_1198:                             ;   in Loop: Header=BB2_468 Depth=4
	s_or_b64 exec, exec, s[66:67]
.LBB2_1199:                             ;   in Loop: Header=BB2_468 Depth=4
	s_or_b64 exec, exec, s[64:65]
.LBB2_1200:                             ;   in Loop: Header=BB2_468 Depth=4
	s_or_b64 exec, exec, s[28:29]
	v_add_f32_e32 v8, v9, v3
	v_and_b32_sdwa v40, v8, s91 dst_sel:DWORD dst_unused:UNUSED_PAD src0_sel:BYTE_3 src1_sel:DWORD
	v_and_b32_e32 v32, 0x7f800000, v8
	v_mov_b32_e32 v33, v61
	v_and_b32_e32 v60, 0x7fffff, v8
	v_or_b32_e32 v3, 0x7e, v40
	v_cmp_ne_u64_e32 vcc, s[54:55], v[32:33]
	s_and_saveexec_b64 s[28:29], vcc
	s_xor_b64 s[64:65], exec, s[28:29]
	s_cbranch_execz .LBB2_1210
; %bb.1201:                             ;   in Loop: Header=BB2_468 Depth=4
	v_and_b32_e32 v32, 0x7fffffff, v8
	v_mov_b32_e32 v33, v61
	v_cmp_gt_u64_e32 vcc, s[56:57], v[32:33]
	s_and_saveexec_b64 s[66:67], vcc
	s_cbranch_execz .LBB2_1209
; %bb.1202:                             ;   in Loop: Header=BB2_468 Depth=4
	v_cmp_ne_u32_e32 vcc, 0, v8
	v_mov_b32_e32 v3, 0
	s_and_saveexec_b64 s[68:69], vcc
	s_cbranch_execz .LBB2_1208
; %bb.1203:                             ;   in Loop: Header=BB2_468 Depth=4
	v_bfe_u32 v3, v8, 23, 8
	v_sub_u32_e32 v9, 0x79, v3
	v_cmp_gt_u32_e32 vcc, s93, v3
	v_add_u32_e32 v8, 0xffffff81, v3
	v_cndmask_b32_e32 v9, 0, v9, vcc
	v_cmp_eq_u32_e32 vcc, 0, v3
	v_mov_b32_e32 v3, 0xffffff82
	v_cndmask_b32_e32 v3, v8, v3, vcc
	v_mov_b32_e32 v8, 0x78
	v_cndmask_b32_e32 v41, v9, v8, vcc
	v_or_b32_e32 v32, 0x800000, v60
	v_add_u32_e32 v8, 20, v41
	v_cndmask_b32_e32 v60, v32, v60, vcc
	v_lshlrev_b64 v[8:9], v8, -1
	v_not_b32_e32 v8, v8
	v_lshrrev_b64 v[34:35], v41, v[60:61]
	v_not_b32_e32 v9, v9
	v_and_b32_e32 v8, v60, v8
	v_add_u32_e32 v32, 19, v41
	v_lshrrev_b32_e32 v60, 23, v34
	v_and_b32_e32 v9, 0, v9
	v_lshlrev_b64 v[32:33], v32, 1
	v_add3_u32 v41, v41, v3, v60
	v_bfe_u32 v3, v34, 20, 1
	v_add_u32_e32 v3, -1, v3
	v_cmp_eq_u64_e32 vcc, v[8:9], v[32:33]
	v_cndmask_b32_e32 v3, 0, v3, vcc
	v_add_u32_e32 v3, v3, v34
	v_and_b32_e32 v3, 0xfffff, v3
	v_add_co_u32_e32 v8, vcc, v3, v34
	v_add_u32_e32 v60, 6, v41
	v_addc_co_u32_e32 v9, vcc, 0, v35, vcc
	v_cmp_ne_u32_e32 vcc, 0, v60
                                        ; implicit-def: $vgpr3
	s_and_saveexec_b64 s[28:29], vcc
	s_xor_b64 s[28:29], exec, s[28:29]
; %bb.1204:                             ;   in Loop: Header=BB2_468 Depth=4
	v_cmp_lt_u64_e32 vcc, s[58:59], v[8:9]
	v_add_u32_e32 v3, 7, v41
	v_cndmask_b32_e64 v32, 0, 1, vcc
	v_cndmask_b32_e32 v3, v60, v3, vcc
	v_lshrrev_b64 v[8:9], v32, v[8:9]
; %bb.1205:                             ;   in Loop: Header=BB2_468 Depth=4
	s_andn2_saveexec_b64 s[28:29], s[28:29]
; %bb.1206:                             ;   in Loop: Header=BB2_468 Depth=4
	v_bfe_u32 v3, v8, 23, 1
; %bb.1207:                             ;   in Loop: Header=BB2_468 Depth=4
	s_or_b64 exec, exec, s[28:29]
	v_lshrrev_b64 v[8:9], 20, v[8:9]
	v_cmp_gt_i32_e32 vcc, 16, v3
	v_cndmask_b32_e32 v9, 0, v9, vcc
	v_cndmask_b32_e32 v8, 7, v8, vcc
	v_cmp_eq_u32_e32 vcc, 0, v3
	v_min_i32_e32 v3, 15, v3
	v_lshlrev_b32_e32 v3, 3, v3
	v_cmp_eq_u64_e64 s[28:29], 0, v[8:9]
	v_and_b32_e32 v3, 0xf8, v3
	v_and_or_b32 v3, v8, 7, v3
	s_and_b64 s[28:29], vcc, s[28:29]
	v_cndmask_b32_e64 v3, v3, 0, s[28:29]
	v_or_b32_e32 v3, v3, v40
.LBB2_1208:                             ;   in Loop: Header=BB2_468 Depth=4
	s_or_b64 exec, exec, s[68:69]
.LBB2_1209:                             ;   in Loop: Header=BB2_468 Depth=4
	s_or_b64 exec, exec, s[66:67]
                                        ; implicit-def: $vgpr8
.LBB2_1210:                             ;   in Loop: Header=BB2_468 Depth=4
	s_andn2_saveexec_b64 s[28:29], s[64:65]
; %bb.1211:                             ;   in Loop: Header=BB2_468 Depth=4
	v_or_b32_sdwa v8, v8, s92 dst_sel:DWORD dst_unused:UNUSED_PAD src0_sel:BYTE_3 src1_sel:DWORD
	v_cmp_eq_u64_e32 vcc, 0, v[60:61]
	v_cndmask_b32_e32 v3, v8, v3, vcc
; %bb.1212:                             ;   in Loop: Header=BB2_468 Depth=4
	s_or_b64 exec, exec, s[28:29]
	v_cmp_lt_u64_e32 vcc, s[44:45], v[14:15]
	v_mov_b32_e32 v9, 0
	v_mov_b32_e32 v14, 0
	s_and_saveexec_b64 s[28:29], vcc
	s_cbranch_execz .LBB2_1218
; %bb.1213:                             ;   in Loop: Header=BB2_468 Depth=4
	v_lshrrev_b32_e32 v8, 24, v15
	v_cmp_ne_u32_e32 vcc, s91, v8
	v_bfrev_b32_e32 v14, 1
	s_and_saveexec_b64 s[64:65], vcc
	s_cbranch_execz .LBB2_1217
; %bb.1214:                             ;   in Loop: Header=BB2_468 Depth=4
	v_bfe_u32 v15, v15, 24, 7
	v_cmp_ne_u32_e32 vcc, s92, v15
	v_mov_b32_e32 v14, 0x7f800001
	s_and_saveexec_b64 s[66:67], vcc
	s_cbranch_execz .LBB2_1216
; %bb.1215:                             ;   in Loop: Header=BB2_468 Depth=4
	v_and_b32_e32 v14, 7, v8
	v_ffbh_u32_e32 v32, v14
	v_min_u32_e32 v35, 32, v32
	v_subrev_u32_e32 v32, 28, v35
	v_lshlrev_b64 v[32:33], v32, v[8:9]
	v_lshrrev_b32_e32 v34, 3, v15
	v_sub_u32_e32 v33, 29, v35
	v_and_b32_e32 v32, 7, v32
	v_cmp_gt_u32_e32 vcc, 8, v15
	v_cndmask_b32_e32 v15, v34, v33, vcc
	v_cndmask_b32_e32 v14, v14, v32, vcc
	v_lshlrev_b32_e32 v8, 24, v8
	v_lshlrev_b32_e32 v14, 20, v14
	v_and_b32_e32 v8, 0x80000000, v8
	v_lshl_add_u32 v15, v15, 23, v0
	v_or3_b32 v14, v8, v15, v14
.LBB2_1216:                             ;   in Loop: Header=BB2_468 Depth=4
	s_or_b64 exec, exec, s[66:67]
.LBB2_1217:                             ;   in Loop: Header=BB2_468 Depth=4
	s_or_b64 exec, exec, s[64:65]
.LBB2_1218:                             ;   in Loop: Header=BB2_468 Depth=4
	s_or_b64 exec, exec, s[28:29]
	v_cmp_lt_u64_e32 vcc, s[44:45], v[10:11]
	s_and_saveexec_b64 s[28:29], vcc
	s_cbranch_execz .LBB2_1224
; %bb.1219:                             ;   in Loop: Header=BB2_468 Depth=4
	v_lshrrev_b32_e32 v8, 24, v11
	v_cmp_ne_u32_e32 vcc, s91, v8
	v_bfrev_b32_e32 v9, 1
	s_and_saveexec_b64 s[64:65], vcc
	s_cbranch_execz .LBB2_1223
; %bb.1220:                             ;   in Loop: Header=BB2_468 Depth=4
	v_bfe_u32 v10, v11, 24, 7
	v_cmp_ne_u32_e32 vcc, s92, v10
	v_mov_b32_e32 v9, 0x7f800001
	s_and_saveexec_b64 s[66:67], vcc
	s_cbranch_execz .LBB2_1222
; %bb.1221:                             ;   in Loop: Header=BB2_468 Depth=4
	v_and_b32_e32 v9, 7, v8
	v_ffbh_u32_e32 v15, v9
	v_min_u32_e32 v15, 32, v15
	v_subrev_u32_e32 v32, 28, v15
	v_lshlrev_b64 v[32:33], v32, v[8:9]
	v_lshrrev_b32_e32 v11, 3, v10
	v_sub_u32_e32 v15, 29, v15
	v_and_b32_e32 v32, 7, v32
	v_cmp_gt_u32_e32 vcc, 8, v10
	v_cndmask_b32_e32 v10, v11, v15, vcc
	v_cndmask_b32_e32 v9, v9, v32, vcc
	v_lshlrev_b32_e32 v8, 24, v8
	v_lshlrev_b32_e32 v9, 20, v9
	v_and_b32_e32 v8, 0x80000000, v8
	v_lshl_add_u32 v10, v10, 23, v0
	v_or3_b32 v9, v8, v10, v9
.LBB2_1222:                             ;   in Loop: Header=BB2_468 Depth=4
	s_or_b64 exec, exec, s[66:67]
.LBB2_1223:                             ;   in Loop: Header=BB2_468 Depth=4
	s_or_b64 exec, exec, s[64:65]
.LBB2_1224:                             ;   in Loop: Header=BB2_468 Depth=4
	s_or_b64 exec, exec, s[28:29]
	v_add_f32_e32 v9, v14, v9
	v_and_b32_sdwa v10, v9, s91 dst_sel:DWORD dst_unused:UNUSED_PAD src0_sel:BYTE_3 src1_sel:DWORD
	v_and_b32_e32 v14, 0x7f800000, v9
	v_mov_b32_e32 v15, v61
	v_and_b32_e32 v60, 0x7fffff, v9
	v_or_b32_e32 v8, 0x7e, v10
	v_cmp_ne_u64_e32 vcc, s[54:55], v[14:15]
	s_and_saveexec_b64 s[28:29], vcc
	s_xor_b64 s[64:65], exec, s[28:29]
	s_cbranch_execz .LBB2_1234
; %bb.1225:                             ;   in Loop: Header=BB2_468 Depth=4
	v_and_b32_e32 v14, 0x7fffffff, v9
	v_mov_b32_e32 v15, v61
	v_cmp_gt_u64_e32 vcc, s[56:57], v[14:15]
	s_and_saveexec_b64 s[66:67], vcc
	s_cbranch_execz .LBB2_1233
; %bb.1226:                             ;   in Loop: Header=BB2_468 Depth=4
	v_cmp_ne_u32_e32 vcc, 0, v9
	v_mov_b32_e32 v8, 0
	s_and_saveexec_b64 s[68:69], vcc
	s_cbranch_execz .LBB2_1232
; %bb.1227:                             ;   in Loop: Header=BB2_468 Depth=4
	v_bfe_u32 v8, v9, 23, 8
	v_sub_u32_e32 v11, 0x79, v8
	v_cmp_gt_u32_e32 vcc, s93, v8
	v_add_u32_e32 v9, 0xffffff81, v8
	v_cndmask_b32_e32 v11, 0, v11, vcc
	v_cmp_eq_u32_e32 vcc, 0, v8
	v_mov_b32_e32 v8, 0xffffff82
	v_cndmask_b32_e32 v15, v9, v8, vcc
	v_mov_b32_e32 v8, 0x78
	v_or_b32_e32 v14, 0x800000, v60
	v_cndmask_b32_e32 v11, v11, v8, vcc
	v_cndmask_b32_e32 v60, v14, v60, vcc
	v_add_u32_e32 v8, 20, v11
	v_lshlrev_b64 v[8:9], v8, -1
	v_add_u32_e32 v14, 19, v11
	v_lshrrev_b64 v[34:35], v11, v[60:61]
	v_not_b32_e32 v9, v9
	v_not_b32_e32 v8, v8
	v_lshlrev_b64 v[32:33], v14, 1
	v_lshrrev_b32_e32 v14, 23, v34
	v_and_b32_e32 v9, 0, v9
	v_and_b32_e32 v8, v60, v8
	v_add3_u32 v15, v11, v15, v14
	v_bfe_u32 v11, v34, 20, 1
	v_add_u32_e32 v11, -1, v11
	v_cmp_eq_u64_e32 vcc, v[8:9], v[32:33]
	v_cndmask_b32_e32 v8, 0, v11, vcc
	v_add_u32_e32 v8, v8, v34
	v_and_b32_e32 v8, 0xfffff, v8
	v_add_co_u32_e32 v8, vcc, v8, v34
	v_add_u32_e32 v14, 6, v15
	v_addc_co_u32_e32 v9, vcc, 0, v35, vcc
	v_cmp_ne_u32_e32 vcc, 0, v14
                                        ; implicit-def: $vgpr11
	s_and_saveexec_b64 s[28:29], vcc
	s_xor_b64 s[28:29], exec, s[28:29]
; %bb.1228:                             ;   in Loop: Header=BB2_468 Depth=4
	v_add_u32_e32 v11, 7, v15
	v_cmp_lt_u64_e32 vcc, s[58:59], v[8:9]
	v_cndmask_b32_e32 v11, v14, v11, vcc
	v_cndmask_b32_e64 v14, 0, 1, vcc
	v_lshrrev_b64 v[8:9], v14, v[8:9]
; %bb.1229:                             ;   in Loop: Header=BB2_468 Depth=4
	s_andn2_saveexec_b64 s[28:29], s[28:29]
; %bb.1230:                             ;   in Loop: Header=BB2_468 Depth=4
	v_bfe_u32 v11, v8, 23, 1
; %bb.1231:                             ;   in Loop: Header=BB2_468 Depth=4
	s_or_b64 exec, exec, s[28:29]
	v_lshrrev_b64 v[8:9], 20, v[8:9]
	v_cmp_gt_i32_e32 vcc, 16, v11
	v_cndmask_b32_e32 v9, 0, v9, vcc
	v_cndmask_b32_e32 v8, 7, v8, vcc
	v_cmp_eq_u64_e64 s[28:29], 0, v[8:9]
	v_min_i32_e32 v9, 15, v11
	v_lshlrev_b32_e32 v9, 3, v9
	v_cmp_eq_u32_e32 vcc, 0, v11
	v_and_b32_e32 v9, 0xf8, v9
	v_and_or_b32 v8, v8, 7, v9
	s_and_b64 s[28:29], vcc, s[28:29]
	v_cndmask_b32_e64 v8, v8, 0, s[28:29]
	v_or_b32_e32 v8, v8, v10
.LBB2_1232:                             ;   in Loop: Header=BB2_468 Depth=4
	s_or_b64 exec, exec, s[68:69]
.LBB2_1233:                             ;   in Loop: Header=BB2_468 Depth=4
	s_or_b64 exec, exec, s[66:67]
                                        ; implicit-def: $vgpr9
.LBB2_1234:                             ;   in Loop: Header=BB2_468 Depth=4
	s_andn2_saveexec_b64 s[28:29], s[64:65]
	s_cbranch_execz .LBB2_467
; %bb.1235:                             ;   in Loop: Header=BB2_468 Depth=4
	v_or_b32_sdwa v9, v9, s92 dst_sel:DWORD dst_unused:UNUSED_PAD src0_sel:BYTE_3 src1_sel:DWORD
	v_cmp_eq_u64_e32 vcc, 0, v[60:61]
	v_cndmask_b32_e32 v8, v9, v8, vcc
	s_branch .LBB2_467
.LBB2_1236:                             ;   in Loop: Header=BB2_274 Depth=3
	s_or_b64 exec, exec, s[64:65]
.LBB2_1237:                             ;   in Loop: Header=BB2_274 Depth=3
	s_or_b64 exec, exec, s[62:63]
	v_lshlrev_b32_e32 v3, 8, v17
	v_cmp_ne_u32_e32 vcc, v14, v3
	s_and_saveexec_b64 s[62:63], vcc
	s_cbranch_execz .LBB2_1269
; %bb.1238:                             ;   in Loop: Header=BB2_274 Depth=3
	v_add_u32_e32 v4, v15, v16
	v_and_b32_e32 v4, 0xffffffc0, v4
	v_sub_u32_e32 v4, v15, v4
	v_lshlrev_b32_e32 v5, 6, v6
	v_sub_u32_e32 v4, v4, v5
	v_add_u32_e32 v3, v3, v4
	v_sub_u32_e32 v6, v14, v3
	v_cmp_lt_i32_e32 vcc, 0, v6
	s_and_b64 exec, exec, vcc
	s_cbranch_execz .LBB2_1269
; %bb.1239:                             ;   in Loop: Header=BB2_274 Depth=3
	s_trap 2
	ds_read_b128 v[8:11], v0
	ds_read_b64 v[12:13], v0
	v_add_u32_e32 v1, v3, v1
	v_ashrrev_i32_e32 v3, 31, v1
	s_mov_b64 s[64:65], 0
	s_waitcnt lgkmcnt(0)
	v_add_co_u32_e32 v4, vcc, v8, v1
	v_addc_co_u32_e32 v5, vcc, v9, v3, vcc
	v_add_co_u32_e32 v8, vcc, v10, v1
	v_addc_co_u32_e32 v9, vcc, v11, v3, vcc
	;; [unrolled: 2-line block ×3, first 2 shown]
	s_branch .LBB2_1241
.LBB2_1240:                             ;   in Loop: Header=BB2_1241 Depth=4
	s_or_b64 exec, exec, s[28:29]
	flat_store_byte v[10:11], v3 glc slc
	v_accvgpr_read_b32 v3, a36
	v_add_co_u32_e32 v4, vcc, v4, v3
	v_accvgpr_read_b32 v12, a37
	v_addc_co_u32_e32 v5, vcc, v5, v12, vcc
	v_add_co_u32_e32 v8, vcc, v8, v3
	v_accvgpr_read_b32 v1, a23
	v_addc_co_u32_e32 v9, vcc, v9, v12, vcc
	v_sub_u32_e32 v6, v6, v1
	v_cmp_gt_i32_e32 vcc, 1, v6
	s_or_b64 s[64:65], vcc, s[64:65]
	v_add_co_u32_e32 v10, vcc, v10, v3
	v_addc_co_u32_e32 v11, vcc, v11, v12, vcc
	s_andn2_b64 exec, exec, s[64:65]
	s_cbranch_execz .LBB2_1269
.LBB2_1241:                             ;   Parent Loop BB2_47 Depth=1
                                        ;     Parent Loop BB2_271 Depth=2
                                        ;       Parent Loop BB2_274 Depth=3
                                        ; =>      This Inner Loop Header: Depth=4
	flat_load_ubyte v14, v[4:5] glc slc
	flat_load_ubyte v3, v[8:9] glc slc
	v_mov_b32_e32 v1, 0
	v_mov_b32_e32 v13, 0
	s_waitcnt vmcnt(0) lgkmcnt(0)
	v_cmp_ne_u16_e32 vcc, 0, v14
	s_and_saveexec_b64 s[28:29], vcc
	s_cbranch_execz .LBB2_1247
; %bb.1242:                             ;   in Loop: Header=BB2_1241 Depth=4
	v_cmp_ne_u16_e32 vcc, s91, v14
	v_bfrev_b32_e32 v13, 1
	s_and_saveexec_b64 s[66:67], vcc
	s_cbranch_execz .LBB2_1246
; %bb.1243:                             ;   in Loop: Header=BB2_1241 Depth=4
	v_and_b32_e32 v12, 0xffff, v14
	v_and_b32_e32 v15, 0x7f, v12
	v_cmp_ne_u32_e32 vcc, s92, v15
	v_mov_b32_e32 v13, 0x7f800001
	s_and_saveexec_b64 s[68:69], vcc
	s_cbranch_execz .LBB2_1245
; %bb.1244:                             ;   in Loop: Header=BB2_1241 Depth=4
	v_and_b32_e32 v16, 7, v12
	v_ffbh_u32_e32 v13, v16
	v_min_u32_e32 v18, 32, v13
	v_subrev_u32_e32 v13, 28, v18
	v_lshlrev_b64 v[12:13], v13, v[12:13]
	v_lshrrev_b32_e32 v17, 3, v15
	v_sub_u32_e32 v13, 29, v18
	v_and_b32_e32 v12, 7, v12
	v_cmp_gt_u32_e32 vcc, 8, v15
	v_cndmask_b32_e32 v13, v17, v13, vcc
	v_cndmask_b32_e32 v12, v16, v12, vcc
	v_lshlrev_b32_e32 v14, 24, v14
	v_lshlrev_b32_e32 v12, 20, v12
	v_and_b32_e32 v14, 0x80000000, v14
	v_lshl_add_u32 v13, v13, 23, v0
	v_or3_b32 v13, v14, v13, v12
.LBB2_1245:                             ;   in Loop: Header=BB2_1241 Depth=4
	s_or_b64 exec, exec, s[68:69]
.LBB2_1246:                             ;   in Loop: Header=BB2_1241 Depth=4
	s_or_b64 exec, exec, s[66:67]
.LBB2_1247:                             ;   in Loop: Header=BB2_1241 Depth=4
	s_or_b64 exec, exec, s[28:29]
	v_and_b32_e32 v12, 0xff, v3
	v_cmp_ne_u16_e32 vcc, 0, v12
	s_and_saveexec_b64 s[28:29], vcc
	s_cbranch_execz .LBB2_1253
; %bb.1248:                             ;   in Loop: Header=BB2_1241 Depth=4
	v_cmp_ne_u16_e32 vcc, s91, v12
	v_bfrev_b32_e32 v1, 1
	s_and_saveexec_b64 s[66:67], vcc
	s_cbranch_execz .LBB2_1252
; %bb.1249:                             ;   in Loop: Header=BB2_1241 Depth=4
	v_and_b32_e32 v14, 0x7f, v3
	v_cmp_ne_u32_e32 vcc, s92, v14
	v_mov_b32_e32 v1, 0x7f800001
	s_and_saveexec_b64 s[68:69], vcc
	s_cbranch_execz .LBB2_1251
; %bb.1250:                             ;   in Loop: Header=BB2_1241 Depth=4
	v_and_b32_e32 v1, 7, v12
	v_ffbh_u32_e32 v16, v1
	v_min_u32_e32 v18, 32, v16
	v_subrev_u32_e32 v16, 28, v18
	v_lshlrev_b64 v[16:17], v16, v[12:13]
	v_lshrrev_b32_e32 v15, 3, v14
	v_sub_u32_e32 v12, 29, v18
	v_and_b32_e32 v16, 7, v16
	v_cmp_gt_u32_e32 vcc, 8, v14
	v_lshlrev_b32_e32 v3, 24, v3
	v_cndmask_b32_e32 v12, v15, v12, vcc
	v_cndmask_b32_e32 v1, v1, v16, vcc
	v_and_b32_e32 v3, 0x80000000, v3
	v_lshlrev_b32_e32 v1, 20, v1
	v_lshl_add_u32 v12, v12, 23, v0
	v_or3_b32 v1, v3, v12, v1
.LBB2_1251:                             ;   in Loop: Header=BB2_1241 Depth=4
	s_or_b64 exec, exec, s[68:69]
.LBB2_1252:                             ;   in Loop: Header=BB2_1241 Depth=4
	s_or_b64 exec, exec, s[66:67]
.LBB2_1253:                             ;   in Loop: Header=BB2_1241 Depth=4
	s_or_b64 exec, exec, s[28:29]
	v_add_f32_e32 v12, v13, v1
	v_and_b32_sdwa v1, v12, s91 dst_sel:DWORD dst_unused:UNUSED_PAD src0_sel:BYTE_3 src1_sel:DWORD
	v_and_b32_e32 v14, 0x7f800000, v12
	v_mov_b32_e32 v15, v61
	v_and_b32_e32 v60, 0x7fffff, v12
	v_or_b32_e32 v3, 0x7e, v1
	v_cmp_ne_u64_e32 vcc, s[54:55], v[14:15]
	s_and_saveexec_b64 s[28:29], vcc
	s_xor_b64 s[66:67], exec, s[28:29]
	s_cbranch_execz .LBB2_1267
; %bb.1254:                             ;   in Loop: Header=BB2_1241 Depth=4
	v_and_b32_e32 v14, 0x7fffffff, v12
	v_mov_b32_e32 v15, v61
	v_cmp_gt_u64_e32 vcc, s[56:57], v[14:15]
	s_and_saveexec_b64 s[28:29], vcc
	s_xor_b64 s[68:69], exec, s[28:29]
	s_cbranch_execz .LBB2_1266
; %bb.1255:                             ;   in Loop: Header=BB2_1241 Depth=4
	v_cmp_ne_u32_e32 vcc, 0, v12
	v_mov_b32_e32 v3, 0
	s_and_saveexec_b64 s[70:71], vcc
	s_cbranch_execz .LBB2_1265
; %bb.1256:                             ;   in Loop: Header=BB2_1241 Depth=4
	v_bfe_u32 v3, v12, 23, 8
	v_sub_u32_e32 v13, 0x79, v3
	v_cmp_gt_u32_e32 vcc, s93, v3
	v_add_u32_e32 v12, 0xffffff81, v3
	v_cndmask_b32_e32 v13, 0, v13, vcc
	v_cmp_eq_u32_e32 vcc, 0, v3
	v_mov_b32_e32 v3, 0xffffff82
	v_cndmask_b32_e32 v3, v12, v3, vcc
	v_mov_b32_e32 v12, 0x78
	v_or_b32_e32 v14, 0x800000, v60
	v_cndmask_b32_e32 v15, v13, v12, vcc
	v_cndmask_b32_e32 v60, v14, v60, vcc
	v_add_u32_e32 v12, 20, v15
	v_lshlrev_b64 v[12:13], v12, -1
	v_add_u32_e32 v14, 19, v15
	v_lshrrev_b64 v[18:19], v15, v[60:61]
	v_not_b32_e32 v13, v13
	v_not_b32_e32 v12, v12
	v_lshlrev_b64 v[16:17], v14, 1
	v_lshrrev_b32_e32 v14, 23, v18
	v_and_b32_e32 v13, 0, v13
	v_and_b32_e32 v12, v60, v12
	v_add3_u32 v15, v15, v3, v14
	v_bfe_u32 v14, v18, 20, 1
	v_add_u32_e32 v14, -1, v14
	v_cmp_eq_u64_e32 vcc, v[12:13], v[16:17]
	v_cndmask_b32_e32 v12, 0, v14, vcc
	v_add_u32_e32 v12, v12, v18
	v_and_b32_e32 v12, 0xfffff, v12
	v_add_co_u32_e32 v12, vcc, v12, v18
	v_add_u32_e32 v3, 6, v15
	v_addc_co_u32_e32 v13, vcc, 0, v19, vcc
	v_cmp_ne_u32_e32 vcc, 0, v3
                                        ; implicit-def: $vgpr14
	s_and_saveexec_b64 s[28:29], vcc
	s_xor_b64 s[28:29], exec, s[28:29]
; %bb.1257:                             ;   in Loop: Header=BB2_1241 Depth=4
	v_add_u32_e32 v14, 7, v15
	v_cmp_lt_u64_e32 vcc, s[58:59], v[12:13]
	v_cndmask_b32_e32 v14, v3, v14, vcc
	v_cndmask_b32_e64 v3, 0, 1, vcc
	v_lshrrev_b64 v[12:13], v3, v[12:13]
; %bb.1258:                             ;   in Loop: Header=BB2_1241 Depth=4
	s_andn2_saveexec_b64 s[28:29], s[28:29]
; %bb.1259:                             ;   in Loop: Header=BB2_1241 Depth=4
	v_bfe_u32 v14, v12, 23, 1
; %bb.1260:                             ;   in Loop: Header=BB2_1241 Depth=4
	s_or_b64 exec, exec, s[28:29]
	v_lshrrev_b64 v[12:13], 20, v[12:13]
	v_cmp_gt_i32_e32 vcc, 16, v14
	v_cndmask_b32_e32 v13, 0, v13, vcc
	v_cndmask_b32_e32 v12, 7, v12, vcc
	v_cmp_ne_u32_e32 vcc, 0, v14
	v_cmp_ne_u64_e64 s[28:29], 0, v[12:13]
	s_or_b64 s[28:29], vcc, s[28:29]
                                        ; implicit-def: $vgpr3
	s_and_saveexec_b64 vcc, s[28:29]
	s_xor_b64 s[28:29], exec, vcc
; %bb.1261:                             ;   in Loop: Header=BB2_1241 Depth=4
	v_min_i32_e32 v3, 15, v14
	v_lshl_or_b32 v1, v3, 3, v1
	v_and_or_b32 v3, v12, 7, v1
                                        ; implicit-def: $vgpr1
; %bb.1262:                             ;   in Loop: Header=BB2_1241 Depth=4
	s_andn2_saveexec_b64 s[28:29], s[28:29]
; %bb.1263:                             ;   in Loop: Header=BB2_1241 Depth=4
	v_mov_b32_e32 v3, v1
; %bb.1264:                             ;   in Loop: Header=BB2_1241 Depth=4
	s_or_b64 exec, exec, s[28:29]
.LBB2_1265:                             ;   in Loop: Header=BB2_1241 Depth=4
	s_or_b64 exec, exec, s[70:71]
.LBB2_1266:                             ;   in Loop: Header=BB2_1241 Depth=4
	s_andn2_saveexec_b64 s[28:29], s[68:69]
	s_or_b64 exec, exec, s[28:29]
                                        ; implicit-def: $vgpr12
.LBB2_1267:                             ;   in Loop: Header=BB2_1241 Depth=4
	s_andn2_saveexec_b64 s[28:29], s[66:67]
	s_cbranch_execz .LBB2_1240
; %bb.1268:                             ;   in Loop: Header=BB2_1241 Depth=4
	v_or_b32_sdwa v1, v12, s92 dst_sel:DWORD dst_unused:UNUSED_PAD src0_sel:BYTE_3 src1_sel:DWORD
	v_cmp_eq_u64_e32 vcc, 0, v[60:61]
	v_cndmask_b32_e32 v3, v1, v3, vcc
	s_branch .LBB2_1240
.LBB2_1269:                             ;   in Loop: Header=BB2_274 Depth=3
	s_or_b64 exec, exec, s[62:63]
	s_or_b64 exec, exec, s[30:31]
	s_and_saveexec_b64 s[28:29], s[10:11]
	s_cbranch_execz .LBB2_461
	s_branch .LBB2_1665
.LBB2_1270:                             ;   in Loop: Header=BB2_274 Depth=3
	s_or_b64 exec, exec, s[62:63]
	v_accvgpr_read_b32 v40, a58
	v_accvgpr_read_b32 v55, a56
	;; [unrolled: 1-line block ×5, first 2 shown]
.LBB2_1271:                             ;   in Loop: Header=BB2_274 Depth=3
	s_or_b64 exec, exec, s[30:31]
	v_lshlrev_b32_e32 v6, 11, v3
	v_cmp_ne_u32_e32 vcc, v42, v6
	s_mov_b64 s[28:29], 0
	v_mov_b32_e32 v1, 0
                                        ; implicit-def: $vgpr14
                                        ; implicit-def: $vgpr15
                                        ; implicit-def: $vgpr3
	s_and_saveexec_b64 s[62:63], vcc
	s_cbranch_execz .LBB2_1663
; %bb.1272:                             ;   in Loop: Header=BB2_274 Depth=3
	v_lshlrev_b32_e32 v1, 6, v30
	v_accvgpr_read_b32 v4, a40
	v_sub_u32_e32 v1, v4, v1
	v_ashrrev_i32_e32 v4, 31, v1
	v_lshrrev_b32_e32 v4, 26, v4
	v_add_u32_e32 v4, v1, v4
	v_sub_u32_e32 v3, v42, v6
	v_ashrrev_i32_e32 v5, 6, v4
	v_and_b32_e32 v4, 0xffffffc0, v4
	v_sub_u32_e32 v23, v1, v4
	v_ashrrev_i32_e32 v4, 31, v3
	v_lshrrev_b32_e32 v4, 22, v4
	v_add_u32_e32 v4, v3, v4
	v_and_b32_e32 v24, 0xfffffc00, v4
	v_lshlrev_b32_e32 v1, 4, v23
	v_sub_u32_e32 v26, v3, v24
	v_lshl_add_u32 v1, v5, 10, v1
	v_ashrrev_i32_e32 v8, 10, v4
	v_cmp_lt_i32_e32 vcc, 15, v26
	v_sub_u32_e32 v27, v3, v1
	v_addc_co_u32_e64 v3, s[28:29], 0, v8, vcc
	v_sub_u32_e32 v25, v3, v5
	v_cmp_lt_i32_e64 s[28:29], 15, v27
	s_and_saveexec_b64 s[64:65], s[28:29]
	s_cbranch_execz .LBB2_1660
; %bb.1273:                             ;   in Loop: Header=BB2_274 Depth=3
	s_trap 2
	ds_read_b128 v[8:11], v0
	ds_read_b64 v[12:13], v0
	v_add_u32_e32 v1, v1, v6
	v_ashrrev_i32_e32 v3, 31, v1
	s_mov_b64 s[66:67], 0
	s_waitcnt lgkmcnt(0)
	v_add_co_u32_e64 v4, s[28:29], v8, v1
	v_addc_co_u32_e64 v5, s[28:29], v9, v3, s[28:29]
	v_add_co_u32_e64 v16, s[28:29], v10, v1
	v_addc_co_u32_e64 v17, s[28:29], v11, v3, s[28:29]
	;; [unrolled: 2-line block ×3, first 2 shown]
	s_branch .LBB2_1275
.LBB2_1274:                             ;   in Loop: Header=BB2_1275 Depth=4
	s_or_b64 exec, exec, s[30:31]
	v_lshlrev_b32_e32 v9, 8, v22
	v_perm_b32 v9, v9, v31, s94
	v_lshl_or_b32 v9, v20, 16, v9
	v_lshl_or_b32 v31, v13, 24, v9
	v_and_b32_e32 v9, 0xff, v30
	v_lshlrev_b32_e32 v11, 8, v29
	v_lshlrev_b32_e32 v10, 24, v36
	;; [unrolled: 1-line block ×3, first 2 shown]
	v_perm_b32 v11, v11, v28, s94
	v_or3_b32 v30, v10, v9, v11
	v_and_b32_e32 v9, 0xff, v37
	v_lshlrev_b32_e32 v1, 8, v1
	v_lshlrev_b32_e32 v10, 24, v38
	;; [unrolled: 1-line block ×3, first 2 shown]
	v_perm_b32 v1, v1, v21, s94
	v_or3_b32 v32, v10, v9, v1
	v_lshlrev_b32_e32 v1, 8, v12
	v_perm_b32 v1, v1, v39, s94
	v_lshl_or_b32 v1, v3, 16, v1
	v_lshl_or_b32 v33, v8, 24, v1
	v_accvgpr_read_b32 v1, a42
	v_add_co_u32_e64 v4, s[28:29], v4, v1
	v_accvgpr_read_b32 v3, a43
	v_addc_co_u32_e64 v5, s[28:29], v5, v3, s[28:29]
	v_add_co_u32_e64 v16, s[28:29], v16, v1
	v_addc_co_u32_e64 v17, s[28:29], v17, v3, s[28:29]
	global_store_dwordx4 v[18:19], v[30:33], off glc slc
	v_add_co_u32_e64 v18, s[28:29], v18, v1
	v_accvgpr_read_b32 v1, a28
	v_addc_co_u32_e64 v19, s[28:29], v19, v3, s[28:29]
	v_sub_u32_e32 v27, v27, v1
	v_cmp_gt_i32_e64 s[28:29], 16, v27
	v_accvgpr_read_b32 v8, a22
	s_or_b64 s[66:67], s[28:29], s[66:67]
	v_sub_u32_e32 v25, v25, v8
	s_andn2_b64 exec, exec, s[66:67]
	s_cbranch_execz .LBB2_1659
.LBB2_1275:                             ;   Parent Loop BB2_47 Depth=1
                                        ;     Parent Loop BB2_271 Depth=2
                                        ;       Parent Loop BB2_274 Depth=3
                                        ; =>      This Inner Loop Header: Depth=4
	global_load_dwordx4 v[12:15], v[4:5], off glc slc
	global_load_dwordx4 v[8:11], v[16:17], off glc slc
	v_mov_b32_e32 v1, 0
	v_mov_b32_e32 v3, 0
	s_waitcnt vmcnt(0)
	v_cmp_ne_u16_sdwa s[28:29], v12, v61 src0_sel:BYTE_0 src1_sel:DWORD
	s_and_saveexec_b64 s[30:31], s[28:29]
	s_cbranch_execz .LBB2_1281
; %bb.1276:                             ;   in Loop: Header=BB2_1275 Depth=4
	v_cmp_ne_u16_sdwa s[28:29], v12, s91 src0_sel:BYTE_0 src1_sel:DWORD
	v_bfrev_b32_e32 v3, 1
	s_and_saveexec_b64 s[68:69], s[28:29]
	s_cbranch_execz .LBB2_1280
; %bb.1277:                             ;   in Loop: Header=BB2_1275 Depth=4
	v_and_b32_e32 v20, 0x7f, v12
	v_cmp_ne_u32_e64 s[28:29], s92, v20
	v_mov_b32_e32 v3, 0x7f800001
	s_and_saveexec_b64 s[70:71], s[28:29]
	s_cbranch_execz .LBB2_1279
; %bb.1278:                             ;   in Loop: Header=BB2_1275 Depth=4
	v_and_b32_e32 v3, 7, v12
	v_ffbh_u32_e32 v3, v3
	v_min_u32_e32 v3, 32, v3
	v_subrev_u32_e32 v22, 28, v3
	v_cmp_gt_u32_e64 s[28:29], 8, v20
	v_lshrrev_b32_e32 v21, 3, v20
	v_sub_u32_e32 v3, 29, v3
	v_cndmask_b32_e64 v20, 0, v22, s[28:29]
	v_cndmask_b32_e64 v3, v21, v3, s[28:29]
	v_lshlrev_b64 v[20:21], v20, v[12:13]
	v_lshlrev_b32_e32 v20, 20, v20
	v_lshlrev_b32_e32 v21, 24, v12
	v_and_b32_e32 v20, 0x700000, v20
	v_and_b32_e32 v21, 0x80000000, v21
	v_lshl_add_u32 v3, v3, 23, v0
	v_or3_b32 v3, v21, v3, v20
.LBB2_1279:                             ;   in Loop: Header=BB2_1275 Depth=4
	s_or_b64 exec, exec, s[70:71]
.LBB2_1280:                             ;   in Loop: Header=BB2_1275 Depth=4
	s_or_b64 exec, exec, s[68:69]
.LBB2_1281:                             ;   in Loop: Header=BB2_1275 Depth=4
	s_or_b64 exec, exec, s[30:31]
	v_cmp_ne_u16_sdwa s[28:29], v8, v61 src0_sel:BYTE_0 src1_sel:DWORD
	s_and_saveexec_b64 s[30:31], s[28:29]
	s_cbranch_execz .LBB2_1287
; %bb.1282:                             ;   in Loop: Header=BB2_1275 Depth=4
	v_cmp_ne_u16_sdwa s[28:29], v8, s91 src0_sel:BYTE_0 src1_sel:DWORD
	v_bfrev_b32_e32 v1, 1
	s_and_saveexec_b64 s[68:69], s[28:29]
	s_cbranch_execz .LBB2_1286
; %bb.1283:                             ;   in Loop: Header=BB2_1275 Depth=4
	v_and_b32_e32 v20, 0x7f, v8
	v_cmp_ne_u32_e64 s[28:29], s92, v20
	v_mov_b32_e32 v1, 0x7f800001
	s_and_saveexec_b64 s[70:71], s[28:29]
	s_cbranch_execz .LBB2_1285
; %bb.1284:                             ;   in Loop: Header=BB2_1275 Depth=4
	v_and_b32_e32 v1, 7, v8
	v_ffbh_u32_e32 v1, v1
	v_min_u32_e32 v1, 32, v1
	v_subrev_u32_e32 v22, 28, v1
	v_cmp_gt_u32_e64 s[28:29], 8, v20
	v_lshrrev_b32_e32 v21, 3, v20
	v_sub_u32_e32 v1, 29, v1
	v_cndmask_b32_e64 v20, 0, v22, s[28:29]
	v_cndmask_b32_e64 v1, v21, v1, s[28:29]
	v_lshlrev_b64 v[20:21], v20, v[8:9]
	v_lshlrev_b32_e32 v20, 20, v20
	v_lshlrev_b32_e32 v21, 24, v8
	v_and_b32_e32 v20, 0x700000, v20
	v_and_b32_e32 v21, 0x80000000, v21
	v_lshl_add_u32 v1, v1, 23, v0
	v_or3_b32 v1, v21, v1, v20
.LBB2_1285:                             ;   in Loop: Header=BB2_1275 Depth=4
	s_or_b64 exec, exec, s[70:71]
.LBB2_1286:                             ;   in Loop: Header=BB2_1275 Depth=4
	s_or_b64 exec, exec, s[68:69]
.LBB2_1287:                             ;   in Loop: Header=BB2_1275 Depth=4
	s_or_b64 exec, exec, s[30:31]
	v_add_f32_e32 v3, v3, v1
	v_and_b32_sdwa v1, v3, s91 dst_sel:DWORD dst_unused:UNUSED_PAD src0_sel:BYTE_3 src1_sel:DWORD
	v_and_b32_e32 v20, 0x7f800000, v3
	v_mov_b32_e32 v21, v61
	v_and_b32_e32 v60, 0x7fffff, v3
	v_or_b32_e32 v28, 0x7e, v1
	v_cmp_ne_u64_e64 s[28:29], s[54:55], v[20:21]
	s_and_saveexec_b64 s[30:31], s[28:29]
	s_xor_b64 s[68:69], exec, s[30:31]
	s_cbranch_execz .LBB2_1297
; %bb.1288:                             ;   in Loop: Header=BB2_1275 Depth=4
	v_and_b32_e32 v20, 0x7fffffff, v3
	v_mov_b32_e32 v21, v61
	v_cmp_gt_u64_e64 s[28:29], s[56:57], v[20:21]
	s_and_saveexec_b64 s[70:71], s[28:29]
	s_cbranch_execz .LBB2_1296
; %bb.1289:                             ;   in Loop: Header=BB2_1275 Depth=4
	v_cmp_ne_u32_e64 s[28:29], 0, v3
	v_mov_b32_e32 v28, 0
	s_and_saveexec_b64 s[72:73], s[28:29]
	s_cbranch_execz .LBB2_1295
; %bb.1290:                             ;   in Loop: Header=BB2_1275 Depth=4
	v_bfe_u32 v3, v3, 23, 8
	v_sub_u32_e32 v21, 0x79, v3
	v_cmp_gt_u32_e64 s[28:29], s93, v3
	v_add_u32_e32 v20, 0xffffff81, v3
	v_cndmask_b32_e64 v21, 0, v21, s[28:29]
	v_cmp_eq_u32_e64 s[28:29], 0, v3
	v_mov_b32_e32 v3, 0xffffff82
	v_cndmask_b32_e64 v3, v20, v3, s[28:29]
	v_mov_b32_e32 v20, 0x78
	v_or_b32_e32 v22, 0x800000, v60
	v_cndmask_b32_e64 v28, v21, v20, s[28:29]
	v_cndmask_b32_e64 v60, v22, v60, s[28:29]
	v_add_u32_e32 v20, 20, v28
	v_lshlrev_b64 v[20:21], v20, -1
	v_add_u32_e32 v22, 19, v28
	v_lshrrev_b64 v[32:33], v28, v[60:61]
	v_not_b32_e32 v21, v21
	v_not_b32_e32 v20, v20
	v_lshlrev_b64 v[30:31], v22, 1
	v_lshrrev_b32_e32 v22, 23, v32
	v_and_b32_e32 v21, 0, v21
	v_and_b32_e32 v20, v60, v20
	v_add3_u32 v28, v28, v3, v22
	v_bfe_u32 v3, v32, 20, 1
	v_add_u32_e32 v3, -1, v3
	v_cmp_eq_u64_e64 s[28:29], v[20:21], v[30:31]
	v_cndmask_b32_e64 v3, 0, v3, s[28:29]
	v_add_u32_e32 v3, v3, v32
	v_and_b32_e32 v3, 0xfffff, v3
	v_add_co_u32_e64 v20, s[28:29], v3, v32
	v_add_u32_e32 v22, 6, v28
	v_addc_co_u32_e64 v21, s[28:29], 0, v33, s[28:29]
	v_cmp_ne_u32_e64 s[28:29], 0, v22
                                        ; implicit-def: $vgpr3
	s_and_saveexec_b64 s[30:31], s[28:29]
	s_xor_b64 s[30:31], exec, s[30:31]
; %bb.1291:                             ;   in Loop: Header=BB2_1275 Depth=4
	v_add_u32_e32 v3, 7, v28
	v_cmp_lt_u64_e64 s[28:29], s[58:59], v[20:21]
	v_cndmask_b32_e64 v3, v22, v3, s[28:29]
	v_cndmask_b32_e64 v22, 0, 1, s[28:29]
	v_lshrrev_b64 v[20:21], v22, v[20:21]
; %bb.1292:                             ;   in Loop: Header=BB2_1275 Depth=4
	s_andn2_saveexec_b64 s[28:29], s[30:31]
; %bb.1293:                             ;   in Loop: Header=BB2_1275 Depth=4
	v_bfe_u32 v3, v20, 23, 1
; %bb.1294:                             ;   in Loop: Header=BB2_1275 Depth=4
	s_or_b64 exec, exec, s[28:29]
	v_lshrrev_b64 v[20:21], 20, v[20:21]
	v_cmp_gt_i32_e64 s[28:29], 16, v3
	v_cndmask_b32_e64 v21, 0, v21, s[28:29]
	v_cndmask_b32_e64 v20, 7, v20, s[28:29]
	v_cmp_eq_u32_e64 s[28:29], 0, v3
	v_min_i32_e32 v3, 15, v3
	v_cmp_eq_u64_e64 s[30:31], 0, v[20:21]
	v_lshlrev_b32_e32 v3, 3, v3
	v_and_or_b32 v3, v20, 7, v3
	s_and_b64 s[28:29], s[28:29], s[30:31]
	v_cndmask_b32_e64 v3, v3, 0, s[28:29]
	v_or_b32_e32 v28, v3, v1
.LBB2_1295:                             ;   in Loop: Header=BB2_1275 Depth=4
	s_or_b64 exec, exec, s[72:73]
.LBB2_1296:                             ;   in Loop: Header=BB2_1275 Depth=4
	s_or_b64 exec, exec, s[70:71]
                                        ; implicit-def: $vgpr3
.LBB2_1297:                             ;   in Loop: Header=BB2_1275 Depth=4
	s_andn2_saveexec_b64 s[30:31], s[68:69]
; %bb.1298:                             ;   in Loop: Header=BB2_1275 Depth=4
	v_or_b32_sdwa v1, v3, s92 dst_sel:DWORD dst_unused:UNUSED_PAD src0_sel:BYTE_3 src1_sel:DWORD
	v_cmp_eq_u64_e64 s[28:29], 0, v[60:61]
	v_cndmask_b32_e64 v28, v1, v28, s[28:29]
; %bb.1299:                             ;   in Loop: Header=BB2_1275 Depth=4
	s_or_b64 exec, exec, s[30:31]
	v_lshrrev_b16_e32 v20, 8, v12
	v_cmp_ne_u16_e64 s[28:29], 0, v20
	v_mov_b32_e32 v1, 0
	v_mov_b32_e32 v3, 0
	s_and_saveexec_b64 s[30:31], s[28:29]
	s_cbranch_execz .LBB2_1305
; %bb.1300:                             ;   in Loop: Header=BB2_1275 Depth=4
	v_cmp_ne_u16_e64 s[28:29], s91, v20
	v_bfrev_b32_e32 v3, 1
	s_and_saveexec_b64 s[68:69], s[28:29]
	s_cbranch_execz .LBB2_1304
; %bb.1301:                             ;   in Loop: Header=BB2_1275 Depth=4
	v_and_b32_e32 v21, 0x7f, v20
	v_cmp_ne_u32_e64 s[28:29], s92, v21
	v_mov_b32_e32 v3, 0x7f800001
	s_and_saveexec_b64 s[70:71], s[28:29]
	s_cbranch_execz .LBB2_1303
; %bb.1302:                             ;   in Loop: Header=BB2_1275 Depth=4
	v_and_b32_e32 v3, 7, v20
	v_ffbh_u32_e32 v29, v3
	v_min_u32_e32 v29, 32, v29
	v_subrev_u32_e32 v30, 28, v29
	v_lshlrev_b64 v[30:31], v30, v[20:21]
	v_lshrrev_b32_e32 v22, 3, v21
	v_sub_u32_e32 v20, 29, v29
	v_and_b32_e32 v29, 7, v30
	v_cmp_gt_u32_e64 s[28:29], 8, v21
	v_cndmask_b32_e64 v20, v22, v20, s[28:29]
	v_cndmask_b32_e64 v3, v3, v29, s[28:29]
	v_lshlrev_b32_e32 v21, 16, v12
	v_lshlrev_b32_e32 v3, 20, v3
	v_and_b32_e32 v21, 0x80000000, v21
	v_lshl_add_u32 v20, v20, 23, v0
	v_or3_b32 v3, v21, v20, v3
.LBB2_1303:                             ;   in Loop: Header=BB2_1275 Depth=4
	s_or_b64 exec, exec, s[70:71]
.LBB2_1304:                             ;   in Loop: Header=BB2_1275 Depth=4
	s_or_b64 exec, exec, s[68:69]
.LBB2_1305:                             ;   in Loop: Header=BB2_1275 Depth=4
	s_or_b64 exec, exec, s[30:31]
	v_lshrrev_b16_e32 v20, 8, v8
	v_cmp_ne_u16_e64 s[28:29], 0, v20
	s_and_saveexec_b64 s[30:31], s[28:29]
	s_cbranch_execz .LBB2_1311
; %bb.1306:                             ;   in Loop: Header=BB2_1275 Depth=4
	v_cmp_ne_u16_e64 s[28:29], s91, v20
	v_bfrev_b32_e32 v1, 1
	s_and_saveexec_b64 s[68:69], s[28:29]
	s_cbranch_execz .LBB2_1310
; %bb.1307:                             ;   in Loop: Header=BB2_1275 Depth=4
	v_and_b32_e32 v21, 0x7f, v20
	v_cmp_ne_u32_e64 s[28:29], s92, v21
	v_mov_b32_e32 v1, 0x7f800001
	s_and_saveexec_b64 s[70:71], s[28:29]
	s_cbranch_execz .LBB2_1309
; %bb.1308:                             ;   in Loop: Header=BB2_1275 Depth=4
	v_and_b32_e32 v1, 7, v20
	v_ffbh_u32_e32 v29, v1
	v_min_u32_e32 v29, 32, v29
	v_subrev_u32_e32 v30, 28, v29
	v_lshlrev_b64 v[30:31], v30, v[20:21]
	v_lshrrev_b32_e32 v22, 3, v21
	v_sub_u32_e32 v20, 29, v29
	v_and_b32_e32 v29, 7, v30
	v_cmp_gt_u32_e64 s[28:29], 8, v21
	v_cndmask_b32_e64 v20, v22, v20, s[28:29]
	v_cndmask_b32_e64 v1, v1, v29, s[28:29]
	v_lshlrev_b32_e32 v21, 16, v8
	v_lshlrev_b32_e32 v1, 20, v1
	v_and_b32_e32 v21, 0x80000000, v21
	v_lshl_add_u32 v20, v20, 23, v0
	v_or3_b32 v1, v21, v20, v1
.LBB2_1309:                             ;   in Loop: Header=BB2_1275 Depth=4
	s_or_b64 exec, exec, s[70:71]
.LBB2_1310:                             ;   in Loop: Header=BB2_1275 Depth=4
	s_or_b64 exec, exec, s[68:69]
.LBB2_1311:                             ;   in Loop: Header=BB2_1275 Depth=4
	s_or_b64 exec, exec, s[30:31]
	v_add_f32_e32 v3, v3, v1
	v_and_b32_sdwa v1, v3, s91 dst_sel:DWORD dst_unused:UNUSED_PAD src0_sel:BYTE_3 src1_sel:DWORD
	v_and_b32_e32 v20, 0x7f800000, v3
	v_mov_b32_e32 v21, v61
	v_and_b32_e32 v60, 0x7fffff, v3
	v_or_b32_e32 v29, 0x7e, v1
	v_cmp_ne_u64_e64 s[28:29], s[54:55], v[20:21]
	s_and_saveexec_b64 s[30:31], s[28:29]
	s_xor_b64 s[68:69], exec, s[30:31]
	s_cbranch_execz .LBB2_1321
; %bb.1312:                             ;   in Loop: Header=BB2_1275 Depth=4
	v_and_b32_e32 v20, 0x7fffffff, v3
	v_mov_b32_e32 v21, v61
	v_cmp_gt_u64_e64 s[28:29], s[56:57], v[20:21]
	s_and_saveexec_b64 s[70:71], s[28:29]
	s_cbranch_execz .LBB2_1320
; %bb.1313:                             ;   in Loop: Header=BB2_1275 Depth=4
	v_cmp_ne_u32_e64 s[28:29], 0, v3
	v_mov_b32_e32 v29, 0
	s_and_saveexec_b64 s[72:73], s[28:29]
	s_cbranch_execz .LBB2_1319
; %bb.1314:                             ;   in Loop: Header=BB2_1275 Depth=4
	v_bfe_u32 v3, v3, 23, 8
	v_sub_u32_e32 v21, 0x79, v3
	v_cmp_gt_u32_e64 s[28:29], s93, v3
	v_add_u32_e32 v20, 0xffffff81, v3
	v_cndmask_b32_e64 v21, 0, v21, s[28:29]
	v_cmp_eq_u32_e64 s[28:29], 0, v3
	v_mov_b32_e32 v3, 0xffffff82
	v_cndmask_b32_e64 v3, v20, v3, s[28:29]
	v_mov_b32_e32 v20, 0x78
	v_or_b32_e32 v22, 0x800000, v60
	v_cndmask_b32_e64 v29, v21, v20, s[28:29]
	v_cndmask_b32_e64 v60, v22, v60, s[28:29]
	v_add_u32_e32 v20, 20, v29
	v_lshlrev_b64 v[20:21], v20, -1
	v_add_u32_e32 v22, 19, v29
	v_lshrrev_b64 v[32:33], v29, v[60:61]
	v_not_b32_e32 v21, v21
	v_not_b32_e32 v20, v20
	v_lshlrev_b64 v[30:31], v22, 1
	v_lshrrev_b32_e32 v22, 23, v32
	v_and_b32_e32 v21, 0, v21
	v_and_b32_e32 v20, v60, v20
	v_add3_u32 v29, v29, v3, v22
	v_bfe_u32 v3, v32, 20, 1
	v_add_u32_e32 v3, -1, v3
	v_cmp_eq_u64_e64 s[28:29], v[20:21], v[30:31]
	v_cndmask_b32_e64 v3, 0, v3, s[28:29]
	v_add_u32_e32 v3, v3, v32
	v_and_b32_e32 v3, 0xfffff, v3
	v_add_co_u32_e64 v20, s[28:29], v3, v32
	v_add_u32_e32 v22, 6, v29
	v_addc_co_u32_e64 v21, s[28:29], 0, v33, s[28:29]
	v_cmp_ne_u32_e64 s[28:29], 0, v22
                                        ; implicit-def: $vgpr3
	s_and_saveexec_b64 s[30:31], s[28:29]
	s_xor_b64 s[30:31], exec, s[30:31]
; %bb.1315:                             ;   in Loop: Header=BB2_1275 Depth=4
	v_add_u32_e32 v3, 7, v29
	v_cmp_lt_u64_e64 s[28:29], s[58:59], v[20:21]
	v_cndmask_b32_e64 v3, v22, v3, s[28:29]
	v_cndmask_b32_e64 v22, 0, 1, s[28:29]
	v_lshrrev_b64 v[20:21], v22, v[20:21]
; %bb.1316:                             ;   in Loop: Header=BB2_1275 Depth=4
	s_andn2_saveexec_b64 s[28:29], s[30:31]
; %bb.1317:                             ;   in Loop: Header=BB2_1275 Depth=4
	v_bfe_u32 v3, v20, 23, 1
; %bb.1318:                             ;   in Loop: Header=BB2_1275 Depth=4
	s_or_b64 exec, exec, s[28:29]
	v_lshrrev_b64 v[20:21], 20, v[20:21]
	v_cmp_gt_i32_e64 s[28:29], 16, v3
	v_cndmask_b32_e64 v21, 0, v21, s[28:29]
	v_cndmask_b32_e64 v20, 7, v20, s[28:29]
	v_cmp_eq_u32_e64 s[28:29], 0, v3
	v_min_i32_e32 v3, 15, v3
	v_cmp_eq_u64_e64 s[30:31], 0, v[20:21]
	v_lshlrev_b32_e32 v3, 3, v3
	v_and_or_b32 v3, v20, 7, v3
	s_and_b64 s[28:29], s[28:29], s[30:31]
	v_cndmask_b32_e64 v3, v3, 0, s[28:29]
	v_or_b32_e32 v29, v3, v1
.LBB2_1319:                             ;   in Loop: Header=BB2_1275 Depth=4
	s_or_b64 exec, exec, s[72:73]
.LBB2_1320:                             ;   in Loop: Header=BB2_1275 Depth=4
	s_or_b64 exec, exec, s[70:71]
                                        ; implicit-def: $vgpr3
.LBB2_1321:                             ;   in Loop: Header=BB2_1275 Depth=4
	s_andn2_saveexec_b64 s[30:31], s[68:69]
; %bb.1322:                             ;   in Loop: Header=BB2_1275 Depth=4
	v_or_b32_sdwa v1, v3, s92 dst_sel:DWORD dst_unused:UNUSED_PAD src0_sel:BYTE_3 src1_sel:DWORD
	v_cmp_eq_u64_e64 s[28:29], 0, v[60:61]
	v_cndmask_b32_e64 v29, v1, v29, s[28:29]
; %bb.1323:                             ;   in Loop: Header=BB2_1275 Depth=4
	s_or_b64 exec, exec, s[30:31]
	v_lshrrev_b32_e32 v20, 16, v12
	v_cmp_ne_u16_sdwa s[28:29], v20, v61 src0_sel:BYTE_0 src1_sel:DWORD
	v_mov_b32_e32 v1, 0
	v_mov_b32_e32 v3, 0
	s_and_saveexec_b64 s[30:31], s[28:29]
	s_cbranch_execz .LBB2_1329
; %bb.1324:                             ;   in Loop: Header=BB2_1275 Depth=4
	v_cmp_ne_u16_sdwa s[28:29], v20, s91 src0_sel:BYTE_0 src1_sel:DWORD
	v_bfrev_b32_e32 v3, 1
	s_and_saveexec_b64 s[68:69], s[28:29]
	s_cbranch_execz .LBB2_1328
; %bb.1325:                             ;   in Loop: Header=BB2_1275 Depth=4
	v_bfe_u32 v21, v12, 16, 7
	v_cmp_ne_u32_e64 s[28:29], s92, v21
	v_mov_b32_e32 v3, 0x7f800001
	s_and_saveexec_b64 s[70:71], s[28:29]
	s_cbranch_execz .LBB2_1327
; %bb.1326:                             ;   in Loop: Header=BB2_1275 Depth=4
	v_and_b32_e32 v3, 7, v20
	v_ffbh_u32_e32 v30, v3
	v_min_u32_e32 v32, 32, v30
	v_subrev_u32_e32 v30, 28, v32
	v_lshlrev_b64 v[30:31], v30, v[20:21]
	v_lshrrev_b32_e32 v22, 3, v21
	v_sub_u32_e32 v31, 29, v32
	v_and_b32_e32 v30, 7, v30
	v_cmp_gt_u32_e64 s[28:29], 8, v21
	v_cndmask_b32_e64 v21, v22, v31, s[28:29]
	v_cndmask_b32_e64 v3, v3, v30, s[28:29]
	v_lshlrev_b32_e32 v20, 24, v20
	v_lshlrev_b32_e32 v3, 20, v3
	v_and_b32_e32 v20, 0x80000000, v20
	v_lshl_add_u32 v21, v21, 23, v0
	v_or3_b32 v3, v20, v21, v3
.LBB2_1327:                             ;   in Loop: Header=BB2_1275 Depth=4
	s_or_b64 exec, exec, s[70:71]
.LBB2_1328:                             ;   in Loop: Header=BB2_1275 Depth=4
	s_or_b64 exec, exec, s[68:69]
.LBB2_1329:                             ;   in Loop: Header=BB2_1275 Depth=4
	s_or_b64 exec, exec, s[30:31]
	v_lshrrev_b32_e32 v20, 16, v8
	v_cmp_ne_u16_sdwa s[28:29], v20, v61 src0_sel:BYTE_0 src1_sel:DWORD
	s_and_saveexec_b64 s[30:31], s[28:29]
	s_cbranch_execz .LBB2_1335
; %bb.1330:                             ;   in Loop: Header=BB2_1275 Depth=4
	v_cmp_ne_u16_sdwa s[28:29], v20, s91 src0_sel:BYTE_0 src1_sel:DWORD
	v_bfrev_b32_e32 v1, 1
	s_and_saveexec_b64 s[68:69], s[28:29]
	s_cbranch_execz .LBB2_1334
; %bb.1331:                             ;   in Loop: Header=BB2_1275 Depth=4
	v_bfe_u32 v21, v8, 16, 7
	v_cmp_ne_u32_e64 s[28:29], s92, v21
	v_mov_b32_e32 v1, 0x7f800001
	s_and_saveexec_b64 s[70:71], s[28:29]
	s_cbranch_execz .LBB2_1333
; %bb.1332:                             ;   in Loop: Header=BB2_1275 Depth=4
	v_and_b32_e32 v1, 7, v20
	v_ffbh_u32_e32 v30, v1
	v_min_u32_e32 v32, 32, v30
	v_subrev_u32_e32 v30, 28, v32
	v_lshlrev_b64 v[30:31], v30, v[20:21]
	v_lshrrev_b32_e32 v22, 3, v21
	v_sub_u32_e32 v20, 29, v32
	v_and_b32_e32 v30, 7, v30
	v_cmp_gt_u32_e64 s[28:29], 8, v21
	v_cndmask_b32_e64 v20, v22, v20, s[28:29]
	v_cndmask_b32_e64 v1, v1, v30, s[28:29]
	v_lshlrev_b32_e32 v21, 8, v8
	v_lshlrev_b32_e32 v1, 20, v1
	v_and_b32_e32 v21, 0x80000000, v21
	v_lshl_add_u32 v20, v20, 23, v0
	v_or3_b32 v1, v21, v20, v1
.LBB2_1333:                             ;   in Loop: Header=BB2_1275 Depth=4
	s_or_b64 exec, exec, s[70:71]
.LBB2_1334:                             ;   in Loop: Header=BB2_1275 Depth=4
	s_or_b64 exec, exec, s[68:69]
.LBB2_1335:                             ;   in Loop: Header=BB2_1275 Depth=4
	s_or_b64 exec, exec, s[30:31]
	v_add_f32_e32 v3, v3, v1
	v_and_b32_sdwa v1, v3, s91 dst_sel:DWORD dst_unused:UNUSED_PAD src0_sel:BYTE_3 src1_sel:DWORD
	v_and_b32_e32 v20, 0x7f800000, v3
	v_mov_b32_e32 v21, v61
	v_and_b32_e32 v60, 0x7fffff, v3
	v_or_b32_e32 v30, 0x7e, v1
	v_cmp_ne_u64_e64 s[28:29], s[54:55], v[20:21]
	s_and_saveexec_b64 s[30:31], s[28:29]
	s_xor_b64 s[68:69], exec, s[30:31]
	s_cbranch_execz .LBB2_1345
; %bb.1336:                             ;   in Loop: Header=BB2_1275 Depth=4
	v_and_b32_e32 v20, 0x7fffffff, v3
	v_mov_b32_e32 v21, v61
	v_cmp_gt_u64_e64 s[28:29], s[56:57], v[20:21]
	s_and_saveexec_b64 s[70:71], s[28:29]
	s_cbranch_execz .LBB2_1344
; %bb.1337:                             ;   in Loop: Header=BB2_1275 Depth=4
	v_cmp_ne_u32_e64 s[28:29], 0, v3
	v_mov_b32_e32 v30, 0
	s_and_saveexec_b64 s[72:73], s[28:29]
	s_cbranch_execz .LBB2_1343
; %bb.1338:                             ;   in Loop: Header=BB2_1275 Depth=4
	v_bfe_u32 v3, v3, 23, 8
	v_sub_u32_e32 v21, 0x79, v3
	v_cmp_gt_u32_e64 s[28:29], s93, v3
	v_add_u32_e32 v20, 0xffffff81, v3
	v_cndmask_b32_e64 v21, 0, v21, s[28:29]
	v_cmp_eq_u32_e64 s[28:29], 0, v3
	v_mov_b32_e32 v3, 0xffffff82
	v_cndmask_b32_e64 v3, v20, v3, s[28:29]
	v_mov_b32_e32 v20, 0x78
	v_or_b32_e32 v22, 0x800000, v60
	v_cndmask_b32_e64 v30, v21, v20, s[28:29]
	v_cndmask_b32_e64 v60, v22, v60, s[28:29]
	v_add_u32_e32 v20, 20, v30
	v_lshlrev_b64 v[20:21], v20, -1
	v_add_u32_e32 v22, 19, v30
	v_lshrrev_b64 v[34:35], v30, v[60:61]
	v_not_b32_e32 v21, v21
	v_not_b32_e32 v20, v20
	v_lshlrev_b64 v[32:33], v22, 1
	v_lshrrev_b32_e32 v22, 23, v34
	v_and_b32_e32 v21, 0, v21
	v_and_b32_e32 v20, v60, v20
	v_add3_u32 v30, v30, v3, v22
	v_bfe_u32 v3, v34, 20, 1
	v_add_u32_e32 v3, -1, v3
	v_cmp_eq_u64_e64 s[28:29], v[20:21], v[32:33]
	v_cndmask_b32_e64 v3, 0, v3, s[28:29]
	v_add_u32_e32 v3, v3, v34
	v_and_b32_e32 v3, 0xfffff, v3
	v_add_co_u32_e64 v20, s[28:29], v3, v34
	v_add_u32_e32 v22, 6, v30
	v_addc_co_u32_e64 v21, s[28:29], 0, v35, s[28:29]
	v_cmp_ne_u32_e64 s[28:29], 0, v22
                                        ; implicit-def: $vgpr3
	s_and_saveexec_b64 s[30:31], s[28:29]
	s_xor_b64 s[30:31], exec, s[30:31]
; %bb.1339:                             ;   in Loop: Header=BB2_1275 Depth=4
	v_add_u32_e32 v3, 7, v30
	v_cmp_lt_u64_e64 s[28:29], s[58:59], v[20:21]
	v_cndmask_b32_e64 v3, v22, v3, s[28:29]
	v_cndmask_b32_e64 v22, 0, 1, s[28:29]
	v_lshrrev_b64 v[20:21], v22, v[20:21]
; %bb.1340:                             ;   in Loop: Header=BB2_1275 Depth=4
	s_andn2_saveexec_b64 s[28:29], s[30:31]
; %bb.1341:                             ;   in Loop: Header=BB2_1275 Depth=4
	v_bfe_u32 v3, v20, 23, 1
; %bb.1342:                             ;   in Loop: Header=BB2_1275 Depth=4
	s_or_b64 exec, exec, s[28:29]
	v_lshrrev_b64 v[20:21], 20, v[20:21]
	v_cmp_gt_i32_e64 s[28:29], 16, v3
	v_cndmask_b32_e64 v21, 0, v21, s[28:29]
	v_cndmask_b32_e64 v20, 7, v20, s[28:29]
	v_cmp_eq_u32_e64 s[28:29], 0, v3
	v_min_i32_e32 v3, 15, v3
	v_cmp_eq_u64_e64 s[30:31], 0, v[20:21]
	v_lshlrev_b32_e32 v3, 3, v3
	v_and_or_b32 v3, v20, 7, v3
	s_and_b64 s[28:29], s[28:29], s[30:31]
	v_cndmask_b32_e64 v3, v3, 0, s[28:29]
	v_or_b32_e32 v30, v3, v1
.LBB2_1343:                             ;   in Loop: Header=BB2_1275 Depth=4
	s_or_b64 exec, exec, s[72:73]
.LBB2_1344:                             ;   in Loop: Header=BB2_1275 Depth=4
	s_or_b64 exec, exec, s[70:71]
                                        ; implicit-def: $vgpr3
.LBB2_1345:                             ;   in Loop: Header=BB2_1275 Depth=4
	s_andn2_saveexec_b64 s[30:31], s[68:69]
; %bb.1346:                             ;   in Loop: Header=BB2_1275 Depth=4
	v_or_b32_sdwa v1, v3, s92 dst_sel:DWORD dst_unused:UNUSED_PAD src0_sel:BYTE_3 src1_sel:DWORD
	v_cmp_eq_u64_e64 s[28:29], 0, v[60:61]
	v_cndmask_b32_e64 v30, v1, v30, s[28:29]
; %bb.1347:                             ;   in Loop: Header=BB2_1275 Depth=4
	s_or_b64 exec, exec, s[30:31]
	v_cmp_lt_u32_e64 s[28:29], s45, v12
	v_mov_b32_e32 v1, 0
	v_mov_b32_e32 v3, 0
	s_and_saveexec_b64 s[30:31], s[28:29]
	s_cbranch_execz .LBB2_1353
; %bb.1348:                             ;   in Loop: Header=BB2_1275 Depth=4
	v_lshrrev_b32_e32 v20, 24, v12
	v_cmp_ne_u32_e64 s[28:29], s91, v20
	v_bfrev_b32_e32 v3, 1
	s_and_saveexec_b64 s[68:69], s[28:29]
	s_cbranch_execz .LBB2_1352
; %bb.1349:                             ;   in Loop: Header=BB2_1275 Depth=4
	v_bfe_u32 v21, v12, 24, 7
	v_cmp_ne_u32_e64 s[28:29], s92, v21
	v_mov_b32_e32 v3, 0x7f800001
	s_and_saveexec_b64 s[70:71], s[28:29]
	s_cbranch_execz .LBB2_1351
; %bb.1350:                             ;   in Loop: Header=BB2_1275 Depth=4
	v_and_b32_e32 v3, 7, v20
	v_ffbh_u32_e32 v31, v3
	v_min_u32_e32 v31, 32, v31
	v_subrev_u32_e32 v32, 28, v31
	v_lshlrev_b64 v[32:33], v32, v[20:21]
	v_lshrrev_b32_e32 v22, 3, v21
	v_sub_u32_e32 v31, 29, v31
	v_and_b32_e32 v32, 7, v32
	v_cmp_gt_u32_e64 s[28:29], 8, v21
	v_cndmask_b32_e64 v21, v22, v31, s[28:29]
	v_cndmask_b32_e64 v3, v3, v32, s[28:29]
	v_lshlrev_b32_e32 v20, 24, v20
	v_lshlrev_b32_e32 v3, 20, v3
	v_and_b32_e32 v20, 0x80000000, v20
	v_lshl_add_u32 v21, v21, 23, v0
	v_or3_b32 v3, v20, v21, v3
.LBB2_1351:                             ;   in Loop: Header=BB2_1275 Depth=4
	s_or_b64 exec, exec, s[70:71]
.LBB2_1352:                             ;   in Loop: Header=BB2_1275 Depth=4
	s_or_b64 exec, exec, s[68:69]
.LBB2_1353:                             ;   in Loop: Header=BB2_1275 Depth=4
	s_or_b64 exec, exec, s[30:31]
	v_cmp_lt_u32_e64 s[28:29], s45, v8
	s_and_saveexec_b64 s[30:31], s[28:29]
	s_cbranch_execz .LBB2_1359
; %bb.1354:                             ;   in Loop: Header=BB2_1275 Depth=4
	v_lshrrev_b32_e32 v20, 24, v8
	v_cmp_ne_u32_e64 s[28:29], s91, v20
	v_bfrev_b32_e32 v1, 1
	s_and_saveexec_b64 s[68:69], s[28:29]
	s_cbranch_execz .LBB2_1358
; %bb.1355:                             ;   in Loop: Header=BB2_1275 Depth=4
	v_bfe_u32 v21, v8, 24, 7
	v_cmp_ne_u32_e64 s[28:29], s92, v21
	v_mov_b32_e32 v1, 0x7f800001
	s_and_saveexec_b64 s[70:71], s[28:29]
	s_cbranch_execz .LBB2_1357
; %bb.1356:                             ;   in Loop: Header=BB2_1275 Depth=4
	v_and_b32_e32 v1, 7, v20
	v_ffbh_u32_e32 v31, v1
	v_min_u32_e32 v31, 32, v31
	v_subrev_u32_e32 v32, 28, v31
	v_lshlrev_b64 v[32:33], v32, v[20:21]
	v_lshrrev_b32_e32 v22, 3, v21
	v_sub_u32_e32 v31, 29, v31
	v_and_b32_e32 v32, 7, v32
	v_cmp_gt_u32_e64 s[28:29], 8, v21
	v_cndmask_b32_e64 v21, v22, v31, s[28:29]
	v_cndmask_b32_e64 v1, v1, v32, s[28:29]
	v_lshlrev_b32_e32 v20, 24, v20
	v_lshlrev_b32_e32 v1, 20, v1
	v_and_b32_e32 v20, 0x80000000, v20
	v_lshl_add_u32 v21, v21, 23, v0
	v_or3_b32 v1, v20, v21, v1
.LBB2_1357:                             ;   in Loop: Header=BB2_1275 Depth=4
	s_or_b64 exec, exec, s[70:71]
.LBB2_1358:                             ;   in Loop: Header=BB2_1275 Depth=4
	s_or_b64 exec, exec, s[68:69]
.LBB2_1359:                             ;   in Loop: Header=BB2_1275 Depth=4
	s_or_b64 exec, exec, s[30:31]
	v_add_f32_e32 v3, v3, v1
	v_and_b32_sdwa v1, v3, s91 dst_sel:DWORD dst_unused:UNUSED_PAD src0_sel:BYTE_3 src1_sel:DWORD
	v_and_b32_e32 v20, 0x7f800000, v3
	v_mov_b32_e32 v21, v61
	v_and_b32_e32 v60, 0x7fffff, v3
	v_or_b32_e32 v36, 0x7e, v1
	v_cmp_ne_u64_e64 s[28:29], s[54:55], v[20:21]
	s_and_saveexec_b64 s[30:31], s[28:29]
	s_xor_b64 s[68:69], exec, s[30:31]
	s_cbranch_execz .LBB2_1369
; %bb.1360:                             ;   in Loop: Header=BB2_1275 Depth=4
	v_and_b32_e32 v20, 0x7fffffff, v3
	v_mov_b32_e32 v21, v61
	v_cmp_gt_u64_e64 s[28:29], s[56:57], v[20:21]
	s_and_saveexec_b64 s[70:71], s[28:29]
	s_cbranch_execz .LBB2_1368
; %bb.1361:                             ;   in Loop: Header=BB2_1275 Depth=4
	v_cmp_ne_u32_e64 s[28:29], 0, v3
	v_mov_b32_e32 v36, 0
	s_and_saveexec_b64 s[72:73], s[28:29]
	s_cbranch_execz .LBB2_1367
; %bb.1362:                             ;   in Loop: Header=BB2_1275 Depth=4
	v_bfe_u32 v3, v3, 23, 8
	v_sub_u32_e32 v21, 0x79, v3
	v_cmp_gt_u32_e64 s[28:29], s93, v3
	v_add_u32_e32 v20, 0xffffff81, v3
	v_cndmask_b32_e64 v21, 0, v21, s[28:29]
	v_cmp_eq_u32_e64 s[28:29], 0, v3
	v_mov_b32_e32 v3, 0xffffff82
	v_cndmask_b32_e64 v3, v20, v3, s[28:29]
	v_mov_b32_e32 v20, 0x78
	v_or_b32_e32 v22, 0x800000, v60
	v_cndmask_b32_e64 v31, v21, v20, s[28:29]
	v_cndmask_b32_e64 v60, v22, v60, s[28:29]
	v_add_u32_e32 v20, 20, v31
	v_lshlrev_b64 v[20:21], v20, -1
	v_add_u32_e32 v22, 19, v31
	v_lshrrev_b64 v[34:35], v31, v[60:61]
	v_not_b32_e32 v21, v21
	v_not_b32_e32 v20, v20
	v_lshlrev_b64 v[32:33], v22, 1
	v_lshrrev_b32_e32 v22, 23, v34
	v_and_b32_e32 v21, 0, v21
	v_and_b32_e32 v20, v60, v20
	v_add3_u32 v31, v31, v3, v22
	v_bfe_u32 v3, v34, 20, 1
	v_add_u32_e32 v3, -1, v3
	v_cmp_eq_u64_e64 s[28:29], v[20:21], v[32:33]
	v_cndmask_b32_e64 v3, 0, v3, s[28:29]
	v_add_u32_e32 v3, v3, v34
	v_and_b32_e32 v3, 0xfffff, v3
	v_add_co_u32_e64 v20, s[28:29], v3, v34
	v_add_u32_e32 v22, 6, v31
	v_addc_co_u32_e64 v21, s[28:29], 0, v35, s[28:29]
	v_cmp_ne_u32_e64 s[28:29], 0, v22
                                        ; implicit-def: $vgpr3
	s_and_saveexec_b64 s[30:31], s[28:29]
	s_xor_b64 s[30:31], exec, s[30:31]
; %bb.1363:                             ;   in Loop: Header=BB2_1275 Depth=4
	v_add_u32_e32 v3, 7, v31
	v_cmp_lt_u64_e64 s[28:29], s[58:59], v[20:21]
	v_cndmask_b32_e64 v3, v22, v3, s[28:29]
	v_cndmask_b32_e64 v22, 0, 1, s[28:29]
	v_lshrrev_b64 v[20:21], v22, v[20:21]
; %bb.1364:                             ;   in Loop: Header=BB2_1275 Depth=4
	s_andn2_saveexec_b64 s[28:29], s[30:31]
; %bb.1365:                             ;   in Loop: Header=BB2_1275 Depth=4
	v_bfe_u32 v3, v20, 23, 1
; %bb.1366:                             ;   in Loop: Header=BB2_1275 Depth=4
	s_or_b64 exec, exec, s[28:29]
	v_lshrrev_b64 v[20:21], 20, v[20:21]
	v_cmp_gt_i32_e64 s[28:29], 16, v3
	v_cndmask_b32_e64 v21, 0, v21, s[28:29]
	v_cndmask_b32_e64 v20, 7, v20, s[28:29]
	v_cmp_eq_u32_e64 s[28:29], 0, v3
	v_min_i32_e32 v3, 15, v3
	v_cmp_eq_u64_e64 s[30:31], 0, v[20:21]
	v_lshlrev_b32_e32 v3, 3, v3
	v_and_or_b32 v3, v20, 7, v3
	s_and_b64 s[28:29], s[28:29], s[30:31]
	v_cndmask_b32_e64 v3, v3, 0, s[28:29]
	v_or_b32_e32 v36, v3, v1
.LBB2_1367:                             ;   in Loop: Header=BB2_1275 Depth=4
	s_or_b64 exec, exec, s[72:73]
.LBB2_1368:                             ;   in Loop: Header=BB2_1275 Depth=4
	s_or_b64 exec, exec, s[70:71]
                                        ; implicit-def: $vgpr3
.LBB2_1369:                             ;   in Loop: Header=BB2_1275 Depth=4
	s_andn2_saveexec_b64 s[30:31], s[68:69]
; %bb.1370:                             ;   in Loop: Header=BB2_1275 Depth=4
	v_or_b32_sdwa v1, v3, s92 dst_sel:DWORD dst_unused:UNUSED_PAD src0_sel:BYTE_3 src1_sel:DWORD
	v_cmp_eq_u64_e64 s[28:29], 0, v[60:61]
	v_cndmask_b32_e64 v36, v1, v36, s[28:29]
; %bb.1371:                             ;   in Loop: Header=BB2_1275 Depth=4
	s_or_b64 exec, exec, s[30:31]
	v_mov_b32_e32 v60, v13
	v_cmp_ne_u16_sdwa s[28:29], v13, v61 src0_sel:BYTE_0 src1_sel:DWORD
	v_mov_b32_e32 v3, 0
	v_mov_b32_e32 v1, 0
	s_and_saveexec_b64 s[30:31], s[28:29]
	s_cbranch_execz .LBB2_1377
; %bb.1372:                             ;   in Loop: Header=BB2_1275 Depth=4
	v_cmp_ne_u16_sdwa s[28:29], v13, s91 src0_sel:BYTE_0 src1_sel:DWORD
	v_bfrev_b32_e32 v1, 1
	s_and_saveexec_b64 s[68:69], s[28:29]
	s_cbranch_execz .LBB2_1376
; %bb.1373:                             ;   in Loop: Header=BB2_1275 Depth=4
	v_and_b32_e32 v20, 0x7f, v13
	v_cmp_ne_u32_e64 s[28:29], s92, v20
	v_mov_b32_e32 v1, 0x7f800001
	s_and_saveexec_b64 s[70:71], s[28:29]
	s_cbranch_execz .LBB2_1375
; %bb.1374:                             ;   in Loop: Header=BB2_1275 Depth=4
	v_and_b32_e32 v1, 7, v13
	v_ffbh_u32_e32 v1, v1
	v_min_u32_e32 v1, 32, v1
	v_subrev_u32_e32 v22, 28, v1
	v_cmp_gt_u32_e64 s[28:29], 8, v20
	v_lshrrev_b32_e32 v21, 3, v20
	v_sub_u32_e32 v1, 29, v1
	v_cndmask_b32_e64 v20, 0, v22, s[28:29]
	v_cndmask_b32_e64 v1, v21, v1, s[28:29]
	v_lshlrev_b64 v[20:21], v20, v[60:61]
	v_lshlrev_b32_e32 v20, 20, v20
	v_lshlrev_b32_e32 v21, 24, v60
	v_and_b32_e32 v20, 0x700000, v20
	v_and_b32_e32 v21, 0x80000000, v21
	v_lshl_add_u32 v1, v1, 23, v0
	v_or3_b32 v1, v21, v1, v20
.LBB2_1375:                             ;   in Loop: Header=BB2_1275 Depth=4
	s_or_b64 exec, exec, s[70:71]
.LBB2_1376:                             ;   in Loop: Header=BB2_1275 Depth=4
	s_or_b64 exec, exec, s[68:69]
.LBB2_1377:                             ;   in Loop: Header=BB2_1275 Depth=4
	s_or_b64 exec, exec, s[30:31]
	v_cmp_ne_u16_sdwa s[28:29], v9, v61 src0_sel:BYTE_0 src1_sel:DWORD
	s_and_saveexec_b64 s[30:31], s[28:29]
	s_cbranch_execz .LBB2_1383
; %bb.1378:                             ;   in Loop: Header=BB2_1275 Depth=4
	v_cmp_ne_u16_sdwa s[28:29], v9, s91 src0_sel:BYTE_0 src1_sel:DWORD
	v_bfrev_b32_e32 v3, 1
	s_and_saveexec_b64 s[68:69], s[28:29]
	s_cbranch_execz .LBB2_1382
; %bb.1379:                             ;   in Loop: Header=BB2_1275 Depth=4
	v_and_b32_e32 v20, 0x7f, v9
	v_cmp_ne_u32_e64 s[28:29], s92, v20
	v_mov_b32_e32 v3, 0x7f800001
	s_and_saveexec_b64 s[70:71], s[28:29]
	s_cbranch_execz .LBB2_1381
; %bb.1380:                             ;   in Loop: Header=BB2_1275 Depth=4
	v_and_b32_e32 v3, 7, v9
	v_ffbh_u32_e32 v3, v3
	v_min_u32_e32 v3, 32, v3
	v_subrev_u32_e32 v22, 28, v3
	v_cmp_gt_u32_e64 s[28:29], 8, v20
	v_mov_b32_e32 v32, v9
	v_mov_b32_e32 v33, v61
	v_lshrrev_b32_e32 v21, 3, v20
	v_sub_u32_e32 v3, 29, v3
	v_cndmask_b32_e64 v20, 0, v22, s[28:29]
	v_cndmask_b32_e64 v3, v21, v3, s[28:29]
	v_lshlrev_b64 v[20:21], v20, v[32:33]
	v_lshlrev_b32_e32 v20, 20, v20
	v_lshlrev_b32_e32 v21, 24, v32
	v_and_b32_e32 v20, 0x700000, v20
	v_and_b32_e32 v21, 0x80000000, v21
	v_lshl_add_u32 v3, v3, 23, v0
	v_or3_b32 v3, v21, v3, v20
.LBB2_1381:                             ;   in Loop: Header=BB2_1275 Depth=4
	s_or_b64 exec, exec, s[70:71]
.LBB2_1382:                             ;   in Loop: Header=BB2_1275 Depth=4
	s_or_b64 exec, exec, s[68:69]
.LBB2_1383:                             ;   in Loop: Header=BB2_1275 Depth=4
	s_or_b64 exec, exec, s[30:31]
	v_add_f32_e32 v3, v1, v3
	v_and_b32_sdwa v1, v3, s91 dst_sel:DWORD dst_unused:UNUSED_PAD src0_sel:BYTE_3 src1_sel:DWORD
	v_and_b32_e32 v32, 0x7f800000, v3
	v_mov_b32_e32 v33, v61
	v_and_b32_e32 v20, 0x7fffff, v3
	v_mov_b32_e32 v21, v61
	v_or_b32_e32 v31, 0x7e, v1
	v_cmp_ne_u64_e64 s[28:29], s[54:55], v[32:33]
	s_and_saveexec_b64 s[30:31], s[28:29]
	s_xor_b64 s[68:69], exec, s[30:31]
	s_cbranch_execz .LBB2_1393
; %bb.1384:                             ;   in Loop: Header=BB2_1275 Depth=4
	v_and_b32_e32 v32, 0x7fffffff, v3
	v_mov_b32_e32 v33, v61
	v_cmp_gt_u64_e64 s[28:29], s[56:57], v[32:33]
	s_and_saveexec_b64 s[70:71], s[28:29]
	s_cbranch_execz .LBB2_1392
; %bb.1385:                             ;   in Loop: Header=BB2_1275 Depth=4
	v_cmp_ne_u32_e64 s[28:29], 0, v3
	v_mov_b32_e32 v31, 0
	s_and_saveexec_b64 s[72:73], s[28:29]
	s_cbranch_execz .LBB2_1391
; %bb.1386:                             ;   in Loop: Header=BB2_1275 Depth=4
	v_bfe_u32 v3, v3, 23, 8
	v_sub_u32_e32 v31, 0x79, v3
	v_cmp_gt_u32_e64 s[28:29], s93, v3
	v_add_u32_e32 v22, 0xffffff81, v3
	v_cndmask_b32_e64 v31, 0, v31, s[28:29]
	v_cmp_eq_u32_e64 s[28:29], 0, v3
	v_mov_b32_e32 v3, 0xffffff82
	v_cndmask_b32_e64 v3, v22, v3, s[28:29]
	v_mov_b32_e32 v22, 0x78
	v_cndmask_b32_e64 v22, v31, v22, s[28:29]
	v_or_b32_e32 v32, 0x800000, v20
	v_add_u32_e32 v31, 20, v22
	v_cndmask_b32_e64 v20, v32, v20, s[28:29]
	v_lshlrev_b64 v[32:33], v31, -1
	v_not_b32_e32 v31, v33
	v_not_b32_e32 v32, v32
	v_and_b32_e32 v33, 0, v31
	v_and_b32_e32 v32, v20, v32
	v_add_u32_e32 v31, 19, v22
	v_lshrrev_b64 v[20:21], v22, v[20:21]
	v_lshlrev_b64 v[34:35], v31, 1
	v_lshrrev_b32_e32 v31, 23, v20
	v_add3_u32 v31, v22, v3, v31
	v_bfe_u32 v3, v20, 20, 1
	v_add_u32_e32 v3, -1, v3
	v_cmp_eq_u64_e64 s[28:29], v[32:33], v[34:35]
	v_cndmask_b32_e64 v3, 0, v3, s[28:29]
	v_add_u32_e32 v3, v3, v20
	v_and_b32_e32 v3, 0xfffff, v3
	v_add_co_u32_e64 v20, s[28:29], v3, v20
	v_add_u32_e32 v22, 6, v31
	v_addc_co_u32_e64 v21, s[28:29], 0, v21, s[28:29]
	v_cmp_ne_u32_e64 s[28:29], 0, v22
                                        ; implicit-def: $vgpr3
	s_and_saveexec_b64 s[30:31], s[28:29]
	s_xor_b64 s[30:31], exec, s[30:31]
; %bb.1387:                             ;   in Loop: Header=BB2_1275 Depth=4
	v_add_u32_e32 v3, 7, v31
	v_cmp_lt_u64_e64 s[28:29], s[58:59], v[20:21]
	v_cndmask_b32_e64 v3, v22, v3, s[28:29]
	v_cndmask_b32_e64 v22, 0, 1, s[28:29]
	v_lshrrev_b64 v[20:21], v22, v[20:21]
; %bb.1388:                             ;   in Loop: Header=BB2_1275 Depth=4
	s_andn2_saveexec_b64 s[28:29], s[30:31]
; %bb.1389:                             ;   in Loop: Header=BB2_1275 Depth=4
	v_bfe_u32 v3, v20, 23, 1
; %bb.1390:                             ;   in Loop: Header=BB2_1275 Depth=4
	s_or_b64 exec, exec, s[28:29]
	v_lshrrev_b64 v[20:21], 20, v[20:21]
	v_cmp_gt_i32_e64 s[28:29], 16, v3
	v_cndmask_b32_e64 v21, 0, v21, s[28:29]
	v_cndmask_b32_e64 v20, 7, v20, s[28:29]
	v_cmp_eq_u32_e64 s[28:29], 0, v3
	v_min_i32_e32 v3, 15, v3
	v_cmp_eq_u64_e64 s[30:31], 0, v[20:21]
	v_lshlrev_b32_e32 v3, 3, v3
	v_and_or_b32 v3, v20, 7, v3
	s_and_b64 s[28:29], s[28:29], s[30:31]
	v_cndmask_b32_e64 v3, v3, 0, s[28:29]
	v_or_b32_e32 v31, v3, v1
.LBB2_1391:                             ;   in Loop: Header=BB2_1275 Depth=4
	s_or_b64 exec, exec, s[72:73]
.LBB2_1392:                             ;   in Loop: Header=BB2_1275 Depth=4
	s_or_b64 exec, exec, s[70:71]
                                        ; implicit-def: $vgpr3
                                        ; implicit-def: $vgpr20_vgpr21
.LBB2_1393:                             ;   in Loop: Header=BB2_1275 Depth=4
	s_andn2_saveexec_b64 s[30:31], s[68:69]
; %bb.1394:                             ;   in Loop: Header=BB2_1275 Depth=4
	v_or_b32_sdwa v1, v3, s92 dst_sel:DWORD dst_unused:UNUSED_PAD src0_sel:BYTE_3 src1_sel:DWORD
	v_cmp_eq_u64_e64 s[28:29], 0, v[20:21]
	v_cndmask_b32_e64 v31, v1, v31, s[28:29]
; %bb.1395:                             ;   in Loop: Header=BB2_1275 Depth=4
	s_or_b64 exec, exec, s[30:31]
	v_lshrrev_b16_e32 v20, 8, v60
	v_cmp_ne_u16_e64 s[28:29], 0, v20
	v_mov_b32_e32 v1, 0
	v_mov_b32_e32 v3, 0
	s_and_saveexec_b64 s[30:31], s[28:29]
	s_cbranch_execz .LBB2_1401
; %bb.1396:                             ;   in Loop: Header=BB2_1275 Depth=4
	v_cmp_ne_u16_e64 s[28:29], s91, v20
	v_bfrev_b32_e32 v3, 1
	s_and_saveexec_b64 s[68:69], s[28:29]
	s_cbranch_execz .LBB2_1400
; %bb.1397:                             ;   in Loop: Header=BB2_1275 Depth=4
	v_and_b32_e32 v21, 0x7f, v20
	v_cmp_ne_u32_e64 s[28:29], s92, v21
	v_mov_b32_e32 v3, 0x7f800001
	s_and_saveexec_b64 s[70:71], s[28:29]
	s_cbranch_execz .LBB2_1399
; %bb.1398:                             ;   in Loop: Header=BB2_1275 Depth=4
	v_and_b32_e32 v3, 7, v20
	v_ffbh_u32_e32 v32, v3
	v_min_u32_e32 v34, 32, v32
	v_subrev_u32_e32 v32, 28, v34
	v_lshlrev_b64 v[32:33], v32, v[20:21]
	v_lshrrev_b32_e32 v22, 3, v21
	v_sub_u32_e32 v20, 29, v34
	v_and_b32_e32 v32, 7, v32
	v_cmp_gt_u32_e64 s[28:29], 8, v21
	v_cndmask_b32_e64 v20, v22, v20, s[28:29]
	v_cndmask_b32_e64 v3, v3, v32, s[28:29]
	v_lshlrev_b32_e32 v21, 16, v60
	v_lshlrev_b32_e32 v3, 20, v3
	v_and_b32_e32 v21, 0x80000000, v21
	v_lshl_add_u32 v20, v20, 23, v0
	v_or3_b32 v3, v21, v20, v3
.LBB2_1399:                             ;   in Loop: Header=BB2_1275 Depth=4
	s_or_b64 exec, exec, s[70:71]
.LBB2_1400:                             ;   in Loop: Header=BB2_1275 Depth=4
	s_or_b64 exec, exec, s[68:69]
.LBB2_1401:                             ;   in Loop: Header=BB2_1275 Depth=4
	s_or_b64 exec, exec, s[30:31]
	v_mov_b32_e32 v20, v9
	v_lshrrev_b16_e32 v22, 8, v20
	v_cmp_ne_u16_e64 s[28:29], 0, v22
	s_and_saveexec_b64 s[30:31], s[28:29]
	s_cbranch_execz .LBB2_1407
; %bb.1402:                             ;   in Loop: Header=BB2_1275 Depth=4
	v_cmp_ne_u16_e64 s[28:29], s91, v22
	v_bfrev_b32_e32 v1, 1
	s_and_saveexec_b64 s[68:69], s[28:29]
	s_cbranch_execz .LBB2_1406
; %bb.1403:                             ;   in Loop: Header=BB2_1275 Depth=4
	v_and_b32_e32 v21, 0x7f, v22
	v_cmp_ne_u32_e64 s[28:29], s92, v21
	v_mov_b32_e32 v1, 0x7f800001
	s_and_saveexec_b64 s[70:71], s[28:29]
	s_cbranch_execz .LBB2_1405
; %bb.1404:                             ;   in Loop: Header=BB2_1275 Depth=4
	v_and_b32_e32 v1, 7, v22
	v_ffbh_u32_e32 v32, v1
	v_min_u32_e32 v35, 32, v32
	v_subrev_u32_e32 v32, 28, v35
	v_lshlrev_b64 v[32:33], v32, v[22:23]
	v_lshrrev_b32_e32 v34, 3, v21
	v_sub_u32_e32 v22, 29, v35
	v_and_b32_e32 v32, 7, v32
	v_cmp_gt_u32_e64 s[28:29], 8, v21
	v_cndmask_b32_e64 v21, v34, v22, s[28:29]
	v_cndmask_b32_e64 v1, v1, v32, s[28:29]
	v_lshlrev_b32_e32 v20, 16, v20
	v_lshlrev_b32_e32 v1, 20, v1
	v_and_b32_e32 v20, 0x80000000, v20
	v_lshl_add_u32 v21, v21, 23, v0
	v_or3_b32 v1, v20, v21, v1
.LBB2_1405:                             ;   in Loop: Header=BB2_1275 Depth=4
	s_or_b64 exec, exec, s[70:71]
.LBB2_1406:                             ;   in Loop: Header=BB2_1275 Depth=4
	s_or_b64 exec, exec, s[68:69]
.LBB2_1407:                             ;   in Loop: Header=BB2_1275 Depth=4
	s_or_b64 exec, exec, s[30:31]
	v_add_f32_e32 v3, v3, v1
	v_and_b32_sdwa v1, v3, s91 dst_sel:DWORD dst_unused:UNUSED_PAD src0_sel:BYTE_3 src1_sel:DWORD
	v_and_b32_e32 v20, 0x7f800000, v3
	v_mov_b32_e32 v21, v61
	v_and_b32_e32 v60, 0x7fffff, v3
	v_or_b32_e32 v22, 0x7e, v1
	v_cmp_ne_u64_e64 s[28:29], s[54:55], v[20:21]
	s_and_saveexec_b64 s[30:31], s[28:29]
	s_xor_b64 s[68:69], exec, s[30:31]
	s_cbranch_execz .LBB2_1417
; %bb.1408:                             ;   in Loop: Header=BB2_1275 Depth=4
	v_and_b32_e32 v20, 0x7fffffff, v3
	v_mov_b32_e32 v21, v61
	v_cmp_gt_u64_e64 s[28:29], s[56:57], v[20:21]
	s_and_saveexec_b64 s[70:71], s[28:29]
	s_cbranch_execz .LBB2_1416
; %bb.1409:                             ;   in Loop: Header=BB2_1275 Depth=4
	v_cmp_ne_u32_e64 s[28:29], 0, v3
	v_mov_b32_e32 v22, 0
	s_and_saveexec_b64 s[72:73], s[28:29]
	s_cbranch_execz .LBB2_1415
; %bb.1410:                             ;   in Loop: Header=BB2_1275 Depth=4
	v_bfe_u32 v3, v3, 23, 8
	v_sub_u32_e32 v21, 0x79, v3
	v_cmp_gt_u32_e64 s[28:29], s93, v3
	v_add_u32_e32 v20, 0xffffff81, v3
	v_cndmask_b32_e64 v21, 0, v21, s[28:29]
	v_cmp_eq_u32_e64 s[28:29], 0, v3
	v_mov_b32_e32 v3, 0xffffff82
	v_cndmask_b32_e64 v3, v20, v3, s[28:29]
	v_mov_b32_e32 v20, 0x78
	v_or_b32_e32 v22, 0x800000, v60
	v_cndmask_b32_e64 v37, v21, v20, s[28:29]
	v_cndmask_b32_e64 v60, v22, v60, s[28:29]
	v_add_u32_e32 v20, 20, v37
	v_lshlrev_b64 v[20:21], v20, -1
	v_add_u32_e32 v22, 19, v37
	v_lshrrev_b64 v[34:35], v37, v[60:61]
	v_not_b32_e32 v21, v21
	v_not_b32_e32 v20, v20
	v_lshlrev_b64 v[32:33], v22, 1
	v_lshrrev_b32_e32 v22, 23, v34
	v_and_b32_e32 v21, 0, v21
	v_and_b32_e32 v20, v60, v20
	v_add3_u32 v37, v37, v3, v22
	v_bfe_u32 v3, v34, 20, 1
	v_add_u32_e32 v3, -1, v3
	v_cmp_eq_u64_e64 s[28:29], v[20:21], v[32:33]
	v_cndmask_b32_e64 v3, 0, v3, s[28:29]
	v_add_u32_e32 v3, v3, v34
	v_and_b32_e32 v3, 0xfffff, v3
	v_add_co_u32_e64 v20, s[28:29], v3, v34
	v_add_u32_e32 v22, 6, v37
	v_addc_co_u32_e64 v21, s[28:29], 0, v35, s[28:29]
	v_cmp_ne_u32_e64 s[28:29], 0, v22
                                        ; implicit-def: $vgpr3
	s_and_saveexec_b64 s[30:31], s[28:29]
	s_xor_b64 s[30:31], exec, s[30:31]
; %bb.1411:                             ;   in Loop: Header=BB2_1275 Depth=4
	v_add_u32_e32 v3, 7, v37
	v_cmp_lt_u64_e64 s[28:29], s[58:59], v[20:21]
	v_cndmask_b32_e64 v3, v22, v3, s[28:29]
	v_cndmask_b32_e64 v22, 0, 1, s[28:29]
	v_lshrrev_b64 v[20:21], v22, v[20:21]
; %bb.1412:                             ;   in Loop: Header=BB2_1275 Depth=4
	s_andn2_saveexec_b64 s[28:29], s[30:31]
; %bb.1413:                             ;   in Loop: Header=BB2_1275 Depth=4
	v_bfe_u32 v3, v20, 23, 1
; %bb.1414:                             ;   in Loop: Header=BB2_1275 Depth=4
	s_or_b64 exec, exec, s[28:29]
	v_lshrrev_b64 v[20:21], 20, v[20:21]
	v_cmp_gt_i32_e64 s[28:29], 16, v3
	v_cndmask_b32_e64 v21, 0, v21, s[28:29]
	v_cndmask_b32_e64 v20, 7, v20, s[28:29]
	v_cmp_eq_u32_e64 s[28:29], 0, v3
	v_min_i32_e32 v3, 15, v3
	v_cmp_eq_u64_e64 s[30:31], 0, v[20:21]
	v_lshlrev_b32_e32 v3, 3, v3
	v_and_or_b32 v3, v20, 7, v3
	s_and_b64 s[28:29], s[28:29], s[30:31]
	v_cndmask_b32_e64 v3, v3, 0, s[28:29]
	v_or_b32_e32 v22, v3, v1
.LBB2_1415:                             ;   in Loop: Header=BB2_1275 Depth=4
	s_or_b64 exec, exec, s[72:73]
.LBB2_1416:                             ;   in Loop: Header=BB2_1275 Depth=4
	s_or_b64 exec, exec, s[70:71]
                                        ; implicit-def: $vgpr3
.LBB2_1417:                             ;   in Loop: Header=BB2_1275 Depth=4
	s_andn2_saveexec_b64 s[30:31], s[68:69]
; %bb.1418:                             ;   in Loop: Header=BB2_1275 Depth=4
	v_or_b32_sdwa v1, v3, s92 dst_sel:DWORD dst_unused:UNUSED_PAD src0_sel:BYTE_3 src1_sel:DWORD
	v_cmp_eq_u64_e64 s[28:29], 0, v[60:61]
	v_cndmask_b32_e64 v22, v1, v22, s[28:29]
; %bb.1419:                             ;   in Loop: Header=BB2_1275 Depth=4
	s_or_b64 exec, exec, s[30:31]
	v_lshrrev_b32_e32 v20, 16, v13
	v_cmp_ne_u16_sdwa s[28:29], v20, v61 src0_sel:BYTE_0 src1_sel:DWORD
	v_mov_b32_e32 v1, 0
	v_mov_b32_e32 v3, 0
	s_and_saveexec_b64 s[30:31], s[28:29]
	s_cbranch_execz .LBB2_1425
; %bb.1420:                             ;   in Loop: Header=BB2_1275 Depth=4
	v_cmp_ne_u16_sdwa s[28:29], v20, s91 src0_sel:BYTE_0 src1_sel:DWORD
	v_bfrev_b32_e32 v3, 1
	s_and_saveexec_b64 s[68:69], s[28:29]
	s_cbranch_execz .LBB2_1424
; %bb.1421:                             ;   in Loop: Header=BB2_1275 Depth=4
	v_bfe_u32 v21, v13, 16, 7
	v_cmp_ne_u32_e64 s[28:29], s92, v21
	v_mov_b32_e32 v3, 0x7f800001
	s_and_saveexec_b64 s[70:71], s[28:29]
	s_cbranch_execz .LBB2_1423
; %bb.1422:                             ;   in Loop: Header=BB2_1275 Depth=4
	v_and_b32_e32 v3, 7, v20
	v_ffbh_u32_e32 v32, v3
	v_min_u32_e32 v35, 32, v32
	v_subrev_u32_e32 v32, 28, v35
	v_lshlrev_b64 v[32:33], v32, v[20:21]
	v_lshrrev_b32_e32 v34, 3, v21
	v_sub_u32_e32 v33, 29, v35
	v_and_b32_e32 v32, 7, v32
	v_cmp_gt_u32_e64 s[28:29], 8, v21
	v_cndmask_b32_e64 v21, v34, v33, s[28:29]
	v_cndmask_b32_e64 v3, v3, v32, s[28:29]
	v_lshlrev_b32_e32 v20, 24, v20
	v_lshlrev_b32_e32 v3, 20, v3
	v_and_b32_e32 v20, 0x80000000, v20
	v_lshl_add_u32 v21, v21, 23, v0
	v_or3_b32 v3, v20, v21, v3
.LBB2_1423:                             ;   in Loop: Header=BB2_1275 Depth=4
	s_or_b64 exec, exec, s[70:71]
.LBB2_1424:                             ;   in Loop: Header=BB2_1275 Depth=4
	s_or_b64 exec, exec, s[68:69]
.LBB2_1425:                             ;   in Loop: Header=BB2_1275 Depth=4
	s_or_b64 exec, exec, s[30:31]
	v_lshrrev_b32_e32 v20, 16, v9
	v_cmp_ne_u16_sdwa s[28:29], v20, v61 src0_sel:BYTE_0 src1_sel:DWORD
	s_and_saveexec_b64 s[30:31], s[28:29]
	s_cbranch_execz .LBB2_1431
; %bb.1426:                             ;   in Loop: Header=BB2_1275 Depth=4
	v_cmp_ne_u16_sdwa s[28:29], v20, s91 src0_sel:BYTE_0 src1_sel:DWORD
	v_bfrev_b32_e32 v1, 1
	s_and_saveexec_b64 s[68:69], s[28:29]
	s_cbranch_execz .LBB2_1430
; %bb.1427:                             ;   in Loop: Header=BB2_1275 Depth=4
	v_bfe_u32 v21, v9, 16, 7
	v_cmp_ne_u32_e64 s[28:29], s92, v21
	v_mov_b32_e32 v1, 0x7f800001
	s_and_saveexec_b64 s[70:71], s[28:29]
	s_cbranch_execz .LBB2_1429
; %bb.1428:                             ;   in Loop: Header=BB2_1275 Depth=4
	v_and_b32_e32 v1, 7, v20
	v_ffbh_u32_e32 v32, v1
	v_min_u32_e32 v35, 32, v32
	v_subrev_u32_e32 v32, 28, v35
	v_lshlrev_b64 v[32:33], v32, v[20:21]
	v_lshrrev_b32_e32 v34, 3, v21
	v_sub_u32_e32 v20, 29, v35
	v_and_b32_e32 v32, 7, v32
	v_cmp_gt_u32_e64 s[28:29], 8, v21
	v_cndmask_b32_e64 v20, v34, v20, s[28:29]
	v_cndmask_b32_e64 v1, v1, v32, s[28:29]
	v_lshlrev_b32_e32 v21, 8, v9
	v_lshlrev_b32_e32 v1, 20, v1
	v_and_b32_e32 v21, 0x80000000, v21
	v_lshl_add_u32 v20, v20, 23, v0
	v_or3_b32 v1, v21, v20, v1
.LBB2_1429:                             ;   in Loop: Header=BB2_1275 Depth=4
	s_or_b64 exec, exec, s[70:71]
.LBB2_1430:                             ;   in Loop: Header=BB2_1275 Depth=4
	s_or_b64 exec, exec, s[68:69]
.LBB2_1431:                             ;   in Loop: Header=BB2_1275 Depth=4
	s_or_b64 exec, exec, s[30:31]
	v_add_f32_e32 v3, v3, v1
	v_and_b32_sdwa v1, v3, s91 dst_sel:DWORD dst_unused:UNUSED_PAD src0_sel:BYTE_3 src1_sel:DWORD
	v_and_b32_e32 v32, 0x7f800000, v3
	v_mov_b32_e32 v33, v61
	v_and_b32_e32 v60, 0x7fffff, v3
	v_or_b32_e32 v20, 0x7e, v1
	v_cmp_ne_u64_e64 s[28:29], s[54:55], v[32:33]
	s_and_saveexec_b64 s[30:31], s[28:29]
	s_xor_b64 s[68:69], exec, s[30:31]
	s_cbranch_execz .LBB2_1441
; %bb.1432:                             ;   in Loop: Header=BB2_1275 Depth=4
	v_and_b32_e32 v32, 0x7fffffff, v3
	v_mov_b32_e32 v33, v61
	v_cmp_gt_u64_e64 s[28:29], s[56:57], v[32:33]
	s_and_saveexec_b64 s[70:71], s[28:29]
	s_cbranch_execz .LBB2_1440
; %bb.1433:                             ;   in Loop: Header=BB2_1275 Depth=4
	v_cmp_ne_u32_e64 s[28:29], 0, v3
	v_mov_b32_e32 v20, 0
	s_and_saveexec_b64 s[72:73], s[28:29]
	s_cbranch_execz .LBB2_1439
; %bb.1434:                             ;   in Loop: Header=BB2_1275 Depth=4
	v_bfe_u32 v3, v3, 23, 8
	v_sub_u32_e32 v21, 0x79, v3
	v_cmp_gt_u32_e64 s[28:29], s93, v3
	v_add_u32_e32 v20, 0xffffff81, v3
	v_cndmask_b32_e64 v21, 0, v21, s[28:29]
	v_cmp_eq_u32_e64 s[28:29], 0, v3
	v_mov_b32_e32 v3, 0xffffff82
	v_cndmask_b32_e64 v3, v20, v3, s[28:29]
	v_mov_b32_e32 v20, 0x78
	v_or_b32_e32 v32, 0x800000, v60
	v_cndmask_b32_e64 v37, v21, v20, s[28:29]
	v_cndmask_b32_e64 v60, v32, v60, s[28:29]
	v_add_u32_e32 v20, 20, v37
	v_lshlrev_b64 v[20:21], v20, -1
	v_lshrrev_b64 v[34:35], v37, v[60:61]
	v_not_b32_e32 v21, v21
	v_not_b32_e32 v20, v20
	v_add_u32_e32 v32, 19, v37
	v_lshrrev_b32_e32 v38, 23, v34
	v_and_b32_e32 v21, 0, v21
	v_and_b32_e32 v20, v60, v20
	v_lshlrev_b64 v[32:33], v32, 1
	v_add3_u32 v38, v37, v3, v38
	v_bfe_u32 v3, v34, 20, 1
	v_add_u32_e32 v3, -1, v3
	v_cmp_eq_u64_e64 s[28:29], v[20:21], v[32:33]
	v_cndmask_b32_e64 v3, 0, v3, s[28:29]
	v_add_u32_e32 v3, v3, v34
	v_and_b32_e32 v3, 0xfffff, v3
	v_add_co_u32_e64 v20, s[28:29], v3, v34
	v_add_u32_e32 v37, 6, v38
	v_addc_co_u32_e64 v21, s[28:29], 0, v35, s[28:29]
	v_cmp_ne_u32_e64 s[28:29], 0, v37
                                        ; implicit-def: $vgpr3
	s_and_saveexec_b64 s[30:31], s[28:29]
	s_xor_b64 s[30:31], exec, s[30:31]
; %bb.1435:                             ;   in Loop: Header=BB2_1275 Depth=4
	v_cmp_lt_u64_e64 s[28:29], s[58:59], v[20:21]
	v_add_u32_e32 v3, 7, v38
	v_cndmask_b32_e64 v32, 0, 1, s[28:29]
	v_cndmask_b32_e64 v3, v37, v3, s[28:29]
	v_lshrrev_b64 v[20:21], v32, v[20:21]
; %bb.1436:                             ;   in Loop: Header=BB2_1275 Depth=4
	s_andn2_saveexec_b64 s[28:29], s[30:31]
; %bb.1437:                             ;   in Loop: Header=BB2_1275 Depth=4
	v_bfe_u32 v3, v20, 23, 1
; %bb.1438:                             ;   in Loop: Header=BB2_1275 Depth=4
	s_or_b64 exec, exec, s[28:29]
	v_lshrrev_b64 v[20:21], 20, v[20:21]
	v_cmp_gt_i32_e64 s[28:29], 16, v3
	v_cndmask_b32_e64 v21, 0, v21, s[28:29]
	v_cndmask_b32_e64 v20, 7, v20, s[28:29]
	v_cmp_eq_u32_e64 s[28:29], 0, v3
	v_min_i32_e32 v3, 15, v3
	v_lshlrev_b32_e32 v3, 3, v3
	v_cmp_eq_u64_e64 s[30:31], 0, v[20:21]
	v_and_b32_e32 v3, 0xf8, v3
	v_and_or_b32 v3, v20, 7, v3
	s_and_b64 s[28:29], s[28:29], s[30:31]
	v_cndmask_b32_e64 v3, v3, 0, s[28:29]
	v_or_b32_e32 v20, v3, v1
.LBB2_1439:                             ;   in Loop: Header=BB2_1275 Depth=4
	s_or_b64 exec, exec, s[72:73]
.LBB2_1440:                             ;   in Loop: Header=BB2_1275 Depth=4
	s_or_b64 exec, exec, s[70:71]
                                        ; implicit-def: $vgpr3
.LBB2_1441:                             ;   in Loop: Header=BB2_1275 Depth=4
	s_andn2_saveexec_b64 s[30:31], s[68:69]
; %bb.1442:                             ;   in Loop: Header=BB2_1275 Depth=4
	v_or_b32_sdwa v1, v3, s92 dst_sel:DWORD dst_unused:UNUSED_PAD src0_sel:BYTE_3 src1_sel:DWORD
	v_cmp_eq_u64_e64 s[28:29], 0, v[60:61]
	v_cndmask_b32_e64 v20, v1, v20, s[28:29]
; %bb.1443:                             ;   in Loop: Header=BB2_1275 Depth=4
	s_or_b64 exec, exec, s[30:31]
	v_cmp_lt_u64_e64 s[28:29], s[44:45], v[12:13]
	v_mov_b32_e32 v1, 0
	v_mov_b32_e32 v3, 0
	s_and_saveexec_b64 s[30:31], s[28:29]
	s_cbranch_execz .LBB2_1449
; %bb.1444:                             ;   in Loop: Header=BB2_1275 Depth=4
	v_lshrrev_b32_e32 v12, 24, v13
	v_cmp_ne_u32_e64 s[28:29], s91, v12
	v_bfrev_b32_e32 v3, 1
	s_and_saveexec_b64 s[68:69], s[28:29]
	s_cbranch_execz .LBB2_1448
; %bb.1445:                             ;   in Loop: Header=BB2_1275 Depth=4
	v_bfe_u32 v13, v13, 24, 7
	v_cmp_ne_u32_e64 s[28:29], s92, v13
	v_mov_b32_e32 v3, 0x7f800001
	s_and_saveexec_b64 s[70:71], s[28:29]
	s_cbranch_execz .LBB2_1447
; %bb.1446:                             ;   in Loop: Header=BB2_1275 Depth=4
	v_and_b32_e32 v3, 7, v12
	v_ffbh_u32_e32 v32, v3
	v_min_u32_e32 v34, 32, v32
	v_subrev_u32_e32 v32, 28, v34
	v_lshlrev_b64 v[32:33], v32, v[12:13]
	v_lshrrev_b32_e32 v21, 3, v13
	v_sub_u32_e32 v33, 29, v34
	v_and_b32_e32 v32, 7, v32
	v_cmp_gt_u32_e64 s[28:29], 8, v13
	v_cndmask_b32_e64 v13, v21, v33, s[28:29]
	v_cndmask_b32_e64 v3, v3, v32, s[28:29]
	v_lshlrev_b32_e32 v12, 24, v12
	v_lshlrev_b32_e32 v3, 20, v3
	v_and_b32_e32 v12, 0x80000000, v12
	v_lshl_add_u32 v13, v13, 23, v0
	v_or3_b32 v3, v12, v13, v3
.LBB2_1447:                             ;   in Loop: Header=BB2_1275 Depth=4
	s_or_b64 exec, exec, s[70:71]
.LBB2_1448:                             ;   in Loop: Header=BB2_1275 Depth=4
	s_or_b64 exec, exec, s[68:69]
.LBB2_1449:                             ;   in Loop: Header=BB2_1275 Depth=4
	s_or_b64 exec, exec, s[30:31]
	v_cmp_lt_u64_e64 s[28:29], s[44:45], v[8:9]
	s_and_saveexec_b64 s[30:31], s[28:29]
	s_cbranch_execz .LBB2_1455
; %bb.1450:                             ;   in Loop: Header=BB2_1275 Depth=4
	v_lshrrev_b32_e32 v8, 24, v9
	v_cmp_ne_u32_e64 s[28:29], s91, v8
	v_bfrev_b32_e32 v1, 1
	s_and_saveexec_b64 s[68:69], s[28:29]
	s_cbranch_execz .LBB2_1454
; %bb.1451:                             ;   in Loop: Header=BB2_1275 Depth=4
	v_bfe_u32 v9, v9, 24, 7
	v_cmp_ne_u32_e64 s[28:29], s92, v9
	v_mov_b32_e32 v1, 0x7f800001
	s_and_saveexec_b64 s[70:71], s[28:29]
	s_cbranch_execz .LBB2_1453
; %bb.1452:                             ;   in Loop: Header=BB2_1275 Depth=4
	v_and_b32_e32 v1, 7, v8
	v_ffbh_u32_e32 v12, v1
	v_min_u32_e32 v32, 32, v12
	v_subrev_u32_e32 v12, 28, v32
	v_lshlrev_b64 v[12:13], v12, v[8:9]
	v_lshrrev_b32_e32 v21, 3, v9
	v_sub_u32_e32 v13, 29, v32
	v_and_b32_e32 v12, 7, v12
	v_cmp_gt_u32_e64 s[28:29], 8, v9
	v_cndmask_b32_e64 v9, v21, v13, s[28:29]
	v_cndmask_b32_e64 v1, v1, v12, s[28:29]
	v_lshlrev_b32_e32 v8, 24, v8
	v_lshlrev_b32_e32 v1, 20, v1
	v_and_b32_e32 v8, 0x80000000, v8
	v_lshl_add_u32 v9, v9, 23, v0
	v_or3_b32 v1, v8, v9, v1
.LBB2_1453:                             ;   in Loop: Header=BB2_1275 Depth=4
	s_or_b64 exec, exec, s[70:71]
.LBB2_1454:                             ;   in Loop: Header=BB2_1275 Depth=4
	s_or_b64 exec, exec, s[68:69]
.LBB2_1455:                             ;   in Loop: Header=BB2_1275 Depth=4
	s_or_b64 exec, exec, s[30:31]
	v_add_f32_e32 v3, v3, v1
	v_and_b32_sdwa v1, v3, s91 dst_sel:DWORD dst_unused:UNUSED_PAD src0_sel:BYTE_3 src1_sel:DWORD
	v_and_b32_e32 v8, 0x7f800000, v3
	v_mov_b32_e32 v9, v61
	v_and_b32_e32 v60, 0x7fffff, v3
	v_or_b32_e32 v13, 0x7e, v1
	v_cmp_ne_u64_e64 s[28:29], s[54:55], v[8:9]
	s_and_saveexec_b64 s[30:31], s[28:29]
	s_xor_b64 s[68:69], exec, s[30:31]
	s_cbranch_execz .LBB2_1465
; %bb.1456:                             ;   in Loop: Header=BB2_1275 Depth=4
	v_and_b32_e32 v8, 0x7fffffff, v3
	v_mov_b32_e32 v9, v61
	v_cmp_gt_u64_e64 s[28:29], s[56:57], v[8:9]
	s_and_saveexec_b64 s[70:71], s[28:29]
	s_cbranch_execz .LBB2_1464
; %bb.1457:                             ;   in Loop: Header=BB2_1275 Depth=4
	v_cmp_ne_u32_e64 s[28:29], 0, v3
	v_mov_b32_e32 v13, 0
	s_and_saveexec_b64 s[72:73], s[28:29]
	s_cbranch_execz .LBB2_1463
; %bb.1458:                             ;   in Loop: Header=BB2_1275 Depth=4
	v_bfe_u32 v3, v3, 23, 8
	v_sub_u32_e32 v9, 0x79, v3
	v_cmp_gt_u32_e64 s[28:29], s93, v3
	v_add_u32_e32 v8, 0xffffff81, v3
	v_cndmask_b32_e64 v9, 0, v9, s[28:29]
	v_cmp_eq_u32_e64 s[28:29], 0, v3
	v_mov_b32_e32 v3, 0xffffff82
	v_cndmask_b32_e64 v3, v8, v3, s[28:29]
	v_mov_b32_e32 v8, 0x78
	v_or_b32_e32 v12, 0x800000, v60
	v_cndmask_b32_e64 v13, v9, v8, s[28:29]
	v_cndmask_b32_e64 v60, v12, v60, s[28:29]
	v_add_u32_e32 v8, 20, v13
	v_lshlrev_b64 v[8:9], v8, -1
	v_add_u32_e32 v12, 19, v13
	v_lshrrev_b64 v[34:35], v13, v[60:61]
	v_not_b32_e32 v9, v9
	v_not_b32_e32 v8, v8
	v_lshlrev_b64 v[32:33], v12, 1
	v_lshrrev_b32_e32 v12, 23, v34
	v_and_b32_e32 v9, 0, v9
	v_and_b32_e32 v8, v60, v8
	v_add3_u32 v13, v13, v3, v12
	v_bfe_u32 v3, v34, 20, 1
	v_add_u32_e32 v3, -1, v3
	v_cmp_eq_u64_e64 s[28:29], v[8:9], v[32:33]
	v_cndmask_b32_e64 v3, 0, v3, s[28:29]
	v_add_u32_e32 v3, v3, v34
	v_and_b32_e32 v3, 0xfffff, v3
	v_add_co_u32_e64 v8, s[28:29], v3, v34
	v_add_u32_e32 v12, 6, v13
	v_addc_co_u32_e64 v9, s[28:29], 0, v35, s[28:29]
	v_cmp_ne_u32_e64 s[28:29], 0, v12
                                        ; implicit-def: $vgpr3
	s_and_saveexec_b64 s[30:31], s[28:29]
	s_xor_b64 s[30:31], exec, s[30:31]
; %bb.1459:                             ;   in Loop: Header=BB2_1275 Depth=4
	v_add_u32_e32 v3, 7, v13
	v_cmp_lt_u64_e64 s[28:29], s[58:59], v[8:9]
	v_cndmask_b32_e64 v3, v12, v3, s[28:29]
	v_cndmask_b32_e64 v12, 0, 1, s[28:29]
	v_lshrrev_b64 v[8:9], v12, v[8:9]
; %bb.1460:                             ;   in Loop: Header=BB2_1275 Depth=4
	s_andn2_saveexec_b64 s[28:29], s[30:31]
; %bb.1461:                             ;   in Loop: Header=BB2_1275 Depth=4
	v_bfe_u32 v3, v8, 23, 1
; %bb.1462:                             ;   in Loop: Header=BB2_1275 Depth=4
	s_or_b64 exec, exec, s[28:29]
	v_lshrrev_b64 v[8:9], 20, v[8:9]
	v_cmp_gt_i32_e64 s[28:29], 16, v3
	v_cndmask_b32_e64 v9, 0, v9, s[28:29]
	v_cndmask_b32_e64 v8, 7, v8, s[28:29]
	v_cmp_eq_u32_e64 s[28:29], 0, v3
	v_min_i32_e32 v3, 15, v3
	v_lshlrev_b32_e32 v3, 3, v3
	v_cmp_eq_u64_e64 s[30:31], 0, v[8:9]
	v_and_b32_e32 v3, 0xf8, v3
	v_and_or_b32 v3, v8, 7, v3
	s_and_b64 s[28:29], s[28:29], s[30:31]
	v_cndmask_b32_e64 v3, v3, 0, s[28:29]
	v_or_b32_e32 v13, v3, v1
.LBB2_1463:                             ;   in Loop: Header=BB2_1275 Depth=4
	s_or_b64 exec, exec, s[72:73]
.LBB2_1464:                             ;   in Loop: Header=BB2_1275 Depth=4
	s_or_b64 exec, exec, s[70:71]
                                        ; implicit-def: $vgpr3
.LBB2_1465:                             ;   in Loop: Header=BB2_1275 Depth=4
	s_andn2_saveexec_b64 s[30:31], s[68:69]
; %bb.1466:                             ;   in Loop: Header=BB2_1275 Depth=4
	v_or_b32_sdwa v1, v3, s92 dst_sel:DWORD dst_unused:UNUSED_PAD src0_sel:BYTE_3 src1_sel:DWORD
	v_cmp_eq_u64_e64 s[28:29], 0, v[60:61]
	v_cndmask_b32_e64 v13, v1, v13, s[28:29]
; %bb.1467:                             ;   in Loop: Header=BB2_1275 Depth=4
	s_or_b64 exec, exec, s[30:31]
	v_cmp_ne_u16_sdwa s[28:29], v14, v61 src0_sel:BYTE_0 src1_sel:DWORD
	v_mov_b32_e32 v1, 0
	v_mov_b32_e32 v3, 0
	s_and_saveexec_b64 s[30:31], s[28:29]
	s_cbranch_execz .LBB2_1473
; %bb.1468:                             ;   in Loop: Header=BB2_1275 Depth=4
	v_cmp_ne_u16_sdwa s[28:29], v14, s91 src0_sel:BYTE_0 src1_sel:DWORD
	v_bfrev_b32_e32 v3, 1
	s_and_saveexec_b64 s[68:69], s[28:29]
	s_cbranch_execz .LBB2_1472
; %bb.1469:                             ;   in Loop: Header=BB2_1275 Depth=4
	v_and_b32_e32 v8, 0x7f, v14
	v_cmp_ne_u32_e64 s[28:29], s92, v8
	v_mov_b32_e32 v3, 0x7f800001
	s_and_saveexec_b64 s[70:71], s[28:29]
	s_cbranch_execz .LBB2_1471
; %bb.1470:                             ;   in Loop: Header=BB2_1275 Depth=4
	v_and_b32_e32 v3, 7, v14
	v_ffbh_u32_e32 v3, v3
	v_min_u32_e32 v3, 32, v3
	v_subrev_u32_e32 v12, 28, v3
	v_cmp_gt_u32_e64 s[28:29], 8, v8
	v_lshrrev_b32_e32 v9, 3, v8
	v_sub_u32_e32 v3, 29, v3
	v_cndmask_b32_e64 v8, 0, v12, s[28:29]
	v_cndmask_b32_e64 v3, v9, v3, s[28:29]
	v_lshlrev_b64 v[8:9], v8, v[14:15]
	v_lshlrev_b32_e32 v8, 20, v8
	v_lshlrev_b32_e32 v9, 24, v14
	v_and_b32_e32 v8, 0x700000, v8
	v_and_b32_e32 v9, 0x80000000, v9
	v_lshl_add_u32 v3, v3, 23, v0
	v_or3_b32 v3, v9, v3, v8
.LBB2_1471:                             ;   in Loop: Header=BB2_1275 Depth=4
	s_or_b64 exec, exec, s[70:71]
.LBB2_1472:                             ;   in Loop: Header=BB2_1275 Depth=4
	s_or_b64 exec, exec, s[68:69]
.LBB2_1473:                             ;   in Loop: Header=BB2_1275 Depth=4
	s_or_b64 exec, exec, s[30:31]
	v_cmp_ne_u16_sdwa s[28:29], v10, v61 src0_sel:BYTE_0 src1_sel:DWORD
	s_and_saveexec_b64 s[30:31], s[28:29]
	s_cbranch_execz .LBB2_1479
; %bb.1474:                             ;   in Loop: Header=BB2_1275 Depth=4
	v_cmp_ne_u16_sdwa s[28:29], v10, s91 src0_sel:BYTE_0 src1_sel:DWORD
	v_bfrev_b32_e32 v1, 1
	s_and_saveexec_b64 s[68:69], s[28:29]
	s_cbranch_execz .LBB2_1478
; %bb.1475:                             ;   in Loop: Header=BB2_1275 Depth=4
	v_and_b32_e32 v8, 0x7f, v10
	v_cmp_ne_u32_e64 s[28:29], s92, v8
	v_mov_b32_e32 v1, 0x7f800001
	s_and_saveexec_b64 s[70:71], s[28:29]
	s_cbranch_execz .LBB2_1477
; %bb.1476:                             ;   in Loop: Header=BB2_1275 Depth=4
	v_and_b32_e32 v1, 7, v10
	v_ffbh_u32_e32 v1, v1
	v_min_u32_e32 v1, 32, v1
	v_subrev_u32_e32 v12, 28, v1
	v_cmp_gt_u32_e64 s[28:29], 8, v8
	v_lshrrev_b32_e32 v9, 3, v8
	v_sub_u32_e32 v1, 29, v1
	v_cndmask_b32_e64 v8, 0, v12, s[28:29]
	v_cndmask_b32_e64 v1, v9, v1, s[28:29]
	v_lshlrev_b64 v[8:9], v8, v[10:11]
	v_lshlrev_b32_e32 v8, 20, v8
	v_lshlrev_b32_e32 v9, 24, v10
	v_and_b32_e32 v8, 0x700000, v8
	v_and_b32_e32 v9, 0x80000000, v9
	v_lshl_add_u32 v1, v1, 23, v0
	v_or3_b32 v1, v9, v1, v8
.LBB2_1477:                             ;   in Loop: Header=BB2_1275 Depth=4
	s_or_b64 exec, exec, s[70:71]
.LBB2_1478:                             ;   in Loop: Header=BB2_1275 Depth=4
	s_or_b64 exec, exec, s[68:69]
.LBB2_1479:                             ;   in Loop: Header=BB2_1275 Depth=4
	s_or_b64 exec, exec, s[30:31]
	v_add_f32_e32 v3, v3, v1
	v_and_b32_sdwa v1, v3, s91 dst_sel:DWORD dst_unused:UNUSED_PAD src0_sel:BYTE_3 src1_sel:DWORD
	v_and_b32_e32 v8, 0x7f800000, v3
	v_mov_b32_e32 v9, v61
	v_and_b32_e32 v60, 0x7fffff, v3
	v_or_b32_e32 v21, 0x7e, v1
	v_cmp_ne_u64_e64 s[28:29], s[54:55], v[8:9]
	s_and_saveexec_b64 s[30:31], s[28:29]
	s_xor_b64 s[68:69], exec, s[30:31]
	s_cbranch_execz .LBB2_1489
; %bb.1480:                             ;   in Loop: Header=BB2_1275 Depth=4
	v_and_b32_e32 v8, 0x7fffffff, v3
	v_mov_b32_e32 v9, v61
	v_cmp_gt_u64_e64 s[28:29], s[56:57], v[8:9]
	s_and_saveexec_b64 s[70:71], s[28:29]
	s_cbranch_execz .LBB2_1488
; %bb.1481:                             ;   in Loop: Header=BB2_1275 Depth=4
	v_cmp_ne_u32_e64 s[28:29], 0, v3
	v_mov_b32_e32 v21, 0
	s_and_saveexec_b64 s[72:73], s[28:29]
	s_cbranch_execz .LBB2_1487
; %bb.1482:                             ;   in Loop: Header=BB2_1275 Depth=4
	v_bfe_u32 v3, v3, 23, 8
	v_sub_u32_e32 v9, 0x79, v3
	v_cmp_gt_u32_e64 s[28:29], s93, v3
	v_add_u32_e32 v8, 0xffffff81, v3
	v_cndmask_b32_e64 v9, 0, v9, s[28:29]
	v_cmp_eq_u32_e64 s[28:29], 0, v3
	v_mov_b32_e32 v3, 0xffffff82
	v_cndmask_b32_e64 v3, v8, v3, s[28:29]
	v_mov_b32_e32 v8, 0x78
	v_or_b32_e32 v12, 0x800000, v60
	v_cndmask_b32_e64 v21, v9, v8, s[28:29]
	v_cndmask_b32_e64 v60, v12, v60, s[28:29]
	v_add_u32_e32 v8, 20, v21
	v_lshlrev_b64 v[8:9], v8, -1
	v_add_u32_e32 v12, 19, v21
	v_lshrrev_b64 v[34:35], v21, v[60:61]
	v_not_b32_e32 v9, v9
	v_not_b32_e32 v8, v8
	v_lshlrev_b64 v[32:33], v12, 1
	v_lshrrev_b32_e32 v12, 23, v34
	v_and_b32_e32 v9, 0, v9
	v_and_b32_e32 v8, v60, v8
	v_add3_u32 v21, v21, v3, v12
	v_bfe_u32 v3, v34, 20, 1
	v_add_u32_e32 v3, -1, v3
	v_cmp_eq_u64_e64 s[28:29], v[8:9], v[32:33]
	v_cndmask_b32_e64 v3, 0, v3, s[28:29]
	v_add_u32_e32 v3, v3, v34
	v_and_b32_e32 v3, 0xfffff, v3
	v_add_co_u32_e64 v8, s[28:29], v3, v34
	v_add_u32_e32 v12, 6, v21
	v_addc_co_u32_e64 v9, s[28:29], 0, v35, s[28:29]
	v_cmp_ne_u32_e64 s[28:29], 0, v12
                                        ; implicit-def: $vgpr3
	s_and_saveexec_b64 s[30:31], s[28:29]
	s_xor_b64 s[30:31], exec, s[30:31]
; %bb.1483:                             ;   in Loop: Header=BB2_1275 Depth=4
	v_add_u32_e32 v3, 7, v21
	v_cmp_lt_u64_e64 s[28:29], s[58:59], v[8:9]
	v_cndmask_b32_e64 v3, v12, v3, s[28:29]
	v_cndmask_b32_e64 v12, 0, 1, s[28:29]
	v_lshrrev_b64 v[8:9], v12, v[8:9]
; %bb.1484:                             ;   in Loop: Header=BB2_1275 Depth=4
	s_andn2_saveexec_b64 s[28:29], s[30:31]
; %bb.1485:                             ;   in Loop: Header=BB2_1275 Depth=4
	v_bfe_u32 v3, v8, 23, 1
; %bb.1486:                             ;   in Loop: Header=BB2_1275 Depth=4
	s_or_b64 exec, exec, s[28:29]
	v_lshrrev_b64 v[8:9], 20, v[8:9]
	v_cmp_gt_i32_e64 s[28:29], 16, v3
	v_cndmask_b32_e64 v9, 0, v9, s[28:29]
	v_cndmask_b32_e64 v8, 7, v8, s[28:29]
	v_cmp_eq_u32_e64 s[28:29], 0, v3
	v_min_i32_e32 v3, 15, v3
	v_cmp_eq_u64_e64 s[30:31], 0, v[8:9]
	v_lshlrev_b32_e32 v3, 3, v3
	v_and_or_b32 v3, v8, 7, v3
	s_and_b64 s[28:29], s[28:29], s[30:31]
	v_cndmask_b32_e64 v3, v3, 0, s[28:29]
	v_or_b32_e32 v21, v3, v1
.LBB2_1487:                             ;   in Loop: Header=BB2_1275 Depth=4
	s_or_b64 exec, exec, s[72:73]
.LBB2_1488:                             ;   in Loop: Header=BB2_1275 Depth=4
	s_or_b64 exec, exec, s[70:71]
                                        ; implicit-def: $vgpr3
.LBB2_1489:                             ;   in Loop: Header=BB2_1275 Depth=4
	s_andn2_saveexec_b64 s[30:31], s[68:69]
; %bb.1490:                             ;   in Loop: Header=BB2_1275 Depth=4
	v_or_b32_sdwa v1, v3, s92 dst_sel:DWORD dst_unused:UNUSED_PAD src0_sel:BYTE_3 src1_sel:DWORD
	v_cmp_eq_u64_e64 s[28:29], 0, v[60:61]
	v_cndmask_b32_e64 v21, v1, v21, s[28:29]
; %bb.1491:                             ;   in Loop: Header=BB2_1275 Depth=4
	s_or_b64 exec, exec, s[30:31]
	v_lshrrev_b16_e32 v8, 8, v14
	v_cmp_ne_u16_e64 s[28:29], 0, v8
	v_mov_b32_e32 v1, 0
	v_mov_b32_e32 v3, 0
	s_and_saveexec_b64 s[30:31], s[28:29]
	s_cbranch_execz .LBB2_1497
; %bb.1492:                             ;   in Loop: Header=BB2_1275 Depth=4
	v_cmp_ne_u16_e64 s[28:29], s91, v8
	v_bfrev_b32_e32 v3, 1
	s_and_saveexec_b64 s[68:69], s[28:29]
	s_cbranch_execz .LBB2_1496
; %bb.1493:                             ;   in Loop: Header=BB2_1275 Depth=4
	v_and_b32_e32 v9, 0x7f, v8
	v_cmp_ne_u32_e64 s[28:29], s92, v9
	v_mov_b32_e32 v3, 0x7f800001
	s_and_saveexec_b64 s[70:71], s[28:29]
	s_cbranch_execz .LBB2_1495
; %bb.1494:                             ;   in Loop: Header=BB2_1275 Depth=4
	v_and_b32_e32 v3, 7, v8
	v_ffbh_u32_e32 v32, v3
	v_min_u32_e32 v34, 32, v32
	v_subrev_u32_e32 v32, 28, v34
	v_lshlrev_b64 v[32:33], v32, v[8:9]
	v_lshrrev_b32_e32 v12, 3, v9
	v_sub_u32_e32 v8, 29, v34
	v_and_b32_e32 v32, 7, v32
	v_cmp_gt_u32_e64 s[28:29], 8, v9
	v_cndmask_b32_e64 v8, v12, v8, s[28:29]
	v_cndmask_b32_e64 v3, v3, v32, s[28:29]
	v_lshlrev_b32_e32 v9, 16, v14
	v_lshlrev_b32_e32 v3, 20, v3
	v_and_b32_e32 v9, 0x80000000, v9
	v_lshl_add_u32 v8, v8, 23, v0
	v_or3_b32 v3, v9, v8, v3
.LBB2_1495:                             ;   in Loop: Header=BB2_1275 Depth=4
	s_or_b64 exec, exec, s[70:71]
.LBB2_1496:                             ;   in Loop: Header=BB2_1275 Depth=4
	s_or_b64 exec, exec, s[68:69]
.LBB2_1497:                             ;   in Loop: Header=BB2_1275 Depth=4
	s_or_b64 exec, exec, s[30:31]
	v_lshrrev_b16_e32 v8, 8, v10
	v_cmp_ne_u16_e64 s[28:29], 0, v8
	s_and_saveexec_b64 s[30:31], s[28:29]
	s_cbranch_execz .LBB2_1503
; %bb.1498:                             ;   in Loop: Header=BB2_1275 Depth=4
	v_cmp_ne_u16_e64 s[28:29], s91, v8
	v_bfrev_b32_e32 v1, 1
	s_and_saveexec_b64 s[68:69], s[28:29]
	s_cbranch_execz .LBB2_1502
; %bb.1499:                             ;   in Loop: Header=BB2_1275 Depth=4
	v_and_b32_e32 v9, 0x7f, v8
	v_cmp_ne_u32_e64 s[28:29], s92, v9
	v_mov_b32_e32 v1, 0x7f800001
	s_and_saveexec_b64 s[70:71], s[28:29]
	s_cbranch_execz .LBB2_1501
; %bb.1500:                             ;   in Loop: Header=BB2_1275 Depth=4
	v_and_b32_e32 v1, 7, v8
	v_ffbh_u32_e32 v32, v1
	v_min_u32_e32 v34, 32, v32
	v_subrev_u32_e32 v32, 28, v34
	v_lshlrev_b64 v[32:33], v32, v[8:9]
	v_lshrrev_b32_e32 v12, 3, v9
	v_sub_u32_e32 v8, 29, v34
	v_and_b32_e32 v32, 7, v32
	v_cmp_gt_u32_e64 s[28:29], 8, v9
	v_cndmask_b32_e64 v8, v12, v8, s[28:29]
	v_cndmask_b32_e64 v1, v1, v32, s[28:29]
	v_lshlrev_b32_e32 v9, 16, v10
	v_lshlrev_b32_e32 v1, 20, v1
	v_and_b32_e32 v9, 0x80000000, v9
	v_lshl_add_u32 v8, v8, 23, v0
	v_or3_b32 v1, v9, v8, v1
.LBB2_1501:                             ;   in Loop: Header=BB2_1275 Depth=4
	s_or_b64 exec, exec, s[70:71]
.LBB2_1502:                             ;   in Loop: Header=BB2_1275 Depth=4
	s_or_b64 exec, exec, s[68:69]
.LBB2_1503:                             ;   in Loop: Header=BB2_1275 Depth=4
	s_or_b64 exec, exec, s[30:31]
	v_add_f32_e32 v8, v3, v1
	v_and_b32_sdwa v3, v8, s91 dst_sel:DWORD dst_unused:UNUSED_PAD src0_sel:BYTE_3 src1_sel:DWORD
	v_and_b32_e32 v32, 0x7f800000, v8
	v_mov_b32_e32 v33, v61
	v_and_b32_e32 v60, 0x7fffff, v8
	v_or_b32_e32 v1, 0x7e, v3
	v_cmp_ne_u64_e64 s[28:29], s[54:55], v[32:33]
	s_and_saveexec_b64 s[30:31], s[28:29]
	s_xor_b64 s[68:69], exec, s[30:31]
	s_cbranch_execz .LBB2_1513
; %bb.1504:                             ;   in Loop: Header=BB2_1275 Depth=4
	v_and_b32_e32 v32, 0x7fffffff, v8
	v_mov_b32_e32 v33, v61
	v_cmp_gt_u64_e64 s[28:29], s[56:57], v[32:33]
	s_and_saveexec_b64 s[70:71], s[28:29]
	s_cbranch_execz .LBB2_1512
; %bb.1505:                             ;   in Loop: Header=BB2_1275 Depth=4
	v_cmp_ne_u32_e64 s[28:29], 0, v8
	v_mov_b32_e32 v1, 0
	s_and_saveexec_b64 s[72:73], s[28:29]
	s_cbranch_execz .LBB2_1511
; %bb.1506:                             ;   in Loop: Header=BB2_1275 Depth=4
	v_bfe_u32 v1, v8, 23, 8
	v_sub_u32_e32 v9, 0x79, v1
	v_cmp_gt_u32_e64 s[28:29], s93, v1
	v_add_u32_e32 v8, 0xffffff81, v1
	v_cndmask_b32_e64 v9, 0, v9, s[28:29]
	v_cmp_eq_u32_e64 s[28:29], 0, v1
	v_mov_b32_e32 v1, 0xffffff82
	v_cndmask_b32_e64 v1, v8, v1, s[28:29]
	v_mov_b32_e32 v8, 0x78
	v_or_b32_e32 v12, 0x800000, v60
	v_cndmask_b32_e64 v37, v9, v8, s[28:29]
	v_cndmask_b32_e64 v60, v12, v60, s[28:29]
	v_add_u32_e32 v8, 20, v37
	v_lshlrev_b64 v[8:9], v8, -1
	v_add_u32_e32 v12, 19, v37
	v_lshrrev_b64 v[34:35], v37, v[60:61]
	v_not_b32_e32 v9, v9
	v_not_b32_e32 v8, v8
	v_lshlrev_b64 v[32:33], v12, 1
	v_lshrrev_b32_e32 v12, 23, v34
	v_and_b32_e32 v9, 0, v9
	v_and_b32_e32 v8, v60, v8
	v_add3_u32 v37, v37, v1, v12
	v_bfe_u32 v1, v34, 20, 1
	v_add_u32_e32 v1, -1, v1
	v_cmp_eq_u64_e64 s[28:29], v[8:9], v[32:33]
	v_cndmask_b32_e64 v1, 0, v1, s[28:29]
	v_add_u32_e32 v1, v1, v34
	v_and_b32_e32 v1, 0xfffff, v1
	v_add_co_u32_e64 v8, s[28:29], v1, v34
	v_add_u32_e32 v12, 6, v37
	v_addc_co_u32_e64 v9, s[28:29], 0, v35, s[28:29]
	v_cmp_ne_u32_e64 s[28:29], 0, v12
                                        ; implicit-def: $vgpr1
	s_and_saveexec_b64 s[30:31], s[28:29]
	s_xor_b64 s[30:31], exec, s[30:31]
; %bb.1507:                             ;   in Loop: Header=BB2_1275 Depth=4
	v_add_u32_e32 v1, 7, v37
	v_cmp_lt_u64_e64 s[28:29], s[58:59], v[8:9]
	v_cndmask_b32_e64 v1, v12, v1, s[28:29]
	v_cndmask_b32_e64 v12, 0, 1, s[28:29]
	v_lshrrev_b64 v[8:9], v12, v[8:9]
; %bb.1508:                             ;   in Loop: Header=BB2_1275 Depth=4
	s_andn2_saveexec_b64 s[28:29], s[30:31]
; %bb.1509:                             ;   in Loop: Header=BB2_1275 Depth=4
	v_bfe_u32 v1, v8, 23, 1
; %bb.1510:                             ;   in Loop: Header=BB2_1275 Depth=4
	s_or_b64 exec, exec, s[28:29]
	v_lshrrev_b64 v[8:9], 20, v[8:9]
	v_cmp_gt_i32_e64 s[28:29], 16, v1
	v_cndmask_b32_e64 v9, 0, v9, s[28:29]
	v_cndmask_b32_e64 v8, 7, v8, s[28:29]
	v_cmp_eq_u32_e64 s[28:29], 0, v1
	v_min_i32_e32 v1, 15, v1
	v_cmp_eq_u64_e64 s[30:31], 0, v[8:9]
	v_lshlrev_b32_e32 v1, 3, v1
	v_and_or_b32 v1, v8, 7, v1
	s_and_b64 s[28:29], s[28:29], s[30:31]
	v_cndmask_b32_e64 v1, v1, 0, s[28:29]
	v_or_b32_e32 v1, v1, v3
.LBB2_1511:                             ;   in Loop: Header=BB2_1275 Depth=4
	s_or_b64 exec, exec, s[72:73]
.LBB2_1512:                             ;   in Loop: Header=BB2_1275 Depth=4
	s_or_b64 exec, exec, s[70:71]
                                        ; implicit-def: $vgpr8
.LBB2_1513:                             ;   in Loop: Header=BB2_1275 Depth=4
	s_andn2_saveexec_b64 s[30:31], s[68:69]
; %bb.1514:                             ;   in Loop: Header=BB2_1275 Depth=4
	v_or_b32_sdwa v3, v8, s92 dst_sel:DWORD dst_unused:UNUSED_PAD src0_sel:BYTE_3 src1_sel:DWORD
	v_cmp_eq_u64_e64 s[28:29], 0, v[60:61]
	v_cndmask_b32_e64 v1, v3, v1, s[28:29]
; %bb.1515:                             ;   in Loop: Header=BB2_1275 Depth=4
	s_or_b64 exec, exec, s[30:31]
	v_lshrrev_b32_e32 v8, 16, v14
	v_cmp_ne_u16_sdwa s[28:29], v8, v61 src0_sel:BYTE_0 src1_sel:DWORD
	v_mov_b32_e32 v3, 0
	v_mov_b32_e32 v9, 0
	s_and_saveexec_b64 s[30:31], s[28:29]
	s_cbranch_execz .LBB2_1521
; %bb.1516:                             ;   in Loop: Header=BB2_1275 Depth=4
	v_cmp_ne_u16_sdwa s[28:29], v8, s91 src0_sel:BYTE_0 src1_sel:DWORD
	v_bfrev_b32_e32 v9, 1
	s_and_saveexec_b64 s[68:69], s[28:29]
	s_cbranch_execz .LBB2_1520
; %bb.1517:                             ;   in Loop: Header=BB2_1275 Depth=4
	v_bfe_u32 v12, v14, 16, 7
	v_cmp_ne_u32_e64 s[28:29], s92, v12
	v_mov_b32_e32 v9, 0x7f800001
	s_and_saveexec_b64 s[70:71], s[28:29]
	s_cbranch_execz .LBB2_1519
; %bb.1518:                             ;   in Loop: Header=BB2_1275 Depth=4
	v_and_b32_e32 v9, 7, v8
	v_ffbh_u32_e32 v32, v9
	v_min_u32_e32 v35, 32, v32
	v_subrev_u32_e32 v32, 28, v35
	v_lshlrev_b64 v[32:33], v32, v[8:9]
	v_lshrrev_b32_e32 v34, 3, v12
	v_sub_u32_e32 v33, 29, v35
	v_and_b32_e32 v32, 7, v32
	v_cmp_gt_u32_e64 s[28:29], 8, v12
	v_cndmask_b32_e64 v12, v34, v33, s[28:29]
	v_cndmask_b32_e64 v9, v9, v32, s[28:29]
	v_lshlrev_b32_e32 v8, 24, v8
	v_lshlrev_b32_e32 v9, 20, v9
	v_and_b32_e32 v8, 0x80000000, v8
	v_lshl_add_u32 v12, v12, 23, v0
	v_or3_b32 v9, v8, v12, v9
.LBB2_1519:                             ;   in Loop: Header=BB2_1275 Depth=4
	s_or_b64 exec, exec, s[70:71]
.LBB2_1520:                             ;   in Loop: Header=BB2_1275 Depth=4
	s_or_b64 exec, exec, s[68:69]
.LBB2_1521:                             ;   in Loop: Header=BB2_1275 Depth=4
	s_or_b64 exec, exec, s[30:31]
	v_lshrrev_b32_e32 v8, 16, v10
	v_cmp_ne_u16_sdwa s[28:29], v8, v61 src0_sel:BYTE_0 src1_sel:DWORD
	s_and_saveexec_b64 s[30:31], s[28:29]
	s_cbranch_execz .LBB2_1527
; %bb.1522:                             ;   in Loop: Header=BB2_1275 Depth=4
	v_cmp_ne_u16_sdwa s[28:29], v8, s91 src0_sel:BYTE_0 src1_sel:DWORD
	v_bfrev_b32_e32 v3, 1
	s_and_saveexec_b64 s[68:69], s[28:29]
	s_cbranch_execz .LBB2_1526
; %bb.1523:                             ;   in Loop: Header=BB2_1275 Depth=4
	v_bfe_u32 v12, v10, 16, 7
	v_cmp_ne_u32_e64 s[28:29], s92, v12
	v_mov_b32_e32 v3, 0x7f800001
	s_and_saveexec_b64 s[70:71], s[28:29]
	s_cbranch_execz .LBB2_1525
; %bb.1524:                             ;   in Loop: Header=BB2_1275 Depth=4
	v_and_b32_e32 v3, 7, v8
	v_ffbh_u32_e32 v32, v3
	v_min_u32_e32 v35, 32, v32
	v_subrev_u32_e32 v32, 28, v35
	v_lshlrev_b64 v[32:33], v32, v[8:9]
	v_lshrrev_b32_e32 v34, 3, v12
	v_sub_u32_e32 v8, 29, v35
	v_and_b32_e32 v32, 7, v32
	v_cmp_gt_u32_e64 s[28:29], 8, v12
	v_cndmask_b32_e64 v8, v34, v8, s[28:29]
	v_cndmask_b32_e64 v3, v3, v32, s[28:29]
	v_lshlrev_b32_e32 v12, 8, v10
	v_lshlrev_b32_e32 v3, 20, v3
	v_and_b32_e32 v12, 0x80000000, v12
	v_lshl_add_u32 v8, v8, 23, v0
	v_or3_b32 v3, v12, v8, v3
.LBB2_1525:                             ;   in Loop: Header=BB2_1275 Depth=4
	s_or_b64 exec, exec, s[70:71]
.LBB2_1526:                             ;   in Loop: Header=BB2_1275 Depth=4
	s_or_b64 exec, exec, s[68:69]
.LBB2_1527:                             ;   in Loop: Header=BB2_1275 Depth=4
	s_or_b64 exec, exec, s[30:31]
	v_add_f32_e32 v8, v9, v3
	v_and_b32_sdwa v3, v8, s91 dst_sel:DWORD dst_unused:UNUSED_PAD src0_sel:BYTE_3 src1_sel:DWORD
	v_and_b32_e32 v32, 0x7f800000, v8
	v_mov_b32_e32 v33, v61
	v_and_b32_e32 v60, 0x7fffff, v8
	v_or_b32_e32 v37, 0x7e, v3
	v_cmp_ne_u64_e64 s[28:29], s[54:55], v[32:33]
	s_and_saveexec_b64 s[30:31], s[28:29]
	s_xor_b64 s[68:69], exec, s[30:31]
	s_cbranch_execz .LBB2_1537
; %bb.1528:                             ;   in Loop: Header=BB2_1275 Depth=4
	v_and_b32_e32 v32, 0x7fffffff, v8
	v_mov_b32_e32 v33, v61
	v_cmp_gt_u64_e64 s[28:29], s[56:57], v[32:33]
	s_and_saveexec_b64 s[70:71], s[28:29]
	s_cbranch_execz .LBB2_1536
; %bb.1529:                             ;   in Loop: Header=BB2_1275 Depth=4
	v_cmp_ne_u32_e64 s[28:29], 0, v8
	v_mov_b32_e32 v37, 0
	s_and_saveexec_b64 s[72:73], s[28:29]
	s_cbranch_execz .LBB2_1535
; %bb.1530:                             ;   in Loop: Header=BB2_1275 Depth=4
	v_bfe_u32 v8, v8, 23, 8
	v_sub_u32_e32 v12, 0x79, v8
	v_cmp_gt_u32_e64 s[28:29], s93, v8
	v_add_u32_e32 v9, 0xffffff81, v8
	v_cndmask_b32_e64 v12, 0, v12, s[28:29]
	v_cmp_eq_u32_e64 s[28:29], 0, v8
	v_mov_b32_e32 v8, 0xffffff82
	v_cndmask_b32_e64 v37, v9, v8, s[28:29]
	v_mov_b32_e32 v8, 0x78
	v_or_b32_e32 v32, 0x800000, v60
	v_cndmask_b32_e64 v12, v12, v8, s[28:29]
	v_cndmask_b32_e64 v60, v32, v60, s[28:29]
	v_add_u32_e32 v8, 20, v12
	v_lshlrev_b64 v[8:9], v8, -1
	v_lshrrev_b64 v[34:35], v12, v[60:61]
	v_not_b32_e32 v9, v9
	v_not_b32_e32 v8, v8
	v_add_u32_e32 v32, 19, v12
	v_lshrrev_b32_e32 v38, 23, v34
	v_and_b32_e32 v9, 0, v9
	v_and_b32_e32 v8, v60, v8
	v_lshlrev_b64 v[32:33], v32, 1
	v_add3_u32 v38, v12, v37, v38
	v_bfe_u32 v12, v34, 20, 1
	v_add_u32_e32 v12, -1, v12
	v_cmp_eq_u64_e64 s[28:29], v[8:9], v[32:33]
	v_cndmask_b32_e64 v8, 0, v12, s[28:29]
	v_add_u32_e32 v8, v8, v34
	v_and_b32_e32 v8, 0xfffff, v8
	v_add_co_u32_e64 v8, s[28:29], v8, v34
	v_add_u32_e32 v37, 6, v38
	v_addc_co_u32_e64 v9, s[28:29], 0, v35, s[28:29]
	v_cmp_ne_u32_e64 s[28:29], 0, v37
                                        ; implicit-def: $vgpr12
	s_and_saveexec_b64 s[30:31], s[28:29]
	s_xor_b64 s[30:31], exec, s[30:31]
; %bb.1531:                             ;   in Loop: Header=BB2_1275 Depth=4
	v_cmp_lt_u64_e64 s[28:29], s[58:59], v[8:9]
	v_add_u32_e32 v12, 7, v38
	v_cndmask_b32_e64 v32, 0, 1, s[28:29]
	v_cndmask_b32_e64 v12, v37, v12, s[28:29]
	v_lshrrev_b64 v[8:9], v32, v[8:9]
; %bb.1532:                             ;   in Loop: Header=BB2_1275 Depth=4
	s_andn2_saveexec_b64 s[28:29], s[30:31]
; %bb.1533:                             ;   in Loop: Header=BB2_1275 Depth=4
	v_bfe_u32 v12, v8, 23, 1
; %bb.1534:                             ;   in Loop: Header=BB2_1275 Depth=4
	s_or_b64 exec, exec, s[28:29]
	v_lshrrev_b64 v[8:9], 20, v[8:9]
	v_cmp_gt_i32_e64 s[28:29], 16, v12
	v_cndmask_b32_e64 v9, 0, v9, s[28:29]
	v_cndmask_b32_e64 v8, 7, v8, s[28:29]
	v_cmp_eq_u64_e64 s[30:31], 0, v[8:9]
	v_min_i32_e32 v9, 15, v12
	v_cmp_eq_u32_e64 s[28:29], 0, v12
	v_lshlrev_b32_e32 v9, 3, v9
	v_and_or_b32 v8, v8, 7, v9
	s_and_b64 s[28:29], s[28:29], s[30:31]
	v_cndmask_b32_e64 v8, v8, 0, s[28:29]
	v_or_b32_e32 v37, v8, v3
.LBB2_1535:                             ;   in Loop: Header=BB2_1275 Depth=4
	s_or_b64 exec, exec, s[72:73]
.LBB2_1536:                             ;   in Loop: Header=BB2_1275 Depth=4
	s_or_b64 exec, exec, s[70:71]
                                        ; implicit-def: $vgpr8
.LBB2_1537:                             ;   in Loop: Header=BB2_1275 Depth=4
	s_andn2_saveexec_b64 s[30:31], s[68:69]
; %bb.1538:                             ;   in Loop: Header=BB2_1275 Depth=4
	v_or_b32_sdwa v3, v8, s92 dst_sel:DWORD dst_unused:UNUSED_PAD src0_sel:BYTE_3 src1_sel:DWORD
	v_cmp_eq_u64_e64 s[28:29], 0, v[60:61]
	v_cndmask_b32_e64 v37, v3, v37, s[28:29]
; %bb.1539:                             ;   in Loop: Header=BB2_1275 Depth=4
	s_or_b64 exec, exec, s[30:31]
	v_cmp_lt_u32_e64 s[28:29], s45, v14
	v_mov_b32_e32 v3, 0
	v_mov_b32_e32 v9, 0
	s_and_saveexec_b64 s[30:31], s[28:29]
	s_cbranch_execz .LBB2_1545
; %bb.1540:                             ;   in Loop: Header=BB2_1275 Depth=4
	v_lshrrev_b32_e32 v8, 24, v14
	v_cmp_ne_u32_e64 s[28:29], s91, v8
	v_bfrev_b32_e32 v9, 1
	s_and_saveexec_b64 s[68:69], s[28:29]
	s_cbranch_execz .LBB2_1544
; %bb.1541:                             ;   in Loop: Header=BB2_1275 Depth=4
	v_bfe_u32 v12, v14, 24, 7
	v_cmp_ne_u32_e64 s[28:29], s92, v12
	v_mov_b32_e32 v9, 0x7f800001
	s_and_saveexec_b64 s[70:71], s[28:29]
	s_cbranch_execz .LBB2_1543
; %bb.1542:                             ;   in Loop: Header=BB2_1275 Depth=4
	v_and_b32_e32 v9, 7, v8
	v_ffbh_u32_e32 v32, v9
	v_min_u32_e32 v35, 32, v32
	v_subrev_u32_e32 v32, 28, v35
	v_lshlrev_b64 v[32:33], v32, v[8:9]
	v_lshrrev_b32_e32 v34, 3, v12
	v_sub_u32_e32 v33, 29, v35
	v_and_b32_e32 v32, 7, v32
	v_cmp_gt_u32_e64 s[28:29], 8, v12
	v_cndmask_b32_e64 v12, v34, v33, s[28:29]
	v_cndmask_b32_e64 v9, v9, v32, s[28:29]
	v_lshlrev_b32_e32 v8, 24, v8
	v_lshlrev_b32_e32 v9, 20, v9
	v_and_b32_e32 v8, 0x80000000, v8
	v_lshl_add_u32 v12, v12, 23, v0
	v_or3_b32 v9, v8, v12, v9
.LBB2_1543:                             ;   in Loop: Header=BB2_1275 Depth=4
	s_or_b64 exec, exec, s[70:71]
.LBB2_1544:                             ;   in Loop: Header=BB2_1275 Depth=4
	s_or_b64 exec, exec, s[68:69]
.LBB2_1545:                             ;   in Loop: Header=BB2_1275 Depth=4
	s_or_b64 exec, exec, s[30:31]
	v_cmp_lt_u32_e64 s[28:29], s45, v10
	s_and_saveexec_b64 s[30:31], s[28:29]
	s_cbranch_execz .LBB2_1551
; %bb.1546:                             ;   in Loop: Header=BB2_1275 Depth=4
	v_lshrrev_b32_e32 v8, 24, v10
	v_cmp_ne_u32_e64 s[28:29], s91, v8
	v_bfrev_b32_e32 v3, 1
	s_and_saveexec_b64 s[68:69], s[28:29]
	s_cbranch_execz .LBB2_1550
; %bb.1547:                             ;   in Loop: Header=BB2_1275 Depth=4
	v_bfe_u32 v12, v10, 24, 7
	v_cmp_ne_u32_e64 s[28:29], s92, v12
	v_mov_b32_e32 v3, 0x7f800001
	s_and_saveexec_b64 s[70:71], s[28:29]
	s_cbranch_execz .LBB2_1549
; %bb.1548:                             ;   in Loop: Header=BB2_1275 Depth=4
	v_and_b32_e32 v3, 7, v8
	v_ffbh_u32_e32 v32, v3
	v_min_u32_e32 v35, 32, v32
	v_subrev_u32_e32 v32, 28, v35
	v_lshlrev_b64 v[32:33], v32, v[8:9]
	v_lshrrev_b32_e32 v34, 3, v12
	v_sub_u32_e32 v33, 29, v35
	v_and_b32_e32 v32, 7, v32
	v_cmp_gt_u32_e64 s[28:29], 8, v12
	v_cndmask_b32_e64 v12, v34, v33, s[28:29]
	v_cndmask_b32_e64 v3, v3, v32, s[28:29]
	v_lshlrev_b32_e32 v8, 24, v8
	v_lshlrev_b32_e32 v3, 20, v3
	v_and_b32_e32 v8, 0x80000000, v8
	v_lshl_add_u32 v12, v12, 23, v0
	v_or3_b32 v3, v8, v12, v3
.LBB2_1549:                             ;   in Loop: Header=BB2_1275 Depth=4
	s_or_b64 exec, exec, s[70:71]
.LBB2_1550:                             ;   in Loop: Header=BB2_1275 Depth=4
	s_or_b64 exec, exec, s[68:69]
.LBB2_1551:                             ;   in Loop: Header=BB2_1275 Depth=4
	s_or_b64 exec, exec, s[30:31]
	v_add_f32_e32 v8, v9, v3
	v_and_b32_sdwa v3, v8, s91 dst_sel:DWORD dst_unused:UNUSED_PAD src0_sel:BYTE_3 src1_sel:DWORD
	v_and_b32_e32 v32, 0x7f800000, v8
	v_mov_b32_e32 v33, v61
	v_and_b32_e32 v60, 0x7fffff, v8
	v_or_b32_e32 v38, 0x7e, v3
	v_cmp_ne_u64_e64 s[28:29], s[54:55], v[32:33]
	s_and_saveexec_b64 s[30:31], s[28:29]
	s_xor_b64 s[68:69], exec, s[30:31]
	s_cbranch_execz .LBB2_1561
; %bb.1552:                             ;   in Loop: Header=BB2_1275 Depth=4
	v_and_b32_e32 v32, 0x7fffffff, v8
	v_mov_b32_e32 v33, v61
	v_cmp_gt_u64_e64 s[28:29], s[56:57], v[32:33]
	s_and_saveexec_b64 s[70:71], s[28:29]
	s_cbranch_execz .LBB2_1560
; %bb.1553:                             ;   in Loop: Header=BB2_1275 Depth=4
	v_cmp_ne_u32_e64 s[28:29], 0, v8
	v_mov_b32_e32 v38, 0
	s_and_saveexec_b64 s[72:73], s[28:29]
	s_cbranch_execz .LBB2_1559
; %bb.1554:                             ;   in Loop: Header=BB2_1275 Depth=4
	v_bfe_u32 v8, v8, 23, 8
	v_sub_u32_e32 v12, 0x79, v8
	v_cmp_gt_u32_e64 s[28:29], s93, v8
	v_add_u32_e32 v9, 0xffffff81, v8
	v_cndmask_b32_e64 v12, 0, v12, s[28:29]
	v_cmp_eq_u32_e64 s[28:29], 0, v8
	v_mov_b32_e32 v8, 0xffffff82
	v_cndmask_b32_e64 v38, v9, v8, s[28:29]
	v_mov_b32_e32 v8, 0x78
	v_or_b32_e32 v32, 0x800000, v60
	v_cndmask_b32_e64 v12, v12, v8, s[28:29]
	v_cndmask_b32_e64 v60, v32, v60, s[28:29]
	v_add_u32_e32 v8, 20, v12
	v_lshlrev_b64 v[8:9], v8, -1
	v_lshrrev_b64 v[34:35], v12, v[60:61]
	v_not_b32_e32 v9, v9
	v_not_b32_e32 v8, v8
	v_add_u32_e32 v32, 19, v12
	v_lshrrev_b32_e32 v39, 23, v34
	v_and_b32_e32 v9, 0, v9
	v_and_b32_e32 v8, v60, v8
	v_lshlrev_b64 v[32:33], v32, 1
	v_add3_u32 v39, v12, v38, v39
	v_bfe_u32 v12, v34, 20, 1
	v_add_u32_e32 v12, -1, v12
	v_cmp_eq_u64_e64 s[28:29], v[8:9], v[32:33]
	v_cndmask_b32_e64 v8, 0, v12, s[28:29]
	v_add_u32_e32 v8, v8, v34
	v_and_b32_e32 v8, 0xfffff, v8
	v_add_co_u32_e64 v8, s[28:29], v8, v34
	v_add_u32_e32 v38, 6, v39
	v_addc_co_u32_e64 v9, s[28:29], 0, v35, s[28:29]
	v_cmp_ne_u32_e64 s[28:29], 0, v38
                                        ; implicit-def: $vgpr12
	s_and_saveexec_b64 s[30:31], s[28:29]
	s_xor_b64 s[30:31], exec, s[30:31]
; %bb.1555:                             ;   in Loop: Header=BB2_1275 Depth=4
	v_cmp_lt_u64_e64 s[28:29], s[58:59], v[8:9]
	v_add_u32_e32 v12, 7, v39
	v_cndmask_b32_e64 v32, 0, 1, s[28:29]
	v_cndmask_b32_e64 v12, v38, v12, s[28:29]
	v_lshrrev_b64 v[8:9], v32, v[8:9]
; %bb.1556:                             ;   in Loop: Header=BB2_1275 Depth=4
	s_andn2_saveexec_b64 s[28:29], s[30:31]
; %bb.1557:                             ;   in Loop: Header=BB2_1275 Depth=4
	v_bfe_u32 v12, v8, 23, 1
; %bb.1558:                             ;   in Loop: Header=BB2_1275 Depth=4
	s_or_b64 exec, exec, s[28:29]
	v_lshrrev_b64 v[8:9], 20, v[8:9]
	v_cmp_gt_i32_e64 s[28:29], 16, v12
	v_cndmask_b32_e64 v9, 0, v9, s[28:29]
	v_cndmask_b32_e64 v8, 7, v8, s[28:29]
	v_cmp_eq_u64_e64 s[30:31], 0, v[8:9]
	v_min_i32_e32 v9, 15, v12
	v_cmp_eq_u32_e64 s[28:29], 0, v12
	v_lshlrev_b32_e32 v9, 3, v9
	v_and_or_b32 v8, v8, 7, v9
	s_and_b64 s[28:29], s[28:29], s[30:31]
	v_cndmask_b32_e64 v8, v8, 0, s[28:29]
	v_or_b32_e32 v38, v8, v3
.LBB2_1559:                             ;   in Loop: Header=BB2_1275 Depth=4
	s_or_b64 exec, exec, s[72:73]
.LBB2_1560:                             ;   in Loop: Header=BB2_1275 Depth=4
	s_or_b64 exec, exec, s[70:71]
                                        ; implicit-def: $vgpr8
.LBB2_1561:                             ;   in Loop: Header=BB2_1275 Depth=4
	s_andn2_saveexec_b64 s[30:31], s[68:69]
; %bb.1562:                             ;   in Loop: Header=BB2_1275 Depth=4
	v_or_b32_sdwa v3, v8, s92 dst_sel:DWORD dst_unused:UNUSED_PAD src0_sel:BYTE_3 src1_sel:DWORD
	v_cmp_eq_u64_e64 s[28:29], 0, v[60:61]
	v_cndmask_b32_e64 v38, v3, v38, s[28:29]
; %bb.1563:                             ;   in Loop: Header=BB2_1275 Depth=4
	s_or_b64 exec, exec, s[30:31]
	v_mov_b32_e32 v60, v15
	v_cmp_ne_u16_sdwa s[28:29], v15, v61 src0_sel:BYTE_0 src1_sel:DWORD
	v_mov_b32_e32 v8, 0
	v_mov_b32_e32 v3, 0
	s_and_saveexec_b64 s[30:31], s[28:29]
	s_cbranch_execz .LBB2_1569
; %bb.1564:                             ;   in Loop: Header=BB2_1275 Depth=4
	v_cmp_ne_u16_sdwa s[28:29], v15, s91 src0_sel:BYTE_0 src1_sel:DWORD
	v_bfrev_b32_e32 v3, 1
	s_and_saveexec_b64 s[68:69], s[28:29]
	s_cbranch_execz .LBB2_1568
; %bb.1565:                             ;   in Loop: Header=BB2_1275 Depth=4
	v_and_b32_e32 v9, 0x7f, v15
	v_cmp_ne_u32_e64 s[28:29], s92, v9
	v_mov_b32_e32 v3, 0x7f800001
	s_and_saveexec_b64 s[70:71], s[28:29]
	s_cbranch_execz .LBB2_1567
; %bb.1566:                             ;   in Loop: Header=BB2_1275 Depth=4
	v_and_b32_e32 v3, 7, v15
	v_ffbh_u32_e32 v3, v3
	v_min_u32_e32 v3, 32, v3
	v_subrev_u32_e32 v32, 28, v3
	v_cmp_gt_u32_e64 s[28:29], 8, v9
	v_lshrrev_b32_e32 v12, 3, v9
	v_cndmask_b32_e64 v9, 0, v32, s[28:29]
	v_sub_u32_e32 v3, 29, v3
	v_lshlrev_b64 v[32:33], v9, v[60:61]
	v_cndmask_b32_e64 v3, v12, v3, s[28:29]
	v_lshlrev_b32_e32 v9, 20, v32
	v_lshlrev_b32_e32 v12, 24, v60
	v_and_b32_e32 v9, 0x700000, v9
	v_and_b32_e32 v12, 0x80000000, v12
	v_lshl_add_u32 v3, v3, 23, v0
	v_or3_b32 v3, v12, v3, v9
.LBB2_1567:                             ;   in Loop: Header=BB2_1275 Depth=4
	s_or_b64 exec, exec, s[70:71]
.LBB2_1568:                             ;   in Loop: Header=BB2_1275 Depth=4
	s_or_b64 exec, exec, s[68:69]
.LBB2_1569:                             ;   in Loop: Header=BB2_1275 Depth=4
	s_or_b64 exec, exec, s[30:31]
	v_cmp_ne_u16_sdwa s[28:29], v11, v61 src0_sel:BYTE_0 src1_sel:DWORD
	s_and_saveexec_b64 s[30:31], s[28:29]
	s_cbranch_execz .LBB2_1575
; %bb.1570:                             ;   in Loop: Header=BB2_1275 Depth=4
	v_cmp_ne_u16_sdwa s[28:29], v11, s91 src0_sel:BYTE_0 src1_sel:DWORD
	v_bfrev_b32_e32 v8, 1
	s_and_saveexec_b64 s[68:69], s[28:29]
	s_cbranch_execz .LBB2_1574
; %bb.1571:                             ;   in Loop: Header=BB2_1275 Depth=4
	v_and_b32_e32 v9, 0x7f, v11
	v_cmp_ne_u32_e64 s[28:29], s92, v9
	v_mov_b32_e32 v8, 0x7f800001
	s_and_saveexec_b64 s[70:71], s[28:29]
	s_cbranch_execz .LBB2_1573
; %bb.1572:                             ;   in Loop: Header=BB2_1275 Depth=4
	v_and_b32_e32 v8, 7, v11
	v_ffbh_u32_e32 v8, v8
	v_min_u32_e32 v8, 32, v8
	v_lshrrev_b32_e32 v12, 3, v9
	v_subrev_u32_e32 v34, 28, v8
	v_sub_u32_e32 v8, 29, v8
	v_cmp_gt_u32_e64 s[28:29], 8, v9
	v_mov_b32_e32 v32, v11
	v_mov_b32_e32 v33, v61
	v_cndmask_b32_e64 v12, v12, v8, s[28:29]
	v_cndmask_b32_e64 v8, 0, v34, s[28:29]
	v_lshlrev_b64 v[8:9], v8, v[32:33]
	v_lshlrev_b32_e32 v8, 20, v8
	v_lshlrev_b32_e32 v9, 24, v32
	v_and_b32_e32 v8, 0x700000, v8
	v_and_b32_e32 v9, 0x80000000, v9
	v_lshl_add_u32 v12, v12, 23, v0
	v_or3_b32 v8, v9, v12, v8
.LBB2_1573:                             ;   in Loop: Header=BB2_1275 Depth=4
	s_or_b64 exec, exec, s[70:71]
.LBB2_1574:                             ;   in Loop: Header=BB2_1275 Depth=4
	s_or_b64 exec, exec, s[68:69]
.LBB2_1575:                             ;   in Loop: Header=BB2_1275 Depth=4
	s_or_b64 exec, exec, s[30:31]
	v_add_f32_e32 v12, v3, v8
	v_and_b32_sdwa v3, v12, s91 dst_sel:DWORD dst_unused:UNUSED_PAD src0_sel:BYTE_3 src1_sel:DWORD
	v_and_b32_e32 v32, 0x7f800000, v12
	v_mov_b32_e32 v33, v61
	v_and_b32_e32 v8, 0x7fffff, v12
	v_mov_b32_e32 v9, v61
	v_or_b32_e32 v39, 0x7e, v3
	v_cmp_ne_u64_e64 s[28:29], s[54:55], v[32:33]
	s_and_saveexec_b64 s[30:31], s[28:29]
	s_xor_b64 s[68:69], exec, s[30:31]
	s_cbranch_execz .LBB2_1585
; %bb.1576:                             ;   in Loop: Header=BB2_1275 Depth=4
	v_and_b32_e32 v32, 0x7fffffff, v12
	v_mov_b32_e32 v33, v61
	v_cmp_gt_u64_e64 s[28:29], s[56:57], v[32:33]
	s_and_saveexec_b64 s[70:71], s[28:29]
	s_cbranch_execz .LBB2_1584
; %bb.1577:                             ;   in Loop: Header=BB2_1275 Depth=4
	v_cmp_ne_u32_e64 s[28:29], 0, v12
	v_mov_b32_e32 v39, 0
	s_and_saveexec_b64 s[72:73], s[28:29]
	s_cbranch_execz .LBB2_1583
; %bb.1578:                             ;   in Loop: Header=BB2_1275 Depth=4
	v_bfe_u32 v12, v12, 23, 8
	v_sub_u32_e32 v33, 0x79, v12
	v_cmp_gt_u32_e64 s[28:29], s93, v12
	v_add_u32_e32 v32, 0xffffff81, v12
	v_cndmask_b32_e64 v33, 0, v33, s[28:29]
	v_cmp_eq_u32_e64 s[28:29], 0, v12
	v_mov_b32_e32 v12, 0xffffff82
	v_cndmask_b32_e64 v12, v32, v12, s[28:29]
	v_mov_b32_e32 v32, 0x78
	v_cndmask_b32_e64 v39, v33, v32, s[28:29]
	v_add_u32_e32 v32, 20, v39
	v_or_b32_e32 v34, 0x800000, v8
	v_lshlrev_b64 v[32:33], v32, -1
	v_cndmask_b32_e64 v8, v34, v8, s[28:29]
	v_not_b32_e32 v32, v32
	v_and_b32_e32 v32, v8, v32
	v_lshrrev_b64 v[8:9], v39, v[8:9]
	v_not_b32_e32 v33, v33
	v_add_u32_e32 v34, 19, v39
	v_lshrrev_b32_e32 v52, 23, v8
	v_and_b32_e32 v33, 0, v33
	v_lshlrev_b64 v[34:35], v34, 1
	v_add3_u32 v52, v39, v12, v52
	v_bfe_u32 v12, v8, 20, 1
	v_add_u32_e32 v12, -1, v12
	v_cmp_eq_u64_e64 s[28:29], v[32:33], v[34:35]
	v_cndmask_b32_e64 v12, 0, v12, s[28:29]
	v_add_u32_e32 v12, v12, v8
	v_and_b32_e32 v12, 0xfffff, v12
	v_add_co_u32_e64 v8, s[28:29], v12, v8
	v_add_u32_e32 v39, 6, v52
	v_addc_co_u32_e64 v9, s[28:29], 0, v9, s[28:29]
	v_cmp_ne_u32_e64 s[28:29], 0, v39
                                        ; implicit-def: $vgpr12
	s_and_saveexec_b64 s[30:31], s[28:29]
	s_xor_b64 s[30:31], exec, s[30:31]
; %bb.1579:                             ;   in Loop: Header=BB2_1275 Depth=4
	v_cmp_lt_u64_e64 s[28:29], s[58:59], v[8:9]
	v_add_u32_e32 v12, 7, v52
	v_cndmask_b32_e64 v32, 0, 1, s[28:29]
	v_cndmask_b32_e64 v12, v39, v12, s[28:29]
	v_lshrrev_b64 v[8:9], v32, v[8:9]
; %bb.1580:                             ;   in Loop: Header=BB2_1275 Depth=4
	s_andn2_saveexec_b64 s[28:29], s[30:31]
; %bb.1581:                             ;   in Loop: Header=BB2_1275 Depth=4
	v_bfe_u32 v12, v8, 23, 1
; %bb.1582:                             ;   in Loop: Header=BB2_1275 Depth=4
	s_or_b64 exec, exec, s[28:29]
	v_lshrrev_b64 v[8:9], 20, v[8:9]
	v_cmp_gt_i32_e64 s[28:29], 16, v12
	v_cndmask_b32_e64 v9, 0, v9, s[28:29]
	v_cndmask_b32_e64 v8, 7, v8, s[28:29]
	v_cmp_eq_u64_e64 s[30:31], 0, v[8:9]
	v_min_i32_e32 v9, 15, v12
	v_cmp_eq_u32_e64 s[28:29], 0, v12
	v_lshlrev_b32_e32 v9, 3, v9
	v_and_or_b32 v8, v8, 7, v9
	s_and_b64 s[28:29], s[28:29], s[30:31]
	v_cndmask_b32_e64 v8, v8, 0, s[28:29]
	v_or_b32_e32 v39, v8, v3
.LBB2_1583:                             ;   in Loop: Header=BB2_1275 Depth=4
	s_or_b64 exec, exec, s[72:73]
.LBB2_1584:                             ;   in Loop: Header=BB2_1275 Depth=4
	s_or_b64 exec, exec, s[70:71]
                                        ; implicit-def: $vgpr12
                                        ; implicit-def: $vgpr8_vgpr9
.LBB2_1585:                             ;   in Loop: Header=BB2_1275 Depth=4
	s_andn2_saveexec_b64 s[30:31], s[68:69]
; %bb.1586:                             ;   in Loop: Header=BB2_1275 Depth=4
	v_or_b32_sdwa v3, v12, s92 dst_sel:DWORD dst_unused:UNUSED_PAD src0_sel:BYTE_3 src1_sel:DWORD
	v_cmp_eq_u64_e64 s[28:29], 0, v[8:9]
	v_cndmask_b32_e64 v39, v3, v39, s[28:29]
; %bb.1587:                             ;   in Loop: Header=BB2_1275 Depth=4
	s_or_b64 exec, exec, s[30:31]
	v_lshrrev_b16_e32 v8, 8, v60
	v_cmp_ne_u16_e64 s[28:29], 0, v8
	v_mov_b32_e32 v3, 0
	v_mov_b32_e32 v9, 0
	s_and_saveexec_b64 s[30:31], s[28:29]
	s_cbranch_execz .LBB2_1593
; %bb.1588:                             ;   in Loop: Header=BB2_1275 Depth=4
	v_cmp_ne_u16_e64 s[28:29], s91, v8
	v_bfrev_b32_e32 v9, 1
	s_and_saveexec_b64 s[68:69], s[28:29]
	s_cbranch_execz .LBB2_1592
; %bb.1589:                             ;   in Loop: Header=BB2_1275 Depth=4
	v_and_b32_e32 v12, 0x7f, v8
	v_cmp_ne_u32_e64 s[28:29], s92, v12
	v_mov_b32_e32 v9, 0x7f800001
	s_and_saveexec_b64 s[70:71], s[28:29]
	s_cbranch_execz .LBB2_1591
; %bb.1590:                             ;   in Loop: Header=BB2_1275 Depth=4
	v_and_b32_e32 v32, 7, v8
	v_ffbh_u32_e32 v9, v32
	v_min_u32_e32 v34, 32, v9
	v_subrev_u32_e32 v9, 28, v34
	v_lshlrev_b64 v[8:9], v9, v[8:9]
	v_lshrrev_b32_e32 v33, 3, v12
	v_sub_u32_e32 v9, 29, v34
	v_and_b32_e32 v8, 7, v8
	v_cmp_gt_u32_e64 s[28:29], 8, v12
	v_cndmask_b32_e64 v9, v33, v9, s[28:29]
	v_cndmask_b32_e64 v8, v32, v8, s[28:29]
	v_lshlrev_b32_e32 v12, 16, v60
	v_lshlrev_b32_e32 v8, 20, v8
	v_and_b32_e32 v12, 0x80000000, v12
	v_lshl_add_u32 v9, v9, 23, v0
	v_or3_b32 v9, v12, v9, v8
.LBB2_1591:                             ;   in Loop: Header=BB2_1275 Depth=4
	s_or_b64 exec, exec, s[70:71]
.LBB2_1592:                             ;   in Loop: Header=BB2_1275 Depth=4
	s_or_b64 exec, exec, s[68:69]
.LBB2_1593:                             ;   in Loop: Header=BB2_1275 Depth=4
	s_or_b64 exec, exec, s[30:31]
	v_mov_b32_e32 v8, v11
	v_lshrrev_b16_e32 v12, 8, v8
	v_cmp_ne_u16_e64 s[28:29], 0, v12
	s_and_saveexec_b64 s[30:31], s[28:29]
	s_cbranch_execz .LBB2_1599
; %bb.1594:                             ;   in Loop: Header=BB2_1275 Depth=4
	v_cmp_ne_u16_e64 s[28:29], s91, v12
	v_bfrev_b32_e32 v3, 1
	s_and_saveexec_b64 s[68:69], s[28:29]
	s_cbranch_execz .LBB2_1598
; %bb.1595:                             ;   in Loop: Header=BB2_1275 Depth=4
	v_and_b32_e32 v52, 0x7f, v12
	v_cmp_ne_u32_e64 s[28:29], s92, v52
	v_mov_b32_e32 v3, 0x7f800001
	s_and_saveexec_b64 s[70:71], s[28:29]
	s_cbranch_execz .LBB2_1597
; %bb.1596:                             ;   in Loop: Header=BB2_1275 Depth=4
	v_and_b32_e32 v3, 7, v12
	v_ffbh_u32_e32 v32, v3
	v_min_u32_e32 v35, 32, v32
	v_subrev_u32_e32 v32, 28, v35
	v_lshlrev_b64 v[32:33], v32, v[12:13]
	v_lshrrev_b32_e32 v34, 3, v52
	v_sub_u32_e32 v12, 29, v35
	v_and_b32_e32 v32, 7, v32
	v_cmp_gt_u32_e64 s[28:29], 8, v52
	v_cndmask_b32_e64 v12, v34, v12, s[28:29]
	v_cndmask_b32_e64 v3, v3, v32, s[28:29]
	v_lshlrev_b32_e32 v8, 16, v8
	v_lshlrev_b32_e32 v3, 20, v3
	v_and_b32_e32 v8, 0x80000000, v8
	v_lshl_add_u32 v12, v12, 23, v0
	v_or3_b32 v3, v8, v12, v3
.LBB2_1597:                             ;   in Loop: Header=BB2_1275 Depth=4
	s_or_b64 exec, exec, s[70:71]
.LBB2_1598:                             ;   in Loop: Header=BB2_1275 Depth=4
	s_or_b64 exec, exec, s[68:69]
.LBB2_1599:                             ;   in Loop: Header=BB2_1275 Depth=4
	s_or_b64 exec, exec, s[30:31]
	v_add_f32_e32 v8, v9, v3
	v_and_b32_sdwa v3, v8, s91 dst_sel:DWORD dst_unused:UNUSED_PAD src0_sel:BYTE_3 src1_sel:DWORD
	v_and_b32_e32 v32, 0x7f800000, v8
	v_mov_b32_e32 v33, v61
	v_and_b32_e32 v60, 0x7fffff, v8
	v_or_b32_e32 v12, 0x7e, v3
	v_cmp_ne_u64_e64 s[28:29], s[54:55], v[32:33]
	s_and_saveexec_b64 s[30:31], s[28:29]
	s_xor_b64 s[68:69], exec, s[30:31]
	s_cbranch_execz .LBB2_1609
; %bb.1600:                             ;   in Loop: Header=BB2_1275 Depth=4
	v_and_b32_e32 v32, 0x7fffffff, v8
	v_mov_b32_e32 v33, v61
	v_cmp_gt_u64_e64 s[28:29], s[56:57], v[32:33]
	s_and_saveexec_b64 s[70:71], s[28:29]
	s_cbranch_execz .LBB2_1608
; %bb.1601:                             ;   in Loop: Header=BB2_1275 Depth=4
	v_cmp_ne_u32_e64 s[28:29], 0, v8
	v_mov_b32_e32 v12, 0
	s_and_saveexec_b64 s[72:73], s[28:29]
	s_cbranch_execz .LBB2_1607
; %bb.1602:                             ;   in Loop: Header=BB2_1275 Depth=4
	v_bfe_u32 v8, v8, 23, 8
	v_sub_u32_e32 v12, 0x79, v8
	v_cmp_gt_u32_e64 s[28:29], s93, v8
	v_add_u32_e32 v9, 0xffffff81, v8
	v_cndmask_b32_e64 v12, 0, v12, s[28:29]
	v_cmp_eq_u32_e64 s[28:29], 0, v8
	v_mov_b32_e32 v8, 0xffffff82
	v_cndmask_b32_e64 v52, v9, v8, s[28:29]
	v_mov_b32_e32 v8, 0x78
	v_or_b32_e32 v32, 0x800000, v60
	v_cndmask_b32_e64 v12, v12, v8, s[28:29]
	v_cndmask_b32_e64 v60, v32, v60, s[28:29]
	v_add_u32_e32 v8, 20, v12
	v_lshlrev_b64 v[8:9], v8, -1
	v_lshrrev_b64 v[34:35], v12, v[60:61]
	v_not_b32_e32 v9, v9
	v_not_b32_e32 v8, v8
	v_add_u32_e32 v32, 19, v12
	v_lshrrev_b32_e32 v53, 23, v34
	v_and_b32_e32 v9, 0, v9
	v_and_b32_e32 v8, v60, v8
	v_lshlrev_b64 v[32:33], v32, 1
	v_add3_u32 v53, v12, v52, v53
	v_bfe_u32 v12, v34, 20, 1
	v_add_u32_e32 v12, -1, v12
	v_cmp_eq_u64_e64 s[28:29], v[8:9], v[32:33]
	v_cndmask_b32_e64 v8, 0, v12, s[28:29]
	v_add_u32_e32 v8, v8, v34
	v_and_b32_e32 v8, 0xfffff, v8
	v_add_co_u32_e64 v8, s[28:29], v8, v34
	v_add_u32_e32 v52, 6, v53
	v_addc_co_u32_e64 v9, s[28:29], 0, v35, s[28:29]
	v_cmp_ne_u32_e64 s[28:29], 0, v52
                                        ; implicit-def: $vgpr12
	s_and_saveexec_b64 s[30:31], s[28:29]
	s_xor_b64 s[30:31], exec, s[30:31]
; %bb.1603:                             ;   in Loop: Header=BB2_1275 Depth=4
	v_cmp_lt_u64_e64 s[28:29], s[58:59], v[8:9]
	v_add_u32_e32 v12, 7, v53
	v_cndmask_b32_e64 v32, 0, 1, s[28:29]
	v_cndmask_b32_e64 v12, v52, v12, s[28:29]
	v_lshrrev_b64 v[8:9], v32, v[8:9]
; %bb.1604:                             ;   in Loop: Header=BB2_1275 Depth=4
	s_andn2_saveexec_b64 s[28:29], s[30:31]
; %bb.1605:                             ;   in Loop: Header=BB2_1275 Depth=4
	v_bfe_u32 v12, v8, 23, 1
; %bb.1606:                             ;   in Loop: Header=BB2_1275 Depth=4
	s_or_b64 exec, exec, s[28:29]
	v_lshrrev_b64 v[8:9], 20, v[8:9]
	v_cmp_gt_i32_e64 s[28:29], 16, v12
	v_cndmask_b32_e64 v9, 0, v9, s[28:29]
	v_cndmask_b32_e64 v8, 7, v8, s[28:29]
	v_cmp_eq_u64_e64 s[30:31], 0, v[8:9]
	v_min_i32_e32 v9, 15, v12
	v_cmp_eq_u32_e64 s[28:29], 0, v12
	v_lshlrev_b32_e32 v9, 3, v9
	v_and_or_b32 v8, v8, 7, v9
	s_and_b64 s[28:29], s[28:29], s[30:31]
	v_cndmask_b32_e64 v8, v8, 0, s[28:29]
	v_or_b32_e32 v12, v8, v3
.LBB2_1607:                             ;   in Loop: Header=BB2_1275 Depth=4
	s_or_b64 exec, exec, s[72:73]
.LBB2_1608:                             ;   in Loop: Header=BB2_1275 Depth=4
	s_or_b64 exec, exec, s[70:71]
                                        ; implicit-def: $vgpr8
.LBB2_1609:                             ;   in Loop: Header=BB2_1275 Depth=4
	s_andn2_saveexec_b64 s[30:31], s[68:69]
; %bb.1610:                             ;   in Loop: Header=BB2_1275 Depth=4
	v_or_b32_sdwa v3, v8, s92 dst_sel:DWORD dst_unused:UNUSED_PAD src0_sel:BYTE_3 src1_sel:DWORD
	v_cmp_eq_u64_e64 s[28:29], 0, v[60:61]
	v_cndmask_b32_e64 v12, v3, v12, s[28:29]
; %bb.1611:                             ;   in Loop: Header=BB2_1275 Depth=4
	s_or_b64 exec, exec, s[30:31]
	v_lshrrev_b32_e32 v8, 16, v15
	v_cmp_ne_u16_sdwa s[28:29], v8, v61 src0_sel:BYTE_0 src1_sel:DWORD
	v_mov_b32_e32 v3, 0
	v_mov_b32_e32 v9, 0
	s_and_saveexec_b64 s[30:31], s[28:29]
	s_cbranch_execz .LBB2_1617
; %bb.1612:                             ;   in Loop: Header=BB2_1275 Depth=4
	v_cmp_ne_u16_sdwa s[28:29], v8, s91 src0_sel:BYTE_0 src1_sel:DWORD
	v_bfrev_b32_e32 v9, 1
	s_and_saveexec_b64 s[68:69], s[28:29]
	s_cbranch_execz .LBB2_1616
; %bb.1613:                             ;   in Loop: Header=BB2_1275 Depth=4
	v_bfe_u32 v52, v15, 16, 7
	v_cmp_ne_u32_e64 s[28:29], s92, v52
	v_mov_b32_e32 v9, 0x7f800001
	s_and_saveexec_b64 s[70:71], s[28:29]
	s_cbranch_execz .LBB2_1615
; %bb.1614:                             ;   in Loop: Header=BB2_1275 Depth=4
	v_and_b32_e32 v9, 7, v8
	v_ffbh_u32_e32 v32, v9
	v_min_u32_e32 v35, 32, v32
	v_subrev_u32_e32 v32, 28, v35
	v_lshlrev_b64 v[32:33], v32, v[8:9]
	v_lshrrev_b32_e32 v34, 3, v52
	v_sub_u32_e32 v33, 29, v35
	v_and_b32_e32 v32, 7, v32
	v_cmp_gt_u32_e64 s[28:29], 8, v52
	v_cndmask_b32_e64 v33, v34, v33, s[28:29]
	v_cndmask_b32_e64 v9, v9, v32, s[28:29]
	v_lshlrev_b32_e32 v8, 24, v8
	v_lshlrev_b32_e32 v9, 20, v9
	v_and_b32_e32 v8, 0x80000000, v8
	v_lshl_add_u32 v32, v33, 23, v0
	v_or3_b32 v9, v8, v32, v9
.LBB2_1615:                             ;   in Loop: Header=BB2_1275 Depth=4
	s_or_b64 exec, exec, s[70:71]
.LBB2_1616:                             ;   in Loop: Header=BB2_1275 Depth=4
	s_or_b64 exec, exec, s[68:69]
.LBB2_1617:                             ;   in Loop: Header=BB2_1275 Depth=4
	s_or_b64 exec, exec, s[30:31]
	v_lshrrev_b32_e32 v8, 16, v11
	v_cmp_ne_u16_sdwa s[28:29], v8, v61 src0_sel:BYTE_0 src1_sel:DWORD
	s_and_saveexec_b64 s[30:31], s[28:29]
	s_cbranch_execz .LBB2_1623
; %bb.1618:                             ;   in Loop: Header=BB2_1275 Depth=4
	v_cmp_ne_u16_sdwa s[28:29], v8, s91 src0_sel:BYTE_0 src1_sel:DWORD
	v_bfrev_b32_e32 v3, 1
	s_and_saveexec_b64 s[68:69], s[28:29]
	s_cbranch_execz .LBB2_1622
; %bb.1619:                             ;   in Loop: Header=BB2_1275 Depth=4
	v_bfe_u32 v52, v11, 16, 7
	v_cmp_ne_u32_e64 s[28:29], s92, v52
	v_mov_b32_e32 v3, 0x7f800001
	s_and_saveexec_b64 s[70:71], s[28:29]
	s_cbranch_execz .LBB2_1621
; %bb.1620:                             ;   in Loop: Header=BB2_1275 Depth=4
	v_and_b32_e32 v3, 7, v8
	v_ffbh_u32_e32 v32, v3
	v_min_u32_e32 v35, 32, v32
	v_subrev_u32_e32 v32, 28, v35
	v_lshlrev_b64 v[32:33], v32, v[8:9]
	v_lshrrev_b32_e32 v34, 3, v52
	v_sub_u32_e32 v8, 29, v35
	v_and_b32_e32 v32, 7, v32
	v_cmp_gt_u32_e64 s[28:29], 8, v52
	v_cndmask_b32_e64 v8, v34, v8, s[28:29]
	v_cndmask_b32_e64 v3, v3, v32, s[28:29]
	v_lshlrev_b32_e32 v32, 8, v11
	v_lshlrev_b32_e32 v3, 20, v3
	v_and_b32_e32 v32, 0x80000000, v32
	v_lshl_add_u32 v8, v8, 23, v0
	v_or3_b32 v3, v32, v8, v3
.LBB2_1621:                             ;   in Loop: Header=BB2_1275 Depth=4
	s_or_b64 exec, exec, s[70:71]
.LBB2_1622:                             ;   in Loop: Header=BB2_1275 Depth=4
	s_or_b64 exec, exec, s[68:69]
.LBB2_1623:                             ;   in Loop: Header=BB2_1275 Depth=4
	s_or_b64 exec, exec, s[30:31]
	v_add_f32_e32 v8, v9, v3
	v_and_b32_sdwa v52, v8, s91 dst_sel:DWORD dst_unused:UNUSED_PAD src0_sel:BYTE_3 src1_sel:DWORD
	v_and_b32_e32 v32, 0x7f800000, v8
	v_mov_b32_e32 v33, v61
	v_and_b32_e32 v60, 0x7fffff, v8
	v_or_b32_e32 v3, 0x7e, v52
	v_cmp_ne_u64_e64 s[28:29], s[54:55], v[32:33]
	s_and_saveexec_b64 s[30:31], s[28:29]
	s_xor_b64 s[68:69], exec, s[30:31]
	s_cbranch_execz .LBB2_1633
; %bb.1624:                             ;   in Loop: Header=BB2_1275 Depth=4
	v_and_b32_e32 v32, 0x7fffffff, v8
	v_mov_b32_e32 v33, v61
	v_cmp_gt_u64_e64 s[28:29], s[56:57], v[32:33]
	s_and_saveexec_b64 s[70:71], s[28:29]
	s_cbranch_execz .LBB2_1632
; %bb.1625:                             ;   in Loop: Header=BB2_1275 Depth=4
	v_cmp_ne_u32_e64 s[28:29], 0, v8
	v_mov_b32_e32 v3, 0
	s_and_saveexec_b64 s[72:73], s[28:29]
	s_cbranch_execz .LBB2_1631
; %bb.1626:                             ;   in Loop: Header=BB2_1275 Depth=4
	v_bfe_u32 v3, v8, 23, 8
	v_sub_u32_e32 v9, 0x79, v3
	v_cmp_gt_u32_e64 s[28:29], s93, v3
	v_add_u32_e32 v8, 0xffffff81, v3
	v_cndmask_b32_e64 v9, 0, v9, s[28:29]
	v_cmp_eq_u32_e64 s[28:29], 0, v3
	v_mov_b32_e32 v3, 0xffffff82
	v_cndmask_b32_e64 v3, v8, v3, s[28:29]
	v_mov_b32_e32 v8, 0x78
	v_or_b32_e32 v32, 0x800000, v60
	v_cndmask_b32_e64 v53, v9, v8, s[28:29]
	v_cndmask_b32_e64 v60, v32, v60, s[28:29]
	v_add_u32_e32 v8, 20, v53
	v_lshlrev_b64 v[8:9], v8, -1
	v_lshrrev_b64 v[34:35], v53, v[60:61]
	v_not_b32_e32 v9, v9
	v_not_b32_e32 v8, v8
	v_add_u32_e32 v32, 19, v53
	v_lshrrev_b32_e32 v54, 23, v34
	v_and_b32_e32 v9, 0, v9
	v_and_b32_e32 v8, v60, v8
	v_lshlrev_b64 v[32:33], v32, 1
	v_add3_u32 v54, v53, v3, v54
	v_bfe_u32 v3, v34, 20, 1
	v_add_u32_e32 v3, -1, v3
	v_cmp_eq_u64_e64 s[28:29], v[8:9], v[32:33]
	v_cndmask_b32_e64 v3, 0, v3, s[28:29]
	v_add_u32_e32 v3, v3, v34
	v_and_b32_e32 v3, 0xfffff, v3
	v_add_co_u32_e64 v8, s[28:29], v3, v34
	v_add_u32_e32 v53, 6, v54
	v_addc_co_u32_e64 v9, s[28:29], 0, v35, s[28:29]
	v_cmp_ne_u32_e64 s[28:29], 0, v53
                                        ; implicit-def: $vgpr3
	s_and_saveexec_b64 s[30:31], s[28:29]
	s_xor_b64 s[30:31], exec, s[30:31]
; %bb.1627:                             ;   in Loop: Header=BB2_1275 Depth=4
	v_cmp_lt_u64_e64 s[28:29], s[58:59], v[8:9]
	v_add_u32_e32 v3, 7, v54
	v_cndmask_b32_e64 v32, 0, 1, s[28:29]
	v_cndmask_b32_e64 v3, v53, v3, s[28:29]
	v_lshrrev_b64 v[8:9], v32, v[8:9]
; %bb.1628:                             ;   in Loop: Header=BB2_1275 Depth=4
	s_andn2_saveexec_b64 s[28:29], s[30:31]
; %bb.1629:                             ;   in Loop: Header=BB2_1275 Depth=4
	v_bfe_u32 v3, v8, 23, 1
; %bb.1630:                             ;   in Loop: Header=BB2_1275 Depth=4
	s_or_b64 exec, exec, s[28:29]
	v_lshrrev_b64 v[8:9], 20, v[8:9]
	v_cmp_gt_i32_e64 s[28:29], 16, v3
	v_cndmask_b32_e64 v9, 0, v9, s[28:29]
	v_cndmask_b32_e64 v8, 7, v8, s[28:29]
	v_cmp_eq_u32_e64 s[28:29], 0, v3
	v_min_i32_e32 v3, 15, v3
	v_lshlrev_b32_e32 v3, 3, v3
	v_cmp_eq_u64_e64 s[30:31], 0, v[8:9]
	v_and_b32_e32 v3, 0xf8, v3
	v_and_or_b32 v3, v8, 7, v3
	s_and_b64 s[28:29], s[28:29], s[30:31]
	v_cndmask_b32_e64 v3, v3, 0, s[28:29]
	v_or_b32_e32 v3, v3, v52
.LBB2_1631:                             ;   in Loop: Header=BB2_1275 Depth=4
	s_or_b64 exec, exec, s[72:73]
.LBB2_1632:                             ;   in Loop: Header=BB2_1275 Depth=4
	s_or_b64 exec, exec, s[70:71]
                                        ; implicit-def: $vgpr8
.LBB2_1633:                             ;   in Loop: Header=BB2_1275 Depth=4
	s_andn2_saveexec_b64 s[30:31], s[68:69]
; %bb.1634:                             ;   in Loop: Header=BB2_1275 Depth=4
	v_or_b32_sdwa v8, v8, s92 dst_sel:DWORD dst_unused:UNUSED_PAD src0_sel:BYTE_3 src1_sel:DWORD
	v_cmp_eq_u64_e64 s[28:29], 0, v[60:61]
	v_cndmask_b32_e64 v3, v8, v3, s[28:29]
; %bb.1635:                             ;   in Loop: Header=BB2_1275 Depth=4
	s_or_b64 exec, exec, s[30:31]
	v_cmp_lt_u64_e64 s[28:29], s[44:45], v[14:15]
	v_mov_b32_e32 v9, 0
	v_mov_b32_e32 v14, 0
	s_and_saveexec_b64 s[30:31], s[28:29]
	s_cbranch_execz .LBB2_1641
; %bb.1636:                             ;   in Loop: Header=BB2_1275 Depth=4
	v_lshrrev_b32_e32 v8, 24, v15
	v_cmp_ne_u32_e64 s[28:29], s91, v8
	v_bfrev_b32_e32 v14, 1
	s_and_saveexec_b64 s[68:69], s[28:29]
	s_cbranch_execz .LBB2_1640
; %bb.1637:                             ;   in Loop: Header=BB2_1275 Depth=4
	v_bfe_u32 v15, v15, 24, 7
	v_cmp_ne_u32_e64 s[28:29], s92, v15
	v_mov_b32_e32 v14, 0x7f800001
	s_and_saveexec_b64 s[70:71], s[28:29]
	s_cbranch_execz .LBB2_1639
; %bb.1638:                             ;   in Loop: Header=BB2_1275 Depth=4
	v_and_b32_e32 v14, 7, v8
	v_ffbh_u32_e32 v32, v14
	v_min_u32_e32 v35, 32, v32
	v_subrev_u32_e32 v32, 28, v35
	v_lshlrev_b64 v[32:33], v32, v[8:9]
	v_lshrrev_b32_e32 v34, 3, v15
	v_sub_u32_e32 v33, 29, v35
	v_and_b32_e32 v32, 7, v32
	v_cmp_gt_u32_e64 s[28:29], 8, v15
	v_cndmask_b32_e64 v15, v34, v33, s[28:29]
	v_cndmask_b32_e64 v14, v14, v32, s[28:29]
	v_lshlrev_b32_e32 v8, 24, v8
	v_lshlrev_b32_e32 v14, 20, v14
	v_and_b32_e32 v8, 0x80000000, v8
	v_lshl_add_u32 v15, v15, 23, v0
	v_or3_b32 v14, v8, v15, v14
.LBB2_1639:                             ;   in Loop: Header=BB2_1275 Depth=4
	s_or_b64 exec, exec, s[70:71]
.LBB2_1640:                             ;   in Loop: Header=BB2_1275 Depth=4
	s_or_b64 exec, exec, s[68:69]
.LBB2_1641:                             ;   in Loop: Header=BB2_1275 Depth=4
	s_or_b64 exec, exec, s[30:31]
	v_cmp_lt_u64_e64 s[28:29], s[44:45], v[10:11]
	s_and_saveexec_b64 s[30:31], s[28:29]
	s_cbranch_execz .LBB2_1647
; %bb.1642:                             ;   in Loop: Header=BB2_1275 Depth=4
	v_lshrrev_b32_e32 v8, 24, v11
	v_cmp_ne_u32_e64 s[28:29], s91, v8
	v_bfrev_b32_e32 v9, 1
	s_and_saveexec_b64 s[68:69], s[28:29]
	s_cbranch_execz .LBB2_1646
; %bb.1643:                             ;   in Loop: Header=BB2_1275 Depth=4
	v_bfe_u32 v10, v11, 24, 7
	v_cmp_ne_u32_e64 s[28:29], s92, v10
	v_mov_b32_e32 v9, 0x7f800001
	s_and_saveexec_b64 s[70:71], s[28:29]
	s_cbranch_execz .LBB2_1645
; %bb.1644:                             ;   in Loop: Header=BB2_1275 Depth=4
	v_and_b32_e32 v9, 7, v8
	v_ffbh_u32_e32 v15, v9
	v_min_u32_e32 v15, 32, v15
	v_subrev_u32_e32 v32, 28, v15
	v_lshlrev_b64 v[32:33], v32, v[8:9]
	v_lshrrev_b32_e32 v11, 3, v10
	v_sub_u32_e32 v15, 29, v15
	v_and_b32_e32 v32, 7, v32
	v_cmp_gt_u32_e64 s[28:29], 8, v10
	v_cndmask_b32_e64 v10, v11, v15, s[28:29]
	v_cndmask_b32_e64 v9, v9, v32, s[28:29]
	v_lshlrev_b32_e32 v8, 24, v8
	v_lshlrev_b32_e32 v9, 20, v9
	v_and_b32_e32 v8, 0x80000000, v8
	v_lshl_add_u32 v10, v10, 23, v0
	v_or3_b32 v9, v8, v10, v9
.LBB2_1645:                             ;   in Loop: Header=BB2_1275 Depth=4
	s_or_b64 exec, exec, s[70:71]
.LBB2_1646:                             ;   in Loop: Header=BB2_1275 Depth=4
	s_or_b64 exec, exec, s[68:69]
.LBB2_1647:                             ;   in Loop: Header=BB2_1275 Depth=4
	s_or_b64 exec, exec, s[30:31]
	v_add_f32_e32 v9, v14, v9
	v_and_b32_sdwa v10, v9, s91 dst_sel:DWORD dst_unused:UNUSED_PAD src0_sel:BYTE_3 src1_sel:DWORD
	v_and_b32_e32 v14, 0x7f800000, v9
	v_mov_b32_e32 v15, v61
	v_and_b32_e32 v60, 0x7fffff, v9
	v_or_b32_e32 v8, 0x7e, v10
	v_cmp_ne_u64_e64 s[28:29], s[54:55], v[14:15]
	s_and_saveexec_b64 s[30:31], s[28:29]
	s_xor_b64 s[68:69], exec, s[30:31]
	s_cbranch_execz .LBB2_1657
; %bb.1648:                             ;   in Loop: Header=BB2_1275 Depth=4
	v_and_b32_e32 v14, 0x7fffffff, v9
	v_mov_b32_e32 v15, v61
	v_cmp_gt_u64_e64 s[28:29], s[56:57], v[14:15]
	s_and_saveexec_b64 s[70:71], s[28:29]
	s_cbranch_execz .LBB2_1656
; %bb.1649:                             ;   in Loop: Header=BB2_1275 Depth=4
	v_cmp_ne_u32_e64 s[28:29], 0, v9
	v_mov_b32_e32 v8, 0
	s_and_saveexec_b64 s[72:73], s[28:29]
	s_cbranch_execz .LBB2_1655
; %bb.1650:                             ;   in Loop: Header=BB2_1275 Depth=4
	v_bfe_u32 v8, v9, 23, 8
	v_sub_u32_e32 v11, 0x79, v8
	v_cmp_gt_u32_e64 s[28:29], s93, v8
	v_add_u32_e32 v9, 0xffffff81, v8
	v_cndmask_b32_e64 v11, 0, v11, s[28:29]
	v_cmp_eq_u32_e64 s[28:29], 0, v8
	v_mov_b32_e32 v8, 0xffffff82
	v_cndmask_b32_e64 v15, v9, v8, s[28:29]
	v_mov_b32_e32 v8, 0x78
	v_or_b32_e32 v14, 0x800000, v60
	v_cndmask_b32_e64 v11, v11, v8, s[28:29]
	v_cndmask_b32_e64 v60, v14, v60, s[28:29]
	v_add_u32_e32 v8, 20, v11
	v_lshlrev_b64 v[8:9], v8, -1
	v_add_u32_e32 v14, 19, v11
	v_lshrrev_b64 v[34:35], v11, v[60:61]
	v_not_b32_e32 v9, v9
	v_not_b32_e32 v8, v8
	v_lshlrev_b64 v[32:33], v14, 1
	v_lshrrev_b32_e32 v14, 23, v34
	v_and_b32_e32 v9, 0, v9
	v_and_b32_e32 v8, v60, v8
	v_add3_u32 v15, v11, v15, v14
	v_bfe_u32 v11, v34, 20, 1
	v_add_u32_e32 v11, -1, v11
	v_cmp_eq_u64_e64 s[28:29], v[8:9], v[32:33]
	v_cndmask_b32_e64 v8, 0, v11, s[28:29]
	v_add_u32_e32 v8, v8, v34
	v_and_b32_e32 v8, 0xfffff, v8
	v_add_co_u32_e64 v8, s[28:29], v8, v34
	v_add_u32_e32 v14, 6, v15
	v_addc_co_u32_e64 v9, s[28:29], 0, v35, s[28:29]
	v_cmp_ne_u32_e64 s[28:29], 0, v14
                                        ; implicit-def: $vgpr11
	s_and_saveexec_b64 s[30:31], s[28:29]
	s_xor_b64 s[30:31], exec, s[30:31]
; %bb.1651:                             ;   in Loop: Header=BB2_1275 Depth=4
	v_add_u32_e32 v11, 7, v15
	v_cmp_lt_u64_e64 s[28:29], s[58:59], v[8:9]
	v_cndmask_b32_e64 v11, v14, v11, s[28:29]
	v_cndmask_b32_e64 v14, 0, 1, s[28:29]
	v_lshrrev_b64 v[8:9], v14, v[8:9]
; %bb.1652:                             ;   in Loop: Header=BB2_1275 Depth=4
	s_andn2_saveexec_b64 s[28:29], s[30:31]
; %bb.1653:                             ;   in Loop: Header=BB2_1275 Depth=4
	v_bfe_u32 v11, v8, 23, 1
; %bb.1654:                             ;   in Loop: Header=BB2_1275 Depth=4
	s_or_b64 exec, exec, s[28:29]
	v_lshrrev_b64 v[8:9], 20, v[8:9]
	v_cmp_gt_i32_e64 s[28:29], 16, v11
	v_cndmask_b32_e64 v9, 0, v9, s[28:29]
	v_cndmask_b32_e64 v8, 7, v8, s[28:29]
	v_cmp_eq_u64_e64 s[30:31], 0, v[8:9]
	v_min_i32_e32 v9, 15, v11
	v_lshlrev_b32_e32 v9, 3, v9
	v_cmp_eq_u32_e64 s[28:29], 0, v11
	v_and_b32_e32 v9, 0xf8, v9
	v_and_or_b32 v8, v8, 7, v9
	s_and_b64 s[28:29], s[28:29], s[30:31]
	v_cndmask_b32_e64 v8, v8, 0, s[28:29]
	v_or_b32_e32 v8, v8, v10
.LBB2_1655:                             ;   in Loop: Header=BB2_1275 Depth=4
	s_or_b64 exec, exec, s[72:73]
.LBB2_1656:                             ;   in Loop: Header=BB2_1275 Depth=4
	s_or_b64 exec, exec, s[70:71]
                                        ; implicit-def: $vgpr9
.LBB2_1657:                             ;   in Loop: Header=BB2_1275 Depth=4
	s_andn2_saveexec_b64 s[30:31], s[68:69]
	s_cbranch_execz .LBB2_1274
; %bb.1658:                             ;   in Loop: Header=BB2_1275 Depth=4
	v_or_b32_sdwa v9, v9, s92 dst_sel:DWORD dst_unused:UNUSED_PAD src0_sel:BYTE_3 src1_sel:DWORD
	v_cmp_eq_u64_e64 s[28:29], 0, v[60:61]
	v_cndmask_b32_e64 v8, v9, v8, s[28:29]
	s_branch .LBB2_1274
.LBB2_1659:                             ;   in Loop: Header=BB2_274 Depth=3
	s_or_b64 exec, exec, s[66:67]
.LBB2_1660:                             ;   in Loop: Header=BB2_274 Depth=3
	s_or_b64 exec, exec, s[64:65]
	v_and_b32_e32 v4, 15, v42
	v_cndmask_b32_e32 v14, v26, v4, vcc
	v_cmp_ne_u32_e64 s[28:29], 0, v14
	s_mov_b64 s[30:31], 0
	v_mov_b32_e32 v1, 0
                                        ; implicit-def: $vgpr15
                                        ; implicit-def: $vgpr3
	s_and_saveexec_b64 s[64:65], s[28:29]
	s_cbranch_execz .LBB2_1662
; %bb.1661:                             ;   in Loop: Header=BB2_274 Depth=3
	v_sub_u32_e32 v1, v26, v4
	v_cndmask_b32_e32 v1, 0, v1, vcc
	v_cmp_lt_i32_e32 vcc, 0, v25
	v_accvgpr_read_b32 v4, a22
	v_cndmask_b32_e32 v3, 0, v4, vcc
	v_sub_u32_e32 v3, v3, v25
	v_lshl_add_u32 v15, v3, 6, v23
	v_ashrrev_i32_e32 v3, 31, v15
	v_lshrrev_b32_e32 v3, 26, v3
	v_add_u32_e32 v3, v15, v3
	s_mov_b64 s[30:31], exec
	v_add3_u32 v1, v24, v6, v1
	v_ashrrev_i32_e32 v3, 6, v3
.LBB2_1662:                             ;   in Loop: Header=BB2_274 Depth=3
	s_or_b64 exec, exec, s[64:65]
	s_and_b64 s[28:29], s[30:31], exec
.LBB2_1663:                             ;   in Loop: Header=BB2_274 Depth=3
	s_or_b64 exec, exec, s[62:63]
	s_and_saveexec_b64 s[30:31], s[28:29]
	s_cbranch_execnz .LBB2_345
.LBB2_1664:                             ;   in Loop: Header=BB2_274 Depth=3
	s_or_b64 exec, exec, s[30:31]
	s_and_saveexec_b64 s[28:29], s[10:11]
	s_cbranch_execz .LBB2_461
.LBB2_1665:                             ;   in Loop: Header=BB2_274 Depth=3
	s_and_saveexec_b64 vcc, s[46:47]
	s_xor_b64 s[30:31], exec, vcc
	s_cbranch_execz .LBB2_1680
; %bb.1666:                             ;   in Loop: Header=BB2_274 Depth=3
	s_and_saveexec_b64 s[62:63], s[16:17]
	s_cbranch_execz .LBB2_1679
; %bb.1667:                             ;   in Loop: Header=BB2_274 Depth=3
	s_mov_b64 s[66:67], exec
	v_mbcnt_lo_u32_b32 v1, s66, 0
	v_mbcnt_hi_u32_b32 v1, s67, v1
	v_cmp_eq_u32_e32 vcc, 0, v1
	s_waitcnt vmcnt(0) lgkmcnt(0)
	buffer_wbinvl1_vol
	s_and_saveexec_b64 s[64:65], vcc
	s_cbranch_execz .LBB2_1669
; %bb.1668:                             ;   in Loop: Header=BB2_274 Depth=3
	s_bcnt1_i32_b64 vcc_lo, s[66:67]
	v_mov_b32_e32 v60, vcc_lo
	ds_add_u64 v0, v[60:61]
	s_trap 2
.LBB2_1669:                             ;   in Loop: Header=BB2_274 Depth=3
	s_or_b64 exec, exec, s[64:65]
	s_trap 2
	ds_read_b64 v[4:5], v0
	v_accvgpr_read_b32 v8, a14
	v_accvgpr_read_b32 v6, a22
	;; [unrolled: 1-line block ×3, first 2 shown]
	v_add_co_u32_e32 v8, vcc, v8, v6
	v_addc_co_u32_e32 v9, vcc, 0, v9, vcc
	v_accvgpr_write_b32 a15, v9
	v_accvgpr_write_b32 a14, v8
	s_waitcnt lgkmcnt(0)
	v_cmp_lt_u64_e32 vcc, v[4:5], v[8:9]
	s_and_saveexec_b64 s[64:65], vcc
	s_cbranch_execz .LBB2_1678
; %bb.1670:                             ;   in Loop: Header=BB2_274 Depth=3
	s_mov_b32 s97, 0
	s_mov_b64 s[66:67], 0
                                        ; implicit-def: $sgpr68_sgpr69
                                        ; implicit-def: $sgpr70_sgpr71
	s_branch .LBB2_1672
.LBB2_1671:                             ;   in Loop: Header=BB2_1672 Depth=4
	s_or_b64 exec, exec, s[74:75]
	s_and_b64 vcc, exec, vcc
	s_or_b64 s[66:67], vcc, s[66:67]
	s_andn2_b64 vcc, s[68:69], exec
	s_and_b64 s[68:69], s[70:71], exec
	s_or_b64 s[68:69], vcc, s[68:69]
	s_andn2_b64 exec, exec, s[66:67]
	s_cbranch_execz .LBB2_1676
.LBB2_1672:                             ;   Parent Loop BB2_47 Depth=1
                                        ;     Parent Loop BB2_271 Depth=2
                                        ;       Parent Loop BB2_274 Depth=3
                                        ; =>      This Inner Loop Header: Depth=4
	s_add_i32 s97, s97, 1
	s_cmpk_lg_i32 s97, 0x2710
	s_cselect_b64 s[72:73], -1, 0
	s_and_b64 vcc, exec, s[72:73]
                                        ; implicit-def: $sgpr74_sgpr75
	s_cbranch_vccnz .LBB2_1674
; %bb.1673:                             ;   in Loop: Header=BB2_1672 Depth=4
	s_trap 2
	ds_read_b64 v[4:5], v0
	s_andn2_b64 s[72:73], s[72:73], exec
	s_mov_b32 s97, 0
	s_mov_b64 s[74:75], -1
	s_waitcnt lgkmcnt(0)
	flat_load_dword v1, v[4:5] glc
	s_waitcnt vmcnt(0) lgkmcnt(0)
	buffer_invl2
	buffer_wbinvl1_vol
	v_cmp_eq_u32_e32 vcc, 0, v1
	s_and_b64 vcc, vcc, exec
	s_or_b64 s[72:73], s[72:73], vcc
.LBB2_1674:                             ;   in Loop: Header=BB2_1672 Depth=4
	s_andn2_b64 s[70:71], s[70:71], exec
	s_and_b64 s[74:75], s[74:75], exec
	s_mov_b64 vcc, -1
	s_or_b64 s[70:71], s[70:71], s[74:75]
	s_and_saveexec_b64 s[74:75], s[72:73]
	s_cbranch_execz .LBB2_1671
; %bb.1675:                             ;   in Loop: Header=BB2_1672 Depth=4
	s_sleep 1
	s_trap 2
	ds_read_b64 v[4:5], v0
	v_accvgpr_read_b32 v8, a14
	v_accvgpr_read_b32 v9, a15
	s_andn2_b64 s[70:71], s[70:71], exec
	s_waitcnt lgkmcnt(0)
	v_cmp_ge_u64_e32 vcc, v[4:5], v[8:9]
	s_orn2_b64 vcc, vcc, exec
	s_branch .LBB2_1671
.LBB2_1676:                             ;   in Loop: Header=BB2_274 Depth=3
	s_or_b64 exec, exec, s[66:67]
	s_and_saveexec_b64 vcc, s[68:69]
	s_xor_b64 vcc, exec, vcc
	s_cbranch_execz .LBB2_1678
; %bb.1677:                             ;   in Loop: Header=BB2_274 Depth=3
	v_mov_b32_e32 v1, 1
	ds_write_b32 v0, v1
	s_trap 2
.LBB2_1678:                             ;   in Loop: Header=BB2_274 Depth=3
	s_or_b64 exec, exec, s[64:65]
	;;#ASMSTART
	s_wakeup
	;;#ASMEND
.LBB2_1679:                             ;   in Loop: Header=BB2_274 Depth=3
	s_or_b64 exec, exec, s[62:63]
.LBB2_1680:                             ;   in Loop: Header=BB2_274 Depth=3
	s_andn2_saveexec_b64 vcc, s[30:31]
	s_cbranch_execz .LBB2_1682
; %bb.1681:                             ;   in Loop: Header=BB2_274 Depth=3
	s_waitcnt vmcnt(0) lgkmcnt(0)
	buffer_wbinvl1_vol
	s_barrier
.LBB2_1682:                             ;   in Loop: Header=BB2_274 Depth=3
	s_or_b64 exec, exec, vcc
	s_or_b64 exec, exec, s[28:29]
                                        ; implicit-def: $vgpr1
	s_and_saveexec_b64 s[28:29], s[24:25]
	s_xor_b64 s[30:31], exec, s[28:29]
	s_cbranch_execnz .LBB2_462
.LBB2_1683:                             ;   in Loop: Header=BB2_274 Depth=3
	s_andn2_saveexec_b64 s[28:29], s[30:31]
	s_cbranch_execz .LBB2_1702
.LBB2_1684:                             ;   in Loop: Header=BB2_274 Depth=3
	s_and_saveexec_b64 vcc, s[46:47]
	s_xor_b64 s[30:31], exec, vcc
	s_cbranch_execz .LBB2_1699
; %bb.1685:                             ;   in Loop: Header=BB2_274 Depth=3
	s_and_saveexec_b64 s[62:63], s[16:17]
	s_cbranch_execz .LBB2_1698
; %bb.1686:                             ;   in Loop: Header=BB2_274 Depth=3
	s_mov_b64 s[66:67], exec
	v_mbcnt_lo_u32_b32 v1, s66, 0
	v_mbcnt_hi_u32_b32 v1, s67, v1
	v_cmp_eq_u32_e32 vcc, 0, v1
	;;#ASMSTART
	s_waitcnt lgkmcnt(0) vmcnt(0)
	;;#ASMEND
	s_and_saveexec_b64 s[64:65], vcc
	s_cbranch_execz .LBB2_1688
; %bb.1687:                             ;   in Loop: Header=BB2_274 Depth=3
	s_bcnt1_i32_b64 vcc_lo, s[66:67]
	v_mov_b32_e32 v60, vcc_lo
	ds_add_u64 v0, v[60:61]
	s_trap 2
.LBB2_1688:                             ;   in Loop: Header=BB2_274 Depth=3
	s_or_b64 exec, exec, s[64:65]
	s_trap 2
	ds_read_b64 v[4:5], v0
	v_accvgpr_read_b32 v8, a14
	v_accvgpr_read_b32 v6, a22
	;; [unrolled: 1-line block ×3, first 2 shown]
	v_add_co_u32_e32 v8, vcc, v8, v6
	v_addc_co_u32_e32 v9, vcc, 0, v9, vcc
	v_accvgpr_write_b32 a15, v9
	v_accvgpr_write_b32 a14, v8
	s_waitcnt lgkmcnt(0)
	v_cmp_lt_u64_e32 vcc, v[4:5], v[8:9]
	s_and_saveexec_b64 s[64:65], vcc
	s_cbranch_execz .LBB2_1697
; %bb.1689:                             ;   in Loop: Header=BB2_274 Depth=3
	s_mov_b32 s97, 0
	s_mov_b64 s[66:67], 0
                                        ; implicit-def: $sgpr68_sgpr69
                                        ; implicit-def: $sgpr70_sgpr71
	s_branch .LBB2_1691
.LBB2_1690:                             ;   in Loop: Header=BB2_1691 Depth=4
	s_or_b64 exec, exec, s[74:75]
	s_and_b64 vcc, exec, vcc
	s_or_b64 s[66:67], vcc, s[66:67]
	s_andn2_b64 vcc, s[68:69], exec
	s_and_b64 s[68:69], s[70:71], exec
	s_or_b64 s[68:69], vcc, s[68:69]
	s_andn2_b64 exec, exec, s[66:67]
	s_cbranch_execz .LBB2_1695
.LBB2_1691:                             ;   Parent Loop BB2_47 Depth=1
                                        ;     Parent Loop BB2_271 Depth=2
                                        ;       Parent Loop BB2_274 Depth=3
                                        ; =>      This Inner Loop Header: Depth=4
	s_add_i32 s97, s97, 1
	s_cmpk_lg_i32 s97, 0x2710
	s_cselect_b64 s[72:73], -1, 0
	s_and_b64 vcc, exec, s[72:73]
                                        ; implicit-def: $sgpr74_sgpr75
	s_cbranch_vccnz .LBB2_1693
; %bb.1692:                             ;   in Loop: Header=BB2_1691 Depth=4
	s_trap 2
	ds_read_b64 v[4:5], v0
	s_andn2_b64 s[72:73], s[72:73], exec
	s_mov_b32 s97, 0
	s_mov_b64 s[74:75], -1
	s_waitcnt vmcnt(0) lgkmcnt(0)
	flat_load_dword v1, v[4:5] glc
	s_waitcnt vmcnt(0) lgkmcnt(0)
	buffer_invl2
	buffer_wbinvl1_vol
	v_cmp_eq_u32_e32 vcc, 0, v1
	s_and_b64 vcc, vcc, exec
	s_or_b64 s[72:73], s[72:73], vcc
.LBB2_1693:                             ;   in Loop: Header=BB2_1691 Depth=4
	s_andn2_b64 s[70:71], s[70:71], exec
	s_and_b64 s[74:75], s[74:75], exec
	s_mov_b64 vcc, -1
	s_or_b64 s[70:71], s[70:71], s[74:75]
	s_and_saveexec_b64 s[74:75], s[72:73]
	s_cbranch_execz .LBB2_1690
; %bb.1694:                             ;   in Loop: Header=BB2_1691 Depth=4
	s_sleep 1
	s_trap 2
	ds_read_b64 v[4:5], v0
	v_accvgpr_read_b32 v8, a14
	v_accvgpr_read_b32 v9, a15
	s_andn2_b64 s[70:71], s[70:71], exec
	s_waitcnt lgkmcnt(0)
	v_cmp_ge_u64_e32 vcc, v[4:5], v[8:9]
	s_orn2_b64 vcc, vcc, exec
	s_branch .LBB2_1690
.LBB2_1695:                             ;   in Loop: Header=BB2_274 Depth=3
	s_or_b64 exec, exec, s[66:67]
	s_and_saveexec_b64 vcc, s[68:69]
	s_xor_b64 vcc, exec, vcc
	s_cbranch_execz .LBB2_1697
; %bb.1696:                             ;   in Loop: Header=BB2_274 Depth=3
	v_mov_b32_e32 v1, 1
	ds_write_b32 v0, v1
	s_trap 2
.LBB2_1697:                             ;   in Loop: Header=BB2_274 Depth=3
	s_or_b64 exec, exec, s[64:65]
	;;#ASMSTART
	s_wakeup
	;;#ASMEND
.LBB2_1698:                             ;   in Loop: Header=BB2_274 Depth=3
	s_or_b64 exec, exec, s[62:63]
.LBB2_1699:                             ;   in Loop: Header=BB2_274 Depth=3
	s_andn2_saveexec_b64 vcc, s[30:31]
	s_cbranch_execz .LBB2_1701
; %bb.1700:                             ;   in Loop: Header=BB2_274 Depth=3
	;;#ASMSTART
	s_waitcnt lgkmcnt(0) vmcnt(0)
	;;#ASMEND
	s_barrier
.LBB2_1701:                             ;   in Loop: Header=BB2_274 Depth=3
	s_or_b64 exec, exec, vcc
	v_and_b32_e32 v1, 16, v57
.LBB2_1702:                             ;   in Loop: Header=BB2_274 Depth=3
	s_or_b64 exec, exec, s[28:29]
	v_cmp_ne_u32_e32 vcc, 0, v1
	s_xor_b64 s[28:29], s[12:13], -1
	s_and_b64 vcc, vcc, s[28:29]
	s_and_saveexec_b64 s[28:29], vcc
	s_cbranch_execz .LBB2_1704
; %bb.1703:                             ;   in Loop: Header=BB2_274 Depth=3
	v_accvgpr_read_b32 v4, a20
	v_accvgpr_read_b32 v5, a21
	v_mov_b32_e32 v1, 1
	flat_store_dword v[4:5], v1
.LBB2_1704:                             ;   in Loop: Header=BB2_274 Depth=3
	s_or_b64 exec, exec, s[28:29]
	v_and_b32_e32 v1, 48, v57
	v_cmp_ne_u32_e32 vcc, 0, v1
	s_and_saveexec_b64 s[28:29], vcc
	s_cbranch_execz .LBB2_273
; %bb.1705:                             ;   in Loop: Header=BB2_274 Depth=3
	v_add_co_u32_e32 v44, vcc, 2, v44
	v_addc_co_u32_e32 v45, vcc, 0, v45, vcc
	flat_store_dwordx2 v[48:49], v[44:45]
	s_branch .LBB2_273
.LBB2_1706:                             ;   in Loop: Header=BB2_271 Depth=2
	s_or_b64 exec, exec, s[36:37]
.LBB2_1707:                             ;   in Loop: Header=BB2_271 Depth=2
	s_or_b64 exec, exec, s[34:35]
	v_cmp_gt_i32_e32 vcc, 2, v1
	s_and_saveexec_b64 s[30:31], vcc
	s_cbranch_execz .LBB2_270
; %bb.1708:                             ;   in Loop: Header=BB2_271 Depth=2
	v_cmp_eq_u32_e64 s[28:29], 0, v1
	s_mov_b64 s[34:35], 0
	s_branch .LBB2_1710
.LBB2_1709:                             ;   in Loop: Header=BB2_1710 Depth=3
	s_or_b64 exec, exec, s[28:29]
	v_add_u32_e32 v7, v2, v7
	s_mov_b64 s[28:29], 0
	s_andn2_b64 exec, exec, s[34:35]
	s_cbranch_execz .LBB2_269
.LBB2_1710:                             ;   Parent Loop BB2_47 Depth=1
                                        ;     Parent Loop BB2_271 Depth=2
                                        ; =>    This Loop Header: Depth=3
                                        ;         Child Loop BB2_1716 Depth 4
                                        ;         Child Loop BB2_1754 Depth 4
                                        ;         Child Loop BB2_1742 Depth 4
	v_and_b32_e32 v1, 12, v57
	s_mov_b64 s[60:61], -1
	v_cmp_ne_u32_e32 vcc, 0, v1
	s_and_saveexec_b64 s[36:37], vcc
	s_cbranch_execz .LBB2_1722
; %bb.1711:                             ;   in Loop: Header=BB2_1710 Depth=3
	v_and_b32_e32 v4, 8, v57
	v_add_co_u32_e32 v10, vcc, v50, v4
	v_addc_co_u32_e32 v11, vcc, 0, v51, vcc
	v_add_co_u32_e32 v8, vcc, 2, v44
	v_addc_co_u32_e32 v9, vcc, 0, v45, vcc
	v_cmp_lt_u64_e32 vcc, v[10:11], v[8:9]
	v_mov_b32_e32 v1, 1
	s_and_saveexec_b64 s[60:61], vcc
	s_cbranch_execz .LBB2_1721
; %bb.1712:                             ;   in Loop: Header=BB2_1710 Depth=3
	s_mov_b64 s[62:63], 0
	v_mov_b32_e32 v1, 0
                                        ; implicit-def: $sgpr64_sgpr65
	s_branch .LBB2_1716
.LBB2_1713:                             ;   in Loop: Header=BB2_1716 Depth=4
	s_or_b64 exec, exec, s[72:73]
	v_mov_b32_e32 v3, 0
	s_orn2_b64 s[70:71], s[70:71], exec
.LBB2_1714:                             ;   in Loop: Header=BB2_1716 Depth=4
	s_or_b64 exec, exec, s[68:69]
	s_andn2_b64 vcc, s[64:65], exec
	s_and_b64 s[64:65], s[70:71], exec
	s_or_b64 s[64:65], vcc, s[64:65]
	v_mov_b32_e32 v1, v3
.LBB2_1715:                             ;   in Loop: Header=BB2_1716 Depth=4
	s_or_b64 exec, exec, s[66:67]
	s_waitcnt vmcnt(0) lgkmcnt(0)
	v_add_co_u32_e32 v10, vcc, v50, v4
	v_addc_co_u32_e32 v11, vcc, 0, v51, vcc
	v_cmp_ge_u64_e32 vcc, v[10:11], v[8:9]
	s_xor_b64 s[66:67], s[64:65], -1
	s_or_b64 vcc, s[66:67], vcc
	s_and_b64 vcc, exec, vcc
	s_or_b64 s[62:63], vcc, s[62:63]
	s_andn2_b64 exec, exec, s[62:63]
	s_cbranch_execz .LBB2_1720
.LBB2_1716:                             ;   Parent Loop BB2_47 Depth=1
                                        ;     Parent Loop BB2_271 Depth=2
                                        ;       Parent Loop BB2_1710 Depth=3
                                        ; =>      This Inner Loop Header: Depth=4
	s_sleep 1
	flat_load_dwordx2 v[50:51], v[48:49] glc
	v_and_b32_e32 v3, 64, v57
	v_cmp_eq_u32_e32 vcc, 0, v3
	s_andn2_b64 s[64:65], s[64:65], exec
	s_and_saveexec_b64 s[66:67], vcc
	s_cbranch_execz .LBB2_1715
; %bb.1717:                             ;   in Loop: Header=BB2_1716 Depth=4
	v_add_u32_e32 v3, 1, v1
	v_cmp_lt_i32_e32 vcc, s89, v1
	s_mov_b64 s[70:71], -1
	s_and_saveexec_b64 s[68:69], vcc
	s_cbranch_execz .LBB2_1714
; %bb.1718:                             ;   in Loop: Header=BB2_1716 Depth=4
	s_trap 2
	ds_read_b64 v[10:11], v0
	s_waitcnt vmcnt(0) lgkmcnt(0)
	flat_load_dword v1, v[10:11] glc
	s_waitcnt vmcnt(0) lgkmcnt(0)
	buffer_invl2
	buffer_wbinvl1_vol
	v_cmp_ne_u32_e32 vcc, 0, v1
	s_and_saveexec_b64 s[72:73], vcc
	s_cbranch_execz .LBB2_1713
; %bb.1719:                             ;   in Loop: Header=BB2_1716 Depth=4
	v_or_b32_e32 v57, 64, v57
	s_xor_b64 s[70:71], exec, -1
	ds_write_b32 v0, v1
	s_trap 2
	s_branch .LBB2_1713
.LBB2_1720:                             ;   in Loop: Header=BB2_1710 Depth=3
	s_or_b64 exec, exec, s[62:63]
	v_and_b32_e32 v1, 12, v57
.LBB2_1721:                             ;   in Loop: Header=BB2_1710 Depth=3
	s_or_b64 exec, exec, s[60:61]
	v_cmp_eq_u32_e32 vcc, 0, v1
	s_orn2_b64 s[60:61], vcc, exec
	;;#ASMSTART
	s_wakeup
	;;#ASMEND
.LBB2_1722:                             ;   in Loop: Header=BB2_1710 Depth=3
	s_or_b64 exec, exec, s[36:37]
	s_xor_b64 s[28:29], s[28:29], -1
	s_and_b64 s[28:29], exec, s[28:29]
	s_or_b64 s[34:35], s[28:29], s[34:35]
	v_sub_u32_e32 v1, v55, v7
	s_xor_b64 s[28:29], s[60:61], -1
	v_min_i32_e32 v2, v2, v1
	s_and_saveexec_b64 s[36:37], s[28:29]
	s_cbranch_execz .LBB2_1746
; %bb.1723:                             ;   in Loop: Header=BB2_1710 Depth=3
	v_and_b32_e32 v1, 0x108, v57
	v_cmp_ne_u32_e32 vcc, s90, v1
	v_and_b32_e32 v4, 7, v44
	s_and_saveexec_b64 s[28:29], vcc
	s_xor_b64 s[28:29], exec, s[28:29]
	s_andn2_saveexec_b64 s[28:29], s[28:29]
	s_cbranch_execz .LBB2_1725
; %bb.1724:                             ;   in Loop: Header=BB2_1710 Depth=3
	v_accvgpr_read_b32 v8, a12
	v_accvgpr_read_b32 v9, a13
	v_mad_u64_u32 v[8:9], vcc, v4, 24, v[8:9]
	v_ashrrev_i32_e32 v3, 31, v2
	flat_store_dwordx2 v[8:9], v[2:3] offset:8
.LBB2_1725:                             ;   in Loop: Header=BB2_1710 Depth=3
	s_or_b64 exec, exec, s[28:29]
	v_and_b32_e32 v1, 0x100, v57
	v_cmp_ne_u32_e32 vcc, 0, v1
	s_mov_b64 s[28:29], -1
                                        ; implicit-def: $vgpr8_vgpr9
	s_and_saveexec_b64 s[60:61], vcc
	s_cbranch_execz .LBB2_1729
; %bb.1726:                             ;   in Loop: Header=BB2_1710 Depth=3
	v_accvgpr_read_b32 v8, a12
	v_accvgpr_read_b32 v9, a13
	v_mad_u64_u32 v[10:11], s[28:29], v4, 24, v[8:9]
	v_mov_b32_e32 v6, v11
	v_mad_u64_u32 v[8:9], s[28:29], v61, 24, v[6:7]
	v_mov_b32_e32 v11, v8
	flat_load_dword v1, v[10:11]
                                        ; implicit-def: $vgpr8_vgpr9
	s_waitcnt vmcnt(0) lgkmcnt(0)
	v_cmp_ne_u32_e32 vcc, 1, v1
	v_cmp_eq_u32_e64 s[28:29], 1, v1
	s_and_saveexec_b64 s[62:63], s[28:29]
	s_cbranch_execz .LBB2_1728
; %bb.1727:                             ;   in Loop: Header=BB2_1710 Depth=3
	flat_load_dword v8, v[10:11] offset:4 glc
	s_waitcnt vmcnt(0) lgkmcnt(0)
	v_ashrrev_i32_e32 v9, 31, v8
.LBB2_1728:                             ;   in Loop: Header=BB2_1710 Depth=3
	s_or_b64 exec, exec, s[62:63]
	s_orn2_b64 s[28:29], vcc, exec
.LBB2_1729:                             ;   in Loop: Header=BB2_1710 Depth=3
	s_or_b64 exec, exec, s[60:61]
	s_and_saveexec_b64 vcc, s[28:29]
; %bb.1730:                             ;   in Loop: Header=BB2_1710 Depth=3
	v_accvgpr_read_b32 v6, a16
	v_accvgpr_read_b32 v3, a17
	v_mul_lo_u32 v1, v61, v6
	v_mul_lo_u32 v3, v4, v3
	v_mad_u64_u32 v[8:9], s[28:29], v4, v6, 0
	v_add3_u32 v9, v9, v3, v1
; %bb.1731:                             ;   in Loop: Header=BB2_1710 Depth=3
	s_or_b64 exec, exec, vcc
	v_accvgpr_read_b32 v4, a18
	v_accvgpr_read_b32 v5, a19
	v_add_co_u32_e32 v4, vcc, v4, v8
	v_addc_co_u32_e32 v5, vcc, v5, v9, vcc
	v_and_b32_e32 v1, 0x2000, v57
	v_cmp_ne_u32_e32 vcc, 0, v1
	s_trap 2
	ds_write_b64 v0, v[4:5]
	s_and_saveexec_b64 s[28:29], vcc
	s_cbranch_execz .LBB2_1733
; %bb.1732:                             ;   in Loop: Header=BB2_1710 Depth=3
	ds_read_b64 v[4:5], v0 offset:584
	s_waitcnt lgkmcnt(0)
	v_add_co_u32_e32 v4, vcc, 1, v4
	v_addc_co_u32_e32 v5, vcc, 0, v5, vcc
	ds_write_b64 v0, v[4:5] offset:584
.LBB2_1733:                             ;   in Loop: Header=BB2_1710 Depth=3
	s_or_b64 exec, exec, s[28:29]
	v_add_co_u32_e32 v44, vcc, 2, v44
	v_addc_co_u32_e32 v45, vcc, 0, v45, vcc
	s_or_b64 exec, exec, s[36:37]
	s_and_saveexec_b64 s[28:29], s[10:11]
	s_cbranch_execnz .LBB2_1747
.LBB2_1734:                             ;   in Loop: Header=BB2_1710 Depth=3
	s_or_b64 exec, exec, s[28:29]
                                        ; implicit-def: $vgpr1
	s_and_saveexec_b64 s[28:29], s[50:51]
	s_xor_b64 s[28:29], exec, s[28:29]
	s_cbranch_execz .LBB2_1772
.LBB2_1735:                             ;   in Loop: Header=BB2_1710 Depth=3
	s_and_saveexec_b64 vcc, s[46:47]
	s_xor_b64 s[36:37], exec, vcc
	s_cbranch_execz .LBB2_1762
; %bb.1736:                             ;   in Loop: Header=BB2_1710 Depth=3
	s_and_saveexec_b64 s[60:61], s[16:17]
	s_cbranch_execz .LBB2_1761
; %bb.1737:                             ;   in Loop: Header=BB2_1710 Depth=3
	s_mov_b64 s[64:65], exec
	v_mbcnt_lo_u32_b32 v1, s64, 0
	v_mbcnt_hi_u32_b32 v1, s65, v1
	v_cmp_eq_u32_e32 vcc, 0, v1
	;;#ASMSTART
	s_waitcnt lgkmcnt(0) vmcnt(0)
	;;#ASMEND
	s_and_saveexec_b64 s[62:63], vcc
	s_cbranch_execz .LBB2_1739
; %bb.1738:                             ;   in Loop: Header=BB2_1710 Depth=3
	s_bcnt1_i32_b64 vcc_lo, s[64:65]
	v_mov_b32_e32 v60, vcc_lo
	ds_add_u64 v0, v[60:61]
	s_trap 2
.LBB2_1739:                             ;   in Loop: Header=BB2_1710 Depth=3
	s_or_b64 exec, exec, s[62:63]
	s_trap 2
	ds_read_b64 v[4:5], v0
	v_accvgpr_read_b32 v8, a14
	v_accvgpr_read_b32 v6, a22
	;; [unrolled: 1-line block ×3, first 2 shown]
	v_add_co_u32_e32 v8, vcc, v8, v6
	v_addc_co_u32_e32 v9, vcc, 0, v9, vcc
	v_accvgpr_write_b32 a15, v9
	v_accvgpr_write_b32 a14, v8
	s_waitcnt lgkmcnt(0)
	v_cmp_lt_u64_e32 vcc, v[4:5], v[8:9]
	s_and_saveexec_b64 s[62:63], vcc
	s_cbranch_execz .LBB2_1760
; %bb.1740:                             ;   in Loop: Header=BB2_1710 Depth=3
	s_mov_b32 s74, 0
	s_mov_b64 s[64:65], 0
                                        ; implicit-def: $sgpr66_sgpr67
                                        ; implicit-def: $sgpr68_sgpr69
	s_branch .LBB2_1742
.LBB2_1741:                             ;   in Loop: Header=BB2_1742 Depth=4
	s_or_b64 exec, exec, s[72:73]
	s_and_b64 vcc, exec, vcc
	s_or_b64 s[64:65], vcc, s[64:65]
	s_andn2_b64 vcc, s[66:67], exec
	s_and_b64 s[66:67], s[68:69], exec
	s_or_b64 s[66:67], vcc, s[66:67]
	s_andn2_b64 exec, exec, s[64:65]
	s_cbranch_execz .LBB2_1758
.LBB2_1742:                             ;   Parent Loop BB2_47 Depth=1
                                        ;     Parent Loop BB2_271 Depth=2
                                        ;       Parent Loop BB2_1710 Depth=3
                                        ; =>      This Inner Loop Header: Depth=4
	s_add_i32 s74, s74, 1
	s_cmpk_lg_i32 s74, 0x2710
	s_cselect_b64 s[70:71], -1, 0
	s_and_b64 vcc, exec, s[70:71]
                                        ; implicit-def: $sgpr72_sgpr73
	s_cbranch_vccnz .LBB2_1744
; %bb.1743:                             ;   in Loop: Header=BB2_1742 Depth=4
	s_trap 2
	ds_read_b64 v[4:5], v0
	s_andn2_b64 s[70:71], s[70:71], exec
	s_mov_b32 s74, 0
	s_mov_b64 s[72:73], -1
	s_waitcnt vmcnt(0) lgkmcnt(0)
	flat_load_dword v1, v[4:5] glc
	s_waitcnt vmcnt(0) lgkmcnt(0)
	buffer_invl2
	buffer_wbinvl1_vol
	v_cmp_eq_u32_e32 vcc, 0, v1
	s_and_b64 vcc, vcc, exec
	s_or_b64 s[70:71], s[70:71], vcc
.LBB2_1744:                             ;   in Loop: Header=BB2_1742 Depth=4
	s_andn2_b64 s[68:69], s[68:69], exec
	s_and_b64 s[72:73], s[72:73], exec
	s_mov_b64 vcc, -1
	s_or_b64 s[68:69], s[68:69], s[72:73]
	s_and_saveexec_b64 s[72:73], s[70:71]
	s_cbranch_execz .LBB2_1741
; %bb.1745:                             ;   in Loop: Header=BB2_1742 Depth=4
	s_sleep 1
	s_trap 2
	ds_read_b64 v[4:5], v0
	v_accvgpr_read_b32 v8, a14
	v_accvgpr_read_b32 v9, a15
	s_andn2_b64 s[68:69], s[68:69], exec
	s_waitcnt lgkmcnt(0)
	v_cmp_ge_u64_e32 vcc, v[4:5], v[8:9]
	s_orn2_b64 vcc, vcc, exec
	s_branch .LBB2_1741
.LBB2_1746:                             ;   in Loop: Header=BB2_1710 Depth=3
	s_or_b64 exec, exec, s[36:37]
	s_and_saveexec_b64 s[28:29], s[10:11]
	s_cbranch_execz .LBB2_1734
.LBB2_1747:                             ;   in Loop: Header=BB2_1710 Depth=3
	s_and_saveexec_b64 vcc, s[46:47]
	s_xor_b64 s[36:37], exec, vcc
	s_cbranch_execz .LBB2_1769
; %bb.1748:                             ;   in Loop: Header=BB2_1710 Depth=3
	s_and_saveexec_b64 s[60:61], s[16:17]
	s_cbranch_execz .LBB2_1768
; %bb.1749:                             ;   in Loop: Header=BB2_1710 Depth=3
	s_mov_b64 s[64:65], exec
	v_mbcnt_lo_u32_b32 v1, s64, 0
	v_mbcnt_hi_u32_b32 v1, s65, v1
	v_cmp_eq_u32_e32 vcc, 0, v1
	s_waitcnt vmcnt(0) lgkmcnt(0)
	buffer_wbinvl1_vol
	s_and_saveexec_b64 s[62:63], vcc
	s_cbranch_execz .LBB2_1751
; %bb.1750:                             ;   in Loop: Header=BB2_1710 Depth=3
	s_bcnt1_i32_b64 vcc_lo, s[64:65]
	v_mov_b32_e32 v60, vcc_lo
	ds_add_u64 v0, v[60:61]
	s_trap 2
.LBB2_1751:                             ;   in Loop: Header=BB2_1710 Depth=3
	s_or_b64 exec, exec, s[62:63]
	s_trap 2
	ds_read_b64 v[4:5], v0
	v_accvgpr_read_b32 v8, a14
	v_accvgpr_read_b32 v6, a22
	;; [unrolled: 1-line block ×3, first 2 shown]
	v_add_co_u32_e32 v8, vcc, v8, v6
	v_addc_co_u32_e32 v9, vcc, 0, v9, vcc
	v_accvgpr_write_b32 a15, v9
	v_accvgpr_write_b32 a14, v8
	s_waitcnt lgkmcnt(0)
	v_cmp_lt_u64_e32 vcc, v[4:5], v[8:9]
	s_and_saveexec_b64 s[62:63], vcc
	s_cbranch_execz .LBB2_1767
; %bb.1752:                             ;   in Loop: Header=BB2_1710 Depth=3
	s_mov_b32 s74, 0
	s_mov_b64 s[64:65], 0
                                        ; implicit-def: $sgpr66_sgpr67
                                        ; implicit-def: $sgpr68_sgpr69
	s_branch .LBB2_1754
.LBB2_1753:                             ;   in Loop: Header=BB2_1754 Depth=4
	s_or_b64 exec, exec, s[72:73]
	s_and_b64 vcc, exec, vcc
	s_or_b64 s[64:65], vcc, s[64:65]
	s_andn2_b64 vcc, s[66:67], exec
	s_and_b64 s[66:67], s[68:69], exec
	s_or_b64 s[66:67], vcc, s[66:67]
	s_andn2_b64 exec, exec, s[64:65]
	s_cbranch_execz .LBB2_1765
.LBB2_1754:                             ;   Parent Loop BB2_47 Depth=1
                                        ;     Parent Loop BB2_271 Depth=2
                                        ;       Parent Loop BB2_1710 Depth=3
                                        ; =>      This Inner Loop Header: Depth=4
	s_add_i32 s74, s74, 1
	s_cmpk_lg_i32 s74, 0x2710
	s_cselect_b64 s[70:71], -1, 0
	s_and_b64 vcc, exec, s[70:71]
                                        ; implicit-def: $sgpr72_sgpr73
	s_cbranch_vccnz .LBB2_1756
; %bb.1755:                             ;   in Loop: Header=BB2_1754 Depth=4
	s_trap 2
	ds_read_b64 v[4:5], v0
	s_andn2_b64 s[70:71], s[70:71], exec
	s_mov_b32 s74, 0
	s_mov_b64 s[72:73], -1
	s_waitcnt lgkmcnt(0)
	flat_load_dword v1, v[4:5] glc
	s_waitcnt vmcnt(0) lgkmcnt(0)
	buffer_invl2
	buffer_wbinvl1_vol
	v_cmp_eq_u32_e32 vcc, 0, v1
	s_and_b64 vcc, vcc, exec
	s_or_b64 s[70:71], s[70:71], vcc
.LBB2_1756:                             ;   in Loop: Header=BB2_1754 Depth=4
	s_andn2_b64 s[68:69], s[68:69], exec
	s_and_b64 s[72:73], s[72:73], exec
	s_mov_b64 vcc, -1
	s_or_b64 s[68:69], s[68:69], s[72:73]
	s_and_saveexec_b64 s[72:73], s[70:71]
	s_cbranch_execz .LBB2_1753
; %bb.1757:                             ;   in Loop: Header=BB2_1754 Depth=4
	s_sleep 1
	s_trap 2
	ds_read_b64 v[4:5], v0
	v_accvgpr_read_b32 v8, a14
	v_accvgpr_read_b32 v9, a15
	s_andn2_b64 s[68:69], s[68:69], exec
	s_waitcnt lgkmcnt(0)
	v_cmp_ge_u64_e32 vcc, v[4:5], v[8:9]
	s_orn2_b64 vcc, vcc, exec
	s_branch .LBB2_1753
.LBB2_1758:                             ;   in Loop: Header=BB2_1710 Depth=3
	s_or_b64 exec, exec, s[64:65]
	s_and_saveexec_b64 vcc, s[66:67]
	s_xor_b64 vcc, exec, vcc
	s_cbranch_execz .LBB2_1760
; %bb.1759:                             ;   in Loop: Header=BB2_1710 Depth=3
	v_mov_b32_e32 v1, 1
	ds_write_b32 v0, v1
	s_trap 2
.LBB2_1760:                             ;   in Loop: Header=BB2_1710 Depth=3
	s_or_b64 exec, exec, s[62:63]
	;;#ASMSTART
	s_wakeup
	;;#ASMEND
.LBB2_1761:                             ;   in Loop: Header=BB2_1710 Depth=3
	s_or_b64 exec, exec, s[60:61]
.LBB2_1762:                             ;   in Loop: Header=BB2_1710 Depth=3
	s_andn2_saveexec_b64 vcc, s[36:37]
	s_cbranch_execz .LBB2_1764
; %bb.1763:                             ;   in Loop: Header=BB2_1710 Depth=3
	;;#ASMSTART
	s_waitcnt lgkmcnt(0) vmcnt(0)
	;;#ASMEND
	s_barrier
.LBB2_1764:                             ;   in Loop: Header=BB2_1710 Depth=3
	s_or_b64 exec, exec, vcc
	v_and_b32_e32 v1, 16, v57
	s_andn2_saveexec_b64 s[28:29], s[28:29]
	s_cbranch_execz .LBB2_1776
	s_branch .LBB2_1773
.LBB2_1765:                             ;   in Loop: Header=BB2_1710 Depth=3
	s_or_b64 exec, exec, s[64:65]
	s_and_saveexec_b64 vcc, s[66:67]
	s_xor_b64 vcc, exec, vcc
	s_cbranch_execz .LBB2_1767
; %bb.1766:                             ;   in Loop: Header=BB2_1710 Depth=3
	v_mov_b32_e32 v1, 1
	ds_write_b32 v0, v1
	s_trap 2
.LBB2_1767:                             ;   in Loop: Header=BB2_1710 Depth=3
	s_or_b64 exec, exec, s[62:63]
	;;#ASMSTART
	s_wakeup
	;;#ASMEND
.LBB2_1768:                             ;   in Loop: Header=BB2_1710 Depth=3
	s_or_b64 exec, exec, s[60:61]
.LBB2_1769:                             ;   in Loop: Header=BB2_1710 Depth=3
	s_andn2_saveexec_b64 vcc, s[36:37]
	s_cbranch_execz .LBB2_1771
; %bb.1770:                             ;   in Loop: Header=BB2_1710 Depth=3
	s_waitcnt vmcnt(0) lgkmcnt(0)
	buffer_wbinvl1_vol
	s_barrier
.LBB2_1771:                             ;   in Loop: Header=BB2_1710 Depth=3
	s_or_b64 exec, exec, vcc
	s_or_b64 exec, exec, s[28:29]
                                        ; implicit-def: $vgpr1
	s_and_saveexec_b64 s[28:29], s[50:51]
	s_xor_b64 s[28:29], exec, s[28:29]
	s_cbranch_execnz .LBB2_1735
.LBB2_1772:                             ;   in Loop: Header=BB2_1710 Depth=3
	s_andn2_saveexec_b64 s[28:29], s[28:29]
	s_cbranch_execz .LBB2_1776
.LBB2_1773:                             ;   in Loop: Header=BB2_1710 Depth=3
	s_trap 2
	ds_read_b32 v3, v0
	v_cmp_lt_i32_e32 vcc, 0, v2
	v_and_b32_e32 v4, 16, v57
	v_and_b32_e32 v1, 16, v57
	s_waitcnt lgkmcnt(0)
	v_readfirstlane_b32 s36, v3
	s_cmp_eq_u32 s36, 0
	s_cselect_b64 s[36:37], -1, 0
	s_and_b64 s[36:37], vcc, s[36:37]
	v_cmp_ne_u32_e32 vcc, 0, v4
	s_and_b64 s[36:37], vcc, s[36:37]
	s_and_saveexec_b64 vcc, s[36:37]
	s_cbranch_execz .LBB2_1775
; %bb.1774:                             ;   in Loop: Header=BB2_1710 Depth=3
	v_mov_b32_e32 v1, 1
	s_waitcnt vmcnt(0)
	buffer_wbinvl1_vol
.LBB2_1775:                             ;   in Loop: Header=BB2_1710 Depth=3
	s_or_b64 exec, exec, vcc
.LBB2_1776:                             ;   in Loop: Header=BB2_1710 Depth=3
	s_or_b64 exec, exec, s[28:29]
	v_cmp_ne_u32_e32 vcc, 0, v1
	s_xor_b64 s[28:29], s[12:13], -1
	s_and_b64 vcc, vcc, s[28:29]
	s_and_saveexec_b64 s[28:29], vcc
	s_cbranch_execz .LBB2_1778
; %bb.1777:                             ;   in Loop: Header=BB2_1710 Depth=3
	v_accvgpr_read_b32 v4, a20
	v_accvgpr_read_b32 v5, a21
	v_mov_b32_e32 v1, 1
	flat_store_dword v[4:5], v1
.LBB2_1778:                             ;   in Loop: Header=BB2_1710 Depth=3
	s_or_b64 exec, exec, s[28:29]
	v_and_b32_e32 v1, 48, v57
	v_cmp_ne_u32_e32 vcc, 0, v1
	s_and_saveexec_b64 s[28:29], vcc
	s_cbranch_execz .LBB2_1709
; %bb.1779:                             ;   in Loop: Header=BB2_1710 Depth=3
	v_add_co_u32_e32 v44, vcc, 2, v44
	v_addc_co_u32_e32 v45, vcc, 0, v45, vcc
	flat_store_dwordx2 v[48:49], v[44:45]
	s_branch .LBB2_1709
.LBB2_1780:                             ;   in Loop: Header=BB2_47 Depth=1
	v_accvgpr_read_b32 v8, a50
	v_accvgpr_read_b32 v9, a51
	v_mul_lo_u32 v1, v9, s76
	v_mul_lo_u32 v2, v8, s77
	v_mad_u64_u32 v[4:5], s[28:29], v8, s76, 0
	v_add3_u32 v5, v5, v2, v1
	v_accvgpr_read_b32 v2, a52
	v_accvgpr_read_b32 v3, a53
	v_sub_co_u32_e32 v2, vcc, v2, v4
	v_subb_co_u32_e32 v3, vcc, v3, v5, vcc
	v_cmp_lt_i64_e32 vcc, v[8:9], v[2:3]
	v_cndmask_b32_e32 v1, v2, v8, vcc
	v_max_i32_e32 v2, 0, v1
	v_accvgpr_write_b32 a56, v2
	v_add_u32_e32 v2, 31, v2
	v_lshrrev_b32_e32 v2, 1, v2
	v_and_b32_e32 v2, 0x3ffffff0, v2
	v_max_i32_e32 v2, s84, v2
	v_cmp_lt_i32_e32 vcc, 0, v1
	v_accvgpr_read_b32 v6, a22
	v_accvgpr_write_b32 a58, v2
	s_and_b64 s[28:29], s[52:53], vcc
	v_mov_b32_e32 v1, 0
	v_mov_b32_e32 v2, 0
	buffer_store_dword v2, off, s[0:3], s33 offset:176 ; 4-byte Folded Spill
	s_and_saveexec_b64 s[60:61], s[28:29]
	s_cbranch_execz .LBB2_4542
; %bb.1781:                             ;   in Loop: Header=BB2_47 Depth=1
	v_accvgpr_read_b32 v1, a54
	v_add_co_u32_e32 v1, vcc, v4, v1
	v_accvgpr_write_b32 a57, v1
	v_accvgpr_read_b32 v1, a55
	v_addc_co_u32_e32 v1, vcc, v5, v1, vcc
	v_accvgpr_write_b32 a59, v1
	s_mov_b32 s95, 1
	s_mov_b64 s[64:65], -1
	s_mov_b64 s[62:63], 0
	v_mov_b32_e32 v1, 0
	buffer_store_dword v1, off, s[0:3], s33 offset:176 ; 4-byte Folded Spill
	s_branch .LBB2_1783
.LBB2_1782:                             ;   in Loop: Header=BB2_1783 Depth=2
	s_or_b64 exec, exec, s[28:29]
	buffer_load_dword v3, off, s[0:3], s33 offset:176 ; 4-byte Folded Reload
	v_accvgpr_read_b32 v2, a58
	v_accvgpr_read_b32 v1, a56
	s_xor_b64 s[28:29], s[64:65], -1
	s_mov_b64 s[64:65], 0
	s_waitcnt vmcnt(0)
	v_add_u32_e32 v3, v2, v3
	v_cmp_ge_i32_e32 vcc, v3, v1
	s_or_b64 s[28:29], s[28:29], vcc
	s_and_b64 s[28:29], exec, s[28:29]
	s_or_b64 s[62:63], s[28:29], s[62:63]
	v_mov_b32_e32 v1, s95
	s_mov_b32 s95, 2
	buffer_store_dword v3, off, s[0:3], s33 offset:176 ; 4-byte Folded Spill
	s_andn2_b64 exec, exec, s[62:63]
	s_cbranch_execz .LBB2_4615
.LBB2_1783:                             ;   Parent Loop BB2_47 Depth=1
                                        ; =>  This Loop Header: Depth=2
                                        ;       Child Loop BB2_1791 Depth 3
                                        ;       Child Loop BB2_1817 Depth 3
                                        ;       Child Loop BB2_1836 Depth 3
                                        ;       Child Loop BB2_3231 Depth 3
                                        ;       Child Loop BB2_4004 Depth 3
                                        ;       Child Loop BB2_4396 Depth 3
                                        ;       Child Loop BB2_4513 Depth 3
                                        ;       Child Loop BB2_1872 Depth 3
                                        ;       Child Loop BB2_2678 Depth 3
                                        ;         Child Loop BB2_3063 Depth 4
                                        ;       Child Loop BB2_3073 Depth 3
                                        ;       Child Loop BB2_3189 Depth 3
                                        ;         Child Loop BB2_3218 Depth 4
                                        ;       Child Loop BB2_1864 Depth 3
                                        ;       Child Loop BB2_2659 Depth 3
	s_and_saveexec_b64 s[28:29], s[4:5]
	s_cbranch_execz .LBB2_1785
; %bb.1784:                             ;   in Loop: Header=BB2_1783 Depth=2
	s_trap 2
	ds_read2_b64 v[2:5], v0 offset1:1
	ds_read_b64 v[6:7], v0
	buffer_load_dword v9, off, s[0:3], s33 offset:176 ; 4-byte Folded Reload
	v_accvgpr_read_b32 v10, a57
	v_accvgpr_read_b32 v11, a59
	s_waitcnt lgkmcnt(0)
	v_add_co_u32_e32 v1, vcc, v2, v10
	v_addc_co_u32_e32 v3, vcc, v3, v11, vcc
	s_waitcnt vmcnt(0)
	v_ashrrev_i32_e32 v8, 31, v9
	v_add_co_u32_e32 v2, vcc, v1, v9
	v_addc_co_u32_e32 v3, vcc, v3, v8, vcc
	v_add_co_u32_e32 v1, vcc, v4, v10
	ds_write_b64 v0, v[2:3]
	v_addc_co_u32_e32 v3, vcc, v5, v11, vcc
	v_add_co_u32_e32 v2, vcc, v1, v9
	v_addc_co_u32_e32 v3, vcc, v3, v8, vcc
	v_add_co_u32_e32 v1, vcc, v6, v10
	ds_write_b64 v0, v[2:3]
	v_addc_co_u32_e32 v2, vcc, v7, v11, vcc
	v_add_co_u32_e32 v1, vcc, v1, v9
	v_addc_co_u32_e32 v2, vcc, v2, v8, vcc
	v_cmp_ne_u64_e32 vcc, 0, v[6:7]
	v_accvgpr_read_b32 v6, a22
	v_cndmask_b32_e32 v3, 0, v2, vcc
	v_cndmask_b32_e32 v2, 0, v1, vcc
	ds_write_b64 v0, v[2:3]
.LBB2_1785:                             ;   in Loop: Header=BB2_1783 Depth=2
	s_or_b64 exec, exec, s[28:29]
	v_and_b32_e32 v1, 12, v57
	v_cmp_ne_u32_e32 vcc, 0, v1
	s_mov_b64 s[30:31], -1
	s_and_saveexec_b64 s[28:29], vcc
	s_cbranch_execz .LBB2_1797
; %bb.1786:                             ;   in Loop: Header=BB2_1783 Depth=2
	v_and_b32_e32 v4, 8, v57
	v_add_co_u32_e32 v2, vcc, v50, v4
	v_addc_co_u32_e32 v3, vcc, 0, v51, vcc
	v_add_co_u32_e32 v8, vcc, 2, v44
	v_addc_co_u32_e32 v9, vcc, 0, v45, vcc
	v_cmp_lt_u64_e32 vcc, v[2:3], v[8:9]
	v_mov_b32_e32 v1, 1
	s_and_saveexec_b64 s[30:31], vcc
	s_cbranch_execz .LBB2_1796
; %bb.1787:                             ;   in Loop: Header=BB2_1783 Depth=2
	s_mov_b64 s[34:35], 0
	v_mov_b32_e32 v1, 0
                                        ; implicit-def: $sgpr36_sgpr37
	s_branch .LBB2_1791
.LBB2_1788:                             ;   in Loop: Header=BB2_1791 Depth=3
	s_or_b64 exec, exec, s[72:73]
	v_mov_b32_e32 v2, 0
	s_orn2_b64 s[70:71], s[70:71], exec
.LBB2_1789:                             ;   in Loop: Header=BB2_1791 Depth=3
	s_or_b64 exec, exec, s[68:69]
	s_andn2_b64 vcc, s[36:37], exec
	s_and_b64 s[36:37], s[70:71], exec
	s_or_b64 s[36:37], vcc, s[36:37]
	v_mov_b32_e32 v1, v2
.LBB2_1790:                             ;   in Loop: Header=BB2_1791 Depth=3
	s_or_b64 exec, exec, s[66:67]
	s_waitcnt vmcnt(0) lgkmcnt(0)
	v_add_co_u32_e32 v2, vcc, v50, v4
	v_addc_co_u32_e32 v3, vcc, 0, v51, vcc
	v_cmp_ge_u64_e32 vcc, v[2:3], v[8:9]
	s_xor_b64 s[66:67], s[36:37], -1
	s_or_b64 vcc, s[66:67], vcc
	s_and_b64 vcc, exec, vcc
	s_or_b64 s[34:35], vcc, s[34:35]
	s_andn2_b64 exec, exec, s[34:35]
	s_cbranch_execz .LBB2_1795
.LBB2_1791:                             ;   Parent Loop BB2_47 Depth=1
                                        ;     Parent Loop BB2_1783 Depth=2
                                        ; =>    This Inner Loop Header: Depth=3
	s_sleep 1
	flat_load_dwordx2 v[50:51], v[48:49] glc
	v_and_b32_e32 v2, 64, v57
	v_cmp_eq_u32_e32 vcc, 0, v2
	s_andn2_b64 s[36:37], s[36:37], exec
	s_and_saveexec_b64 s[66:67], vcc
	s_cbranch_execz .LBB2_1790
; %bb.1792:                             ;   in Loop: Header=BB2_1791 Depth=3
	v_add_u32_e32 v2, 1, v1
	v_cmp_lt_i32_e32 vcc, s89, v1
	s_mov_b64 s[70:71], -1
	s_and_saveexec_b64 s[68:69], vcc
	s_cbranch_execz .LBB2_1789
; %bb.1793:                             ;   in Loop: Header=BB2_1791 Depth=3
	s_trap 2
	ds_read_b64 v[2:3], v0
	s_waitcnt vmcnt(0) lgkmcnt(0)
	flat_load_dword v1, v[2:3] glc
	s_waitcnt vmcnt(0) lgkmcnt(0)
	buffer_invl2
	buffer_wbinvl1_vol
	v_cmp_ne_u32_e32 vcc, 0, v1
	s_and_saveexec_b64 s[72:73], vcc
	s_cbranch_execz .LBB2_1788
; %bb.1794:                             ;   in Loop: Header=BB2_1791 Depth=3
	v_or_b32_e32 v57, 64, v57
	s_xor_b64 s[70:71], exec, -1
	ds_write_b32 v0, v1
	s_trap 2
	s_branch .LBB2_1788
.LBB2_1795:                             ;   in Loop: Header=BB2_1783 Depth=2
	s_or_b64 exec, exec, s[34:35]
	v_and_b32_e32 v1, 12, v57
.LBB2_1796:                             ;   in Loop: Header=BB2_1783 Depth=2
	s_or_b64 exec, exec, s[30:31]
	v_cmp_eq_u32_e32 vcc, 0, v1
	s_orn2_b64 s[30:31], vcc, exec
	;;#ASMSTART
	s_wakeup
	;;#ASMEND
.LBB2_1797:                             ;   in Loop: Header=BB2_1783 Depth=2
	s_or_b64 exec, exec, s[28:29]
	buffer_load_dword v2, off, s[0:3], s33 offset:176 ; 4-byte Folded Reload
	v_accvgpr_read_b32 v1, a56
	s_xor_b64 s[28:29], s[30:31], -1
	s_waitcnt vmcnt(0)
	v_sub_u32_e32 v1, v1, v2
	v_accvgpr_read_b32 v2, a58
	v_min_i32_e32 v2, v2, v1
	v_accvgpr_write_b32 a58, v2
	s_and_saveexec_b64 s[30:31], s[28:29]
	s_cbranch_execz .LBB2_1809
; %bb.1798:                             ;   in Loop: Header=BB2_1783 Depth=2
	v_and_b32_e32 v1, 0x108, v57
	v_cmp_ne_u32_e32 vcc, s90, v1
	v_and_b32_e32 v4, 7, v44
	s_and_saveexec_b64 s[28:29], vcc
	s_xor_b64 s[28:29], exec, s[28:29]
	s_andn2_saveexec_b64 s[28:29], s[28:29]
	s_cbranch_execz .LBB2_1800
; %bb.1799:                             ;   in Loop: Header=BB2_1783 Depth=2
	v_accvgpr_read_b32 v2, a12
	v_accvgpr_read_b32 v3, a13
	;; [unrolled: 1-line block ×3, first 2 shown]
	v_mad_u64_u32 v[2:3], vcc, v4, 24, v[2:3]
	v_ashrrev_i32_e32 v9, 31, v8
	flat_store_dwordx2 v[2:3], v[8:9] offset:8
.LBB2_1800:                             ;   in Loop: Header=BB2_1783 Depth=2
	s_or_b64 exec, exec, s[28:29]
	v_and_b32_e32 v1, 0x100, v57
	v_cmp_ne_u32_e32 vcc, 0, v1
	s_mov_b64 s[28:29], -1
                                        ; implicit-def: $vgpr8_vgpr9
	s_and_saveexec_b64 s[34:35], vcc
	s_cbranch_execz .LBB2_1804
; %bb.1801:                             ;   in Loop: Header=BB2_1783 Depth=2
	v_accvgpr_read_b32 v2, a12
	v_accvgpr_read_b32 v3, a13
	v_mad_u64_u32 v[10:11], s[28:29], v4, 24, v[2:3]
	v_mov_b32_e32 v2, v11
	v_mad_u64_u32 v[2:3], s[28:29], v61, 24, v[2:3]
	v_mov_b32_e32 v11, v2
	flat_load_dword v1, v[10:11]
                                        ; implicit-def: $vgpr8_vgpr9
	s_waitcnt vmcnt(0) lgkmcnt(0)
	v_cmp_ne_u32_e32 vcc, 1, v1
	v_cmp_eq_u32_e64 s[28:29], 1, v1
	s_and_saveexec_b64 s[36:37], s[28:29]
	s_cbranch_execz .LBB2_1803
; %bb.1802:                             ;   in Loop: Header=BB2_1783 Depth=2
	flat_load_dword v8, v[10:11] offset:4 glc
	s_waitcnt vmcnt(0) lgkmcnt(0)
	v_ashrrev_i32_e32 v9, 31, v8
.LBB2_1803:                             ;   in Loop: Header=BB2_1783 Depth=2
	s_or_b64 exec, exec, s[36:37]
	s_orn2_b64 s[28:29], vcc, exec
.LBB2_1804:                             ;   in Loop: Header=BB2_1783 Depth=2
	s_or_b64 exec, exec, s[34:35]
	s_and_saveexec_b64 vcc, s[28:29]
; %bb.1805:                             ;   in Loop: Header=BB2_1783 Depth=2
	v_accvgpr_read_b32 v6, a16
	v_accvgpr_read_b32 v3, a17
	v_mul_lo_u32 v1, v61, v6
	v_mul_lo_u32 v2, v4, v3
	v_mad_u64_u32 v[8:9], s[28:29], v4, v6, 0
	v_accvgpr_read_b32 v6, a22
	v_add3_u32 v9, v9, v2, v1
; %bb.1806:                             ;   in Loop: Header=BB2_1783 Depth=2
	s_or_b64 exec, exec, vcc
	v_accvgpr_read_b32 v2, a18
	v_accvgpr_read_b32 v3, a19
	v_add_co_u32_e32 v2, vcc, v2, v8
	v_addc_co_u32_e32 v3, vcc, v3, v9, vcc
	v_and_b32_e32 v1, 0x2000, v57
	v_cmp_ne_u32_e32 vcc, 0, v1
	s_trap 2
	ds_write_b64 v0, v[2:3]
	s_and_saveexec_b64 s[28:29], vcc
	s_cbranch_execz .LBB2_1808
; %bb.1807:                             ;   in Loop: Header=BB2_1783 Depth=2
	ds_read_b64 v[2:3], v0 offset:584
	s_waitcnt lgkmcnt(0)
	v_add_co_u32_e32 v2, vcc, 1, v2
	v_addc_co_u32_e32 v3, vcc, 0, v3, vcc
	ds_write_b64 v0, v[2:3] offset:584
.LBB2_1808:                             ;   in Loop: Header=BB2_1783 Depth=2
	s_or_b64 exec, exec, s[28:29]
	v_add_co_u32_e32 v44, vcc, 2, v44
	v_addc_co_u32_e32 v45, vcc, 0, v45, vcc
.LBB2_1809:                             ;   in Loop: Header=BB2_1783 Depth=2
	s_or_b64 exec, exec, s[30:31]
	s_and_saveexec_b64 s[28:29], s[10:11]
	s_cbranch_execz .LBB2_1828
; %bb.1810:                             ;   in Loop: Header=BB2_1783 Depth=2
	s_and_saveexec_b64 vcc, s[46:47]
	s_xor_b64 s[30:31], exec, vcc
	s_cbranch_execz .LBB2_1825
; %bb.1811:                             ;   in Loop: Header=BB2_1783 Depth=2
	s_and_saveexec_b64 s[34:35], s[16:17]
	s_cbranch_execz .LBB2_1824
; %bb.1812:                             ;   in Loop: Header=BB2_1783 Depth=2
	s_mov_b64 s[66:67], exec
	v_mbcnt_lo_u32_b32 v1, s66, 0
	v_mbcnt_hi_u32_b32 v1, s67, v1
	v_cmp_eq_u32_e32 vcc, 0, v1
	s_waitcnt vmcnt(0) lgkmcnt(0)
	buffer_wbinvl1_vol
	s_and_saveexec_b64 s[36:37], vcc
	s_cbranch_execz .LBB2_1814
; %bb.1813:                             ;   in Loop: Header=BB2_1783 Depth=2
	s_bcnt1_i32_b64 vcc_lo, s[66:67]
	v_mov_b32_e32 v60, vcc_lo
	ds_add_u64 v0, v[60:61]
	s_trap 2
.LBB2_1814:                             ;   in Loop: Header=BB2_1783 Depth=2
	s_or_b64 exec, exec, s[36:37]
	s_trap 2
	ds_read_b64 v[2:3], v0
	v_accvgpr_read_b32 v4, a14
	v_accvgpr_read_b32 v5, a15
	v_add_co_u32_e32 v4, vcc, v4, v6
	v_addc_co_u32_e32 v5, vcc, 0, v5, vcc
	v_accvgpr_write_b32 a15, v5
	v_accvgpr_write_b32 a14, v4
	s_waitcnt lgkmcnt(0)
	v_cmp_lt_u64_e32 vcc, v[2:3], v[4:5]
	s_and_saveexec_b64 s[36:37], vcc
	s_cbranch_execz .LBB2_1823
; %bb.1815:                             ;   in Loop: Header=BB2_1783 Depth=2
	s_mov_b32 s96, 0
	s_mov_b64 s[66:67], 0
                                        ; implicit-def: $sgpr68_sgpr69
                                        ; implicit-def: $sgpr70_sgpr71
	s_branch .LBB2_1817
.LBB2_1816:                             ;   in Loop: Header=BB2_1817 Depth=3
	s_or_b64 exec, exec, s[74:75]
	s_and_b64 vcc, exec, vcc
	s_or_b64 s[66:67], vcc, s[66:67]
	s_andn2_b64 vcc, s[68:69], exec
	s_and_b64 s[68:69], s[70:71], exec
	s_or_b64 s[68:69], vcc, s[68:69]
	s_andn2_b64 exec, exec, s[66:67]
	s_cbranch_execz .LBB2_1821
.LBB2_1817:                             ;   Parent Loop BB2_47 Depth=1
                                        ;     Parent Loop BB2_1783 Depth=2
                                        ; =>    This Inner Loop Header: Depth=3
	s_add_i32 s96, s96, 1
	s_cmpk_lg_i32 s96, 0x2710
	s_cselect_b64 s[72:73], -1, 0
	s_and_b64 vcc, exec, s[72:73]
                                        ; implicit-def: $sgpr74_sgpr75
	s_cbranch_vccnz .LBB2_1819
; %bb.1818:                             ;   in Loop: Header=BB2_1817 Depth=3
	s_trap 2
	ds_read_b64 v[2:3], v0
	s_andn2_b64 s[72:73], s[72:73], exec
	s_mov_b32 s96, 0
	s_mov_b64 s[74:75], -1
	s_waitcnt lgkmcnt(0)
	flat_load_dword v1, v[2:3] glc
	s_waitcnt vmcnt(0) lgkmcnt(0)
	buffer_invl2
	buffer_wbinvl1_vol
	v_cmp_eq_u32_e32 vcc, 0, v1
	s_and_b64 vcc, vcc, exec
	s_or_b64 s[72:73], s[72:73], vcc
.LBB2_1819:                             ;   in Loop: Header=BB2_1817 Depth=3
	s_andn2_b64 s[70:71], s[70:71], exec
	s_and_b64 s[74:75], s[74:75], exec
	s_mov_b64 vcc, -1
	s_or_b64 s[70:71], s[70:71], s[74:75]
	s_and_saveexec_b64 s[74:75], s[72:73]
	s_cbranch_execz .LBB2_1816
; %bb.1820:                             ;   in Loop: Header=BB2_1817 Depth=3
	s_sleep 1
	s_trap 2
	ds_read_b64 v[2:3], v0
	v_accvgpr_read_b32 v4, a14
	v_accvgpr_read_b32 v5, a15
	s_andn2_b64 s[70:71], s[70:71], exec
	s_waitcnt lgkmcnt(0)
	v_cmp_ge_u64_e32 vcc, v[2:3], v[4:5]
	s_orn2_b64 vcc, vcc, exec
	s_branch .LBB2_1816
.LBB2_1821:                             ;   in Loop: Header=BB2_1783 Depth=2
	s_or_b64 exec, exec, s[66:67]
	s_and_saveexec_b64 vcc, s[68:69]
	s_xor_b64 vcc, exec, vcc
	s_cbranch_execz .LBB2_1823
; %bb.1822:                             ;   in Loop: Header=BB2_1783 Depth=2
	v_mov_b32_e32 v1, 1
	ds_write_b32 v0, v1
	s_trap 2
.LBB2_1823:                             ;   in Loop: Header=BB2_1783 Depth=2
	s_or_b64 exec, exec, s[36:37]
	;;#ASMSTART
	s_wakeup
	;;#ASMEND
.LBB2_1824:                             ;   in Loop: Header=BB2_1783 Depth=2
	s_or_b64 exec, exec, s[34:35]
.LBB2_1825:                             ;   in Loop: Header=BB2_1783 Depth=2
	s_andn2_saveexec_b64 vcc, s[30:31]
	s_cbranch_execz .LBB2_1827
; %bb.1826:                             ;   in Loop: Header=BB2_1783 Depth=2
	s_waitcnt vmcnt(0) lgkmcnt(0)
	buffer_wbinvl1_vol
	s_barrier
.LBB2_1827:                             ;   in Loop: Header=BB2_1783 Depth=2
	s_or_b64 exec, exec, vcc
.LBB2_1828:                             ;   in Loop: Header=BB2_1783 Depth=2
	s_or_b64 exec, exec, s[28:29]
	s_trap 2
	ds_read_b32 v1, v0
	v_and_b32_e32 v2, 0x4000, v57
	v_cmp_ne_u32_e32 vcc, 0, v2
	s_xor_b64 s[28:29], s[6:7], -1
	s_and_b64 vcc, s[28:29], vcc
	s_and_saveexec_b64 s[28:29], vcc
	s_cbranch_execz .LBB2_1847
; %bb.1829:                             ;   in Loop: Header=BB2_1783 Depth=2
	s_and_saveexec_b64 vcc, s[46:47]
	s_xor_b64 s[30:31], exec, vcc
	s_cbranch_execz .LBB2_1844
; %bb.1830:                             ;   in Loop: Header=BB2_1783 Depth=2
	s_and_saveexec_b64 s[34:35], s[16:17]
	s_cbranch_execz .LBB2_1843
; %bb.1831:                             ;   in Loop: Header=BB2_1783 Depth=2
	s_mov_b64 s[66:67], exec
	v_mbcnt_lo_u32_b32 v2, s66, 0
	v_mbcnt_hi_u32_b32 v2, s67, v2
	v_cmp_eq_u32_e32 vcc, 0, v2
	s_waitcnt vmcnt(0) lgkmcnt(0)
	buffer_wbinvl1_vol
	s_and_saveexec_b64 s[36:37], vcc
	s_cbranch_execz .LBB2_1833
; %bb.1832:                             ;   in Loop: Header=BB2_1783 Depth=2
	s_bcnt1_i32_b64 vcc_lo, s[66:67]
	v_mov_b32_e32 v60, vcc_lo
	ds_add_u64 v0, v[60:61]
	s_trap 2
.LBB2_1833:                             ;   in Loop: Header=BB2_1783 Depth=2
	s_or_b64 exec, exec, s[36:37]
	s_trap 2
	ds_read_b64 v[2:3], v0
	v_accvgpr_read_b32 v4, a14
	v_accvgpr_read_b32 v5, a15
	v_add_co_u32_e32 v4, vcc, v4, v6
	v_addc_co_u32_e32 v5, vcc, 0, v5, vcc
	v_accvgpr_write_b32 a15, v5
	v_accvgpr_write_b32 a14, v4
	s_waitcnt lgkmcnt(0)
	v_cmp_lt_u64_e32 vcc, v[2:3], v[4:5]
	s_and_saveexec_b64 s[36:37], vcc
	s_cbranch_execz .LBB2_1842
; %bb.1834:                             ;   in Loop: Header=BB2_1783 Depth=2
	s_mov_b32 s96, 0
	s_mov_b64 s[66:67], 0
                                        ; implicit-def: $sgpr68_sgpr69
                                        ; implicit-def: $sgpr70_sgpr71
	s_branch .LBB2_1836
.LBB2_1835:                             ;   in Loop: Header=BB2_1836 Depth=3
	s_or_b64 exec, exec, s[74:75]
	s_and_b64 vcc, exec, vcc
	s_or_b64 s[66:67], vcc, s[66:67]
	s_andn2_b64 vcc, s[68:69], exec
	s_and_b64 s[68:69], s[70:71], exec
	s_or_b64 s[68:69], vcc, s[68:69]
	s_andn2_b64 exec, exec, s[66:67]
	s_cbranch_execz .LBB2_1840
.LBB2_1836:                             ;   Parent Loop BB2_47 Depth=1
                                        ;     Parent Loop BB2_1783 Depth=2
                                        ; =>    This Inner Loop Header: Depth=3
	s_add_i32 s96, s96, 1
	s_cmpk_lg_i32 s96, 0x2710
	s_cselect_b64 s[72:73], -1, 0
	s_and_b64 vcc, exec, s[72:73]
                                        ; implicit-def: $sgpr74_sgpr75
	s_cbranch_vccnz .LBB2_1838
; %bb.1837:                             ;   in Loop: Header=BB2_1836 Depth=3
	s_trap 2
	ds_read_b64 v[2:3], v0
	s_andn2_b64 s[72:73], s[72:73], exec
	s_mov_b32 s96, 0
	s_mov_b64 s[74:75], -1
	s_waitcnt lgkmcnt(0)
	flat_load_dword v2, v[2:3] glc
	s_waitcnt vmcnt(0) lgkmcnt(0)
	buffer_invl2
	buffer_wbinvl1_vol
	v_cmp_eq_u32_e32 vcc, 0, v2
	s_and_b64 vcc, vcc, exec
	s_or_b64 s[72:73], s[72:73], vcc
.LBB2_1838:                             ;   in Loop: Header=BB2_1836 Depth=3
	s_andn2_b64 s[70:71], s[70:71], exec
	s_and_b64 s[74:75], s[74:75], exec
	s_mov_b64 vcc, -1
	s_or_b64 s[70:71], s[70:71], s[74:75]
	s_and_saveexec_b64 s[74:75], s[72:73]
	s_cbranch_execz .LBB2_1835
; %bb.1839:                             ;   in Loop: Header=BB2_1836 Depth=3
	s_sleep 1
	s_trap 2
	ds_read_b64 v[2:3], v0
	v_accvgpr_read_b32 v4, a14
	v_accvgpr_read_b32 v5, a15
	s_andn2_b64 s[70:71], s[70:71], exec
	s_waitcnt lgkmcnt(0)
	v_cmp_ge_u64_e32 vcc, v[2:3], v[4:5]
	s_orn2_b64 vcc, vcc, exec
	s_branch .LBB2_1835
.LBB2_1840:                             ;   in Loop: Header=BB2_1783 Depth=2
	s_or_b64 exec, exec, s[66:67]
	s_and_saveexec_b64 vcc, s[68:69]
	s_xor_b64 vcc, exec, vcc
	s_cbranch_execz .LBB2_1842
; %bb.1841:                             ;   in Loop: Header=BB2_1783 Depth=2
	v_mov_b32_e32 v2, 1
	ds_write_b32 v0, v2
	s_trap 2
.LBB2_1842:                             ;   in Loop: Header=BB2_1783 Depth=2
	s_or_b64 exec, exec, s[36:37]
	;;#ASMSTART
	s_wakeup
	;;#ASMEND
.LBB2_1843:                             ;   in Loop: Header=BB2_1783 Depth=2
	s_or_b64 exec, exec, s[34:35]
.LBB2_1844:                             ;   in Loop: Header=BB2_1783 Depth=2
	s_andn2_saveexec_b64 vcc, s[30:31]
	s_cbranch_execz .LBB2_1846
; %bb.1845:                             ;   in Loop: Header=BB2_1783 Depth=2
	s_waitcnt vmcnt(0) lgkmcnt(0)
	buffer_wbinvl1_vol
	s_barrier
.LBB2_1846:                             ;   in Loop: Header=BB2_1783 Depth=2
	s_or_b64 exec, exec, vcc
.LBB2_1847:                             ;   in Loop: Header=BB2_1783 Depth=2
	s_or_b64 exec, exec, s[28:29]
	s_trap 2
	ds_read_b64 v[2:3], v0
	s_waitcnt lgkmcnt(0)
	v_readfirstlane_b32 s28, v2
	v_readfirstlane_b32 s29, v3
	s_cmp_eq_u64 s[28:29], 0
	s_cselect_b64 s[28:29], -1, 0
	s_or_b64 s[28:29], s[28:29], s[28:29]
	s_and_b64 vcc, exec, s[28:29]
	v_mov_b32_e32 v2, 0
	buffer_store_dword v2, off, s[0:3], s33 offset:184 ; 4-byte Folded Spill
	s_cbranch_vccnz .LBB2_1856
; %bb.1848:                             ;   in Loop: Header=BB2_1783 Depth=2
	s_trap 2
	ds_read_b64 v[2:3], v0
	v_cmp_eq_u32_e64 s[28:29], 0, v1
	s_waitcnt lgkmcnt(0)
	v_cmp_ne_u64_e32 vcc, 0, v[2:3]
	v_accvgpr_read_b32 v2, a58
	v_cndmask_b32_e64 v1, 0, v2, s[28:29]
	buffer_store_dword v1, off, s[0:3], s33 offset:184 ; 4-byte Folded Spill
	s_cbranch_vccz .LBB2_1868
; %bb.1849:                             ;   in Loop: Header=BB2_1783 Depth=2
	s_mov_b64 s[30:31], -1
	s_and_saveexec_b64 s[28:29], s[22:23]
	s_cbranch_execz .LBB2_1851
; %bb.1850:                             ;   in Loop: Header=BB2_1783 Depth=2
	ds_read_b32 v1, v0 offset:720
	s_waitcnt lgkmcnt(0)
	v_and_b32_e32 v1, 15, v1
	v_cmp_eq_u32_e32 vcc, 0, v1
	s_orn2_b64 s[30:31], vcc, exec
.LBB2_1851:                             ;   in Loop: Header=BB2_1783 Depth=2
	s_or_b64 exec, exec, s[28:29]
	s_and_saveexec_b64 s[28:29], s[22:23]
	s_cbranch_execz .LBB2_1853
; %bb.1852:                             ;   in Loop: Header=BB2_1783 Depth=2
	ds_read_b32 v1, v0 offset:784
	s_waitcnt lgkmcnt(0)
	v_and_b32_e32 v1, 15, v1
	v_cmp_eq_u32_e32 vcc, 0, v1
	s_and_b64 vcc, s[30:31], vcc
	s_andn2_b64 s[30:31], s[30:31], exec
	s_and_b64 vcc, vcc, exec
	s_or_b64 s[30:31], s[30:31], vcc
.LBB2_1853:                             ;   in Loop: Header=BB2_1783 Depth=2
	s_or_b64 exec, exec, s[28:29]
	s_xor_b64 vcc, s[30:31], -1
	v_cndmask_b32_e64 v1, 0, 1, vcc
	;;#ASMSTART
	;;#ASMEND
	buffer_load_dword v16, off, s[0:3], s33 offset:184 ; 4-byte Folded Reload
	s_mov_b64 s[28:29], -1
	v_cmp_ne_u32_e32 vcc, 0, v1
	v_mov_b32_e32 v1, 0
	v_accvgpr_read_b32 v17, a3
	v_accvgpr_read_b32 v4, a31
	s_cbranch_vccz .LBB2_1869
; %bb.1854:                             ;   in Loop: Header=BB2_1783 Depth=2
	s_and_saveexec_b64 s[34:35], s[28:29]
	s_cbranch_execnz .LBB2_3070
.LBB2_1855:                             ;   in Loop: Header=BB2_1783 Depth=2
	s_or_b64 exec, exec, s[34:35]
.LBB2_1856:                             ;   in Loop: Header=BB2_1783 Depth=2
	s_and_saveexec_b64 s[28:29], s[10:11]
	s_cbranch_execz .LBB2_2647
.LBB2_1857:                             ;   in Loop: Header=BB2_1783 Depth=2
	s_and_saveexec_b64 vcc, s[46:47]
	s_xor_b64 s[30:31], exec, vcc
	s_cbranch_execz .LBB2_2644
; %bb.1858:                             ;   in Loop: Header=BB2_1783 Depth=2
	s_and_saveexec_b64 s[34:35], s[16:17]
	s_cbranch_execz .LBB2_2643
; %bb.1859:                             ;   in Loop: Header=BB2_1783 Depth=2
	s_mov_b64 s[66:67], exec
	v_mbcnt_lo_u32_b32 v1, s66, 0
	v_mbcnt_hi_u32_b32 v1, s67, v1
	v_cmp_eq_u32_e32 vcc, 0, v1
	s_waitcnt vmcnt(0) lgkmcnt(0)
	buffer_wbinvl1_vol
	s_and_saveexec_b64 s[36:37], vcc
	s_cbranch_execz .LBB2_1861
; %bb.1860:                             ;   in Loop: Header=BB2_1783 Depth=2
	s_bcnt1_i32_b64 vcc_lo, s[66:67]
	v_mov_b32_e32 v60, vcc_lo
	ds_add_u64 v0, v[60:61]
	s_trap 2
.LBB2_1861:                             ;   in Loop: Header=BB2_1783 Depth=2
	s_or_b64 exec, exec, s[36:37]
	s_trap 2
	ds_read_b64 v[2:3], v0
	v_accvgpr_read_b32 v4, a14
	v_accvgpr_read_b32 v5, a15
	v_add_co_u32_e32 v4, vcc, v4, v6
	v_addc_co_u32_e32 v5, vcc, 0, v5, vcc
	v_accvgpr_write_b32 a15, v5
	v_accvgpr_write_b32 a14, v4
	s_waitcnt lgkmcnt(0)
	v_cmp_lt_u64_e32 vcc, v[2:3], v[4:5]
	s_and_saveexec_b64 s[36:37], vcc
	s_cbranch_execz .LBB2_2642
; %bb.1862:                             ;   in Loop: Header=BB2_1783 Depth=2
	s_mov_b32 s96, 0
	s_mov_b64 s[66:67], 0
                                        ; implicit-def: $sgpr68_sgpr69
                                        ; implicit-def: $sgpr70_sgpr71
	s_branch .LBB2_1864
.LBB2_1863:                             ;   in Loop: Header=BB2_1864 Depth=3
	s_or_b64 exec, exec, s[74:75]
	s_and_b64 vcc, exec, vcc
	s_or_b64 s[66:67], vcc, s[66:67]
	s_andn2_b64 vcc, s[68:69], exec
	s_and_b64 s[68:69], s[70:71], exec
	s_or_b64 s[68:69], vcc, s[68:69]
	s_andn2_b64 exec, exec, s[66:67]
	s_cbranch_execz .LBB2_2640
.LBB2_1864:                             ;   Parent Loop BB2_47 Depth=1
                                        ;     Parent Loop BB2_1783 Depth=2
                                        ; =>    This Inner Loop Header: Depth=3
	s_add_i32 s96, s96, 1
	s_cmpk_lg_i32 s96, 0x2710
	s_cselect_b64 s[72:73], -1, 0
	s_and_b64 vcc, exec, s[72:73]
                                        ; implicit-def: $sgpr74_sgpr75
	s_cbranch_vccnz .LBB2_1866
; %bb.1865:                             ;   in Loop: Header=BB2_1864 Depth=3
	s_trap 2
	ds_read_b64 v[2:3], v0
	s_andn2_b64 s[72:73], s[72:73], exec
	s_mov_b32 s96, 0
	s_mov_b64 s[74:75], -1
	s_waitcnt lgkmcnt(0)
	flat_load_dword v1, v[2:3] glc
	s_waitcnt vmcnt(0) lgkmcnt(0)
	buffer_invl2
	buffer_wbinvl1_vol
	v_cmp_eq_u32_e32 vcc, 0, v1
	s_and_b64 vcc, vcc, exec
	s_or_b64 s[72:73], s[72:73], vcc
.LBB2_1866:                             ;   in Loop: Header=BB2_1864 Depth=3
	s_andn2_b64 s[70:71], s[70:71], exec
	s_and_b64 s[74:75], s[74:75], exec
	s_mov_b64 vcc, -1
	s_or_b64 s[70:71], s[70:71], s[74:75]
	s_and_saveexec_b64 s[74:75], s[72:73]
	s_cbranch_execz .LBB2_1863
; %bb.1867:                             ;   in Loop: Header=BB2_1864 Depth=3
	s_sleep 1
	s_trap 2
	ds_read_b64 v[2:3], v0
	v_accvgpr_read_b32 v4, a14
	v_accvgpr_read_b32 v5, a15
	s_andn2_b64 s[70:71], s[70:71], exec
	s_waitcnt lgkmcnt(0)
	v_cmp_ge_u64_e32 vcc, v[2:3], v[4:5]
	s_orn2_b64 vcc, vcc, exec
	s_branch .LBB2_1863
.LBB2_1868:                             ;   in Loop: Header=BB2_1783 Depth=2
	s_cbranch_execnz .LBB2_3221
	s_branch .LBB2_1856
.LBB2_1869:                             ;   in Loop: Header=BB2_1783 Depth=2
	buffer_load_dword v2, off, s[0:3], s33 offset:184 ; 4-byte Folded Reload
	s_waitcnt vmcnt(0)
	v_ashrrev_i32_e32 v1, 31, v2
	v_lshrrev_b32_e32 v1, 21, v1
	v_add_u32_e32 v1, v2, v1
	v_ashrrev_i32_e32 v2, 11, v1
	v_accvgpr_read_b32 v1, a31
	v_sub_u32_e32 v6, v2, v1
	v_cmp_lt_i32_e32 vcc, 0, v6
	s_and_saveexec_b64 s[30:31], vcc
	s_cbranch_execz .LBB2_2675
; %bb.1870:                             ;   in Loop: Header=BB2_1783 Depth=2
	v_accvgpr_write_b32 a60, v2
	s_trap 2
	ds_read_b128 v[2:5], v0
	v_accvgpr_read_b32 v8, a44
	v_accvgpr_read_b32 v1, a45
	s_mov_b64 s[34:35], 0
	s_waitcnt lgkmcnt(0)
	v_add_co_u32_e32 v28, vcc, v2, v8
	v_addc_co_u32_e32 v29, vcc, v3, v1, vcc
	v_add_co_u32_e32 v24, vcc, v4, v8
	v_addc_co_u32_e32 v25, vcc, v5, v1, vcc
	v_pk_mov_b32 v[42:43], v[28:29], v[28:29] op_sel:[0,1]
	v_pk_mov_b32 v[4:5], v[24:25], v[24:25] op_sel:[0,1]
	s_branch .LBB2_1872
.LBB2_1871:                             ;   in Loop: Header=BB2_1872 Depth=3
	s_or_b64 exec, exec, s[28:29]
	v_lshlrev_b32_e32 v9, 8, v36
	v_perm_b32 v9, v9, v26, s94
	v_lshl_or_b32 v9, v37, 16, v9
	v_lshl_or_b32 v21, v21, 24, v9
	buffer_load_dword v9, off, s[0:3], s33 offset:180 ; 4-byte Folded Reload
	v_lshlrev_b32_e32 v11, 8, v40
	v_lshlrev_b32_e32 v10, 24, v47
	v_perm_b32 v11, v11, v35, s94
	v_and_b32_e32 v7, 0xff, v7
	v_lshlrev_b32_e32 v3, 24, v3
	v_lshlrev_b32_e32 v7, 16, v7
	v_and_b32_e32 v1, 0xff, v1
	v_lshlrev_b32_e32 v1, 16, v1
	s_waitcnt vmcnt(0)
	v_and_b32_e32 v9, 0xff, v9
	v_lshlrev_b32_e32 v9, 16, v9
	v_or3_b32 v20, v10, v9, v11
	v_lshlrev_b32_e32 v9, 8, v53
	v_perm_b32 v9, v9, v52, s94
	v_or3_b32 v22, v3, v7, v9
	v_lshlrev_b32_e32 v3, 8, v41
	v_perm_b32 v2, v3, v2, s94
	v_lshl_or_b32 v2, v55, 16, v2
	v_lshl_or_b32 v23, v19, 24, v2
	v_lshlrev_b32_e32 v2, 8, v18
	v_perm_b32 v2, v2, v39, s94
	v_lshl_or_b32 v2, v16, 16, v2
	v_lshl_or_b32 v15, v13, 24, v2
	v_and_b32_e32 v2, 0xff, v27
	v_lshlrev_b32_e32 v7, 8, v46
	v_lshlrev_b32_e32 v3, 24, v38
	;; [unrolled: 1-line block ×3, first 2 shown]
	v_perm_b32 v7, v7, v56, s94
	v_or3_b32 v14, v3, v2, v7
	v_lshlrev_b32_e32 v3, 8, v31
	v_lshlrev_b32_e32 v2, 24, v58
	v_perm_b32 v3, v3, v17, s94
	v_or3_b32 v16, v2, v1, v3
	v_lshlrev_b32_e32 v1, 8, v12
	v_perm_b32 v1, v1, v59, s94
	v_lshl_or_b32 v1, v54, 16, v1
	v_lshl_or_b32 v17, v8, 24, v1
	v_accvgpr_read_b32 v1, a38
	v_add_co_u32_e32 v28, vcc, v28, v1
	v_accvgpr_read_b32 v3, a39
	v_addc_co_u32_e32 v29, vcc, v29, v3, vcc
	v_add_co_u32_e32 v24, vcc, v24, v1
	v_addc_co_u32_e32 v25, vcc, v25, v3, vcc
	global_store_dwordx4 v[42:43], v[20:23], off glc slc
	global_store_dwordx4 v[42:43], v[14:17], off offset:1024 glc slc
	global_store_dwordx4 v[4:5], v[20:23], off glc slc
	global_store_dwordx4 v[4:5], v[14:17], off offset:1024 glc slc
	v_add_co_u32_e32 v42, vcc, v42, v1
	v_accvgpr_read_b32 v2, a22
	v_addc_co_u32_e32 v43, vcc, v43, v3, vcc
	v_sub_u32_e32 v6, v6, v2
	v_cmp_gt_i32_e32 vcc, 1, v6
	s_or_b64 s[34:35], vcc, s[34:35]
	v_add_co_u32_e32 v4, vcc, v4, v1
	v_addc_co_u32_e32 v5, vcc, v5, v3, vcc
	s_andn2_b64 exec, exec, s[34:35]
	s_cbranch_execz .LBB2_2674
.LBB2_1872:                             ;   Parent Loop BB2_47 Depth=1
                                        ;     Parent Loop BB2_1783 Depth=2
                                        ; =>    This Inner Loop Header: Depth=3
	global_load_dwordx4 v[20:23], v[28:29], off glc slc
	global_load_dwordx4 v[12:15], v[28:29], off offset:1024 glc slc
	global_load_dwordx4 v[16:19], v[24:25], off glc slc
	global_load_dwordx4 v[8:11], v[24:25], off offset:1024 glc slc
	v_mov_b32_e32 v1, 0
	v_mov_b32_e32 v2, 0
	s_waitcnt vmcnt(3)
	v_cmp_ne_u16_sdwa vcc, v20, v61 src0_sel:BYTE_0 src1_sel:DWORD
	s_and_saveexec_b64 s[28:29], vcc
	s_cbranch_execz .LBB2_1878
; %bb.1873:                             ;   in Loop: Header=BB2_1872 Depth=3
	v_cmp_ne_u16_sdwa vcc, v20, s91 src0_sel:BYTE_0 src1_sel:DWORD
	v_bfrev_b32_e32 v2, 1
	s_and_saveexec_b64 s[36:37], vcc
	s_cbranch_execz .LBB2_1877
; %bb.1874:                             ;   in Loop: Header=BB2_1872 Depth=3
	v_and_b32_e32 v3, 0x7f, v20
	v_cmp_ne_u32_e32 vcc, s92, v3
	v_mov_b32_e32 v2, 0x7f800001
	s_and_saveexec_b64 s[66:67], vcc
	s_cbranch_execz .LBB2_1876
; %bb.1875:                             ;   in Loop: Header=BB2_1872 Depth=3
	v_and_b32_e32 v2, 7, v20
	v_ffbh_u32_e32 v2, v2
	v_min_u32_e32 v2, 32, v2
	v_lshrrev_b32_e32 v7, 3, v3
	v_subrev_u32_e32 v26, 28, v2
	v_sub_u32_e32 v2, 29, v2
	v_cmp_gt_u32_e32 vcc, 8, v3
	v_cndmask_b32_e32 v7, v7, v2, vcc
	v_cndmask_b32_e32 v2, 0, v26, vcc
	v_lshlrev_b64 v[2:3], v2, v[20:21]
	v_lshlrev_b32_e32 v2, 20, v2
	v_lshlrev_b32_e32 v3, 24, v20
	v_and_b32_e32 v2, 0x700000, v2
	v_and_b32_e32 v3, 0x80000000, v3
	v_lshl_add_u32 v7, v7, 23, v0
	v_or3_b32 v2, v3, v7, v2
.LBB2_1876:                             ;   in Loop: Header=BB2_1872 Depth=3
	s_or_b64 exec, exec, s[66:67]
.LBB2_1877:                             ;   in Loop: Header=BB2_1872 Depth=3
	s_or_b64 exec, exec, s[36:37]
.LBB2_1878:                             ;   in Loop: Header=BB2_1872 Depth=3
	s_or_b64 exec, exec, s[28:29]
	s_waitcnt vmcnt(1)
	v_cmp_ne_u16_sdwa vcc, v16, v61 src0_sel:BYTE_0 src1_sel:DWORD
	s_and_saveexec_b64 s[28:29], vcc
	s_cbranch_execz .LBB2_1884
; %bb.1879:                             ;   in Loop: Header=BB2_1872 Depth=3
	v_cmp_ne_u16_sdwa vcc, v16, s91 src0_sel:BYTE_0 src1_sel:DWORD
	v_bfrev_b32_e32 v1, 1
	s_and_saveexec_b64 s[36:37], vcc
	s_cbranch_execz .LBB2_1883
; %bb.1880:                             ;   in Loop: Header=BB2_1872 Depth=3
	v_and_b32_e32 v3, 0x7f, v16
	v_cmp_ne_u32_e32 vcc, s92, v3
	v_mov_b32_e32 v1, 0x7f800001
	s_and_saveexec_b64 s[66:67], vcc
	s_cbranch_execz .LBB2_1882
; %bb.1881:                             ;   in Loop: Header=BB2_1872 Depth=3
	v_and_b32_e32 v1, 7, v16
	v_ffbh_u32_e32 v1, v1
	v_min_u32_e32 v1, 32, v1
	v_subrev_u32_e32 v26, 28, v1
	v_cmp_gt_u32_e32 vcc, 8, v3
	v_lshrrev_b32_e32 v7, 3, v3
	v_cndmask_b32_e32 v3, 0, v26, vcc
	v_sub_u32_e32 v1, 29, v1
	v_lshlrev_b64 v[26:27], v3, v[16:17]
	v_cndmask_b32_e32 v1, v7, v1, vcc
	v_lshlrev_b32_e32 v3, 20, v26
	v_lshlrev_b32_e32 v7, 24, v16
	v_and_b32_e32 v3, 0x700000, v3
	v_and_b32_e32 v7, 0x80000000, v7
	v_lshl_add_u32 v1, v1, 23, v0
	v_or3_b32 v1, v7, v1, v3
.LBB2_1882:                             ;   in Loop: Header=BB2_1872 Depth=3
	s_or_b64 exec, exec, s[66:67]
.LBB2_1883:                             ;   in Loop: Header=BB2_1872 Depth=3
	s_or_b64 exec, exec, s[36:37]
.LBB2_1884:                             ;   in Loop: Header=BB2_1872 Depth=3
	s_or_b64 exec, exec, s[28:29]
	v_add_f32_e32 v2, v2, v1
	v_and_b32_sdwa v1, v2, s91 dst_sel:DWORD dst_unused:UNUSED_PAD src0_sel:BYTE_3 src1_sel:DWORD
	v_and_b32_e32 v26, 0x7f800000, v2
	v_mov_b32_e32 v27, v61
	v_and_b32_e32 v60, 0x7fffff, v2
	v_or_b32_e32 v35, 0x7e, v1
	v_cmp_ne_u64_e32 vcc, s[54:55], v[26:27]
	s_and_saveexec_b64 s[28:29], vcc
	s_xor_b64 s[36:37], exec, s[28:29]
	s_cbranch_execz .LBB2_1894
; %bb.1885:                             ;   in Loop: Header=BB2_1872 Depth=3
	v_and_b32_e32 v26, 0x7fffffff, v2
	v_mov_b32_e32 v27, v61
	v_cmp_gt_u64_e32 vcc, s[56:57], v[26:27]
	s_and_saveexec_b64 s[66:67], vcc
	s_cbranch_execz .LBB2_1893
; %bb.1886:                             ;   in Loop: Header=BB2_1872 Depth=3
	v_cmp_ne_u32_e32 vcc, 0, v2
	v_mov_b32_e32 v35, 0
	s_and_saveexec_b64 s[68:69], vcc
	s_cbranch_execz .LBB2_1892
; %bb.1887:                             ;   in Loop: Header=BB2_1872 Depth=3
	v_bfe_u32 v2, v2, 23, 8
	v_sub_u32_e32 v7, 0x79, v2
	v_cmp_gt_u32_e32 vcc, s93, v2
	v_add_u32_e32 v3, 0xffffff81, v2
	v_cndmask_b32_e32 v7, 0, v7, vcc
	v_cmp_eq_u32_e32 vcc, 0, v2
	v_mov_b32_e32 v2, 0xffffff82
	v_cndmask_b32_e32 v34, v3, v2, vcc
	v_mov_b32_e32 v2, 0x78
	v_cndmask_b32_e32 v7, v7, v2, vcc
	v_add_u32_e32 v2, 20, v7
	v_or_b32_e32 v26, 0x800000, v60
	v_lshlrev_b64 v[2:3], v2, -1
	v_cndmask_b32_e32 v60, v26, v60, vcc
	v_not_b32_e32 v2, v2
	v_and_b32_e32 v26, v60, v2
	v_add_u32_e32 v2, 19, v7
	v_lshrrev_b64 v[32:33], v7, v[60:61]
	v_not_b32_e32 v3, v3
	v_lshlrev_b64 v[30:31], v2, 1
	v_lshrrev_b32_e32 v2, 23, v32
	v_and_b32_e32 v27, 0, v3
	v_add3_u32 v7, v7, v34, v2
	v_bfe_u32 v2, v32, 20, 1
	v_add_u32_e32 v2, -1, v2
	v_cmp_eq_u64_e32 vcc, v[26:27], v[30:31]
	v_cndmask_b32_e32 v2, 0, v2, vcc
	v_add_u32_e32 v2, v2, v32
	v_and_b32_e32 v2, 0xfffff, v2
	v_add_co_u32_e32 v52, vcc, v2, v32
	v_add_u32_e32 v3, 6, v7
	v_addc_co_u32_e32 v53, vcc, 0, v33, vcc
	v_cmp_ne_u32_e32 vcc, 0, v3
                                        ; implicit-def: $vgpr2
	s_and_saveexec_b64 s[28:29], vcc
	s_xor_b64 s[28:29], exec, s[28:29]
; %bb.1888:                             ;   in Loop: Header=BB2_1872 Depth=3
	v_add_u32_e32 v2, 7, v7
	v_cmp_lt_u64_e32 vcc, s[58:59], v[52:53]
	v_cndmask_b32_e32 v2, v3, v2, vcc
	v_cndmask_b32_e64 v3, 0, 1, vcc
	v_lshrrev_b64 v[52:53], v3, v[52:53]
; %bb.1889:                             ;   in Loop: Header=BB2_1872 Depth=3
	s_andn2_saveexec_b64 s[28:29], s[28:29]
; %bb.1890:                             ;   in Loop: Header=BB2_1872 Depth=3
	v_bfe_u32 v2, v52, 23, 1
; %bb.1891:                             ;   in Loop: Header=BB2_1872 Depth=3
	s_or_b64 exec, exec, s[28:29]
	v_lshrrev_b64 v[26:27], 20, v[52:53]
	v_cmp_gt_i32_e32 vcc, 16, v2
	v_cndmask_b32_e32 v27, 0, v27, vcc
	v_cndmask_b32_e32 v26, 7, v26, vcc
	v_cmp_eq_u32_e32 vcc, 0, v2
	v_min_i32_e32 v2, 15, v2
	v_cmp_eq_u64_e64 s[28:29], 0, v[26:27]
	v_lshlrev_b32_e32 v2, 3, v2
	v_and_or_b32 v2, v26, 7, v2
	s_and_b64 s[28:29], vcc, s[28:29]
	v_cndmask_b32_e64 v2, v2, 0, s[28:29]
	v_or_b32_e32 v35, v2, v1
.LBB2_1892:                             ;   in Loop: Header=BB2_1872 Depth=3
	s_or_b64 exec, exec, s[68:69]
.LBB2_1893:                             ;   in Loop: Header=BB2_1872 Depth=3
	s_or_b64 exec, exec, s[66:67]
                                        ; implicit-def: $vgpr2
.LBB2_1894:                             ;   in Loop: Header=BB2_1872 Depth=3
	s_andn2_saveexec_b64 s[28:29], s[36:37]
; %bb.1895:                             ;   in Loop: Header=BB2_1872 Depth=3
	v_or_b32_sdwa v1, v2, s92 dst_sel:DWORD dst_unused:UNUSED_PAD src0_sel:BYTE_3 src1_sel:DWORD
	v_cmp_eq_u64_e32 vcc, 0, v[60:61]
	v_cndmask_b32_e32 v35, v1, v35, vcc
; %bb.1896:                             ;   in Loop: Header=BB2_1872 Depth=3
	s_or_b64 exec, exec, s[28:29]
	v_lshrrev_b16_e32 v52, 8, v20
	v_cmp_ne_u16_e32 vcc, 0, v52
	v_mov_b32_e32 v1, 0
	v_mov_b32_e32 v2, 0
	s_and_saveexec_b64 s[28:29], vcc
	s_cbranch_execz .LBB2_1902
; %bb.1897:                             ;   in Loop: Header=BB2_1872 Depth=3
	v_cmp_ne_u16_e32 vcc, s91, v52
	v_bfrev_b32_e32 v2, 1
	s_and_saveexec_b64 s[36:37], vcc
	s_cbranch_execz .LBB2_1901
; %bb.1898:                             ;   in Loop: Header=BB2_1872 Depth=3
	v_and_b32_e32 v3, 0x7f, v52
	v_cmp_ne_u32_e32 vcc, s92, v3
	v_mov_b32_e32 v2, 0x7f800001
	s_and_saveexec_b64 s[66:67], vcc
	s_cbranch_execz .LBB2_1900
; %bb.1899:                             ;   in Loop: Header=BB2_1872 Depth=3
	v_and_b32_e32 v2, 7, v52
	v_ffbh_u32_e32 v26, v2
	v_min_u32_e32 v30, 32, v26
	v_subrev_u32_e32 v26, 28, v30
	v_lshlrev_b64 v[26:27], v26, v[52:53]
	v_lshrrev_b32_e32 v7, 3, v3
	v_sub_u32_e32 v27, 29, v30
	v_and_b32_e32 v26, 7, v26
	v_cmp_gt_u32_e32 vcc, 8, v3
	v_cndmask_b32_e32 v3, v7, v27, vcc
	v_cndmask_b32_e32 v2, v2, v26, vcc
	v_lshlrev_b32_e32 v7, 16, v20
	v_lshlrev_b32_e32 v2, 20, v2
	v_and_b32_e32 v7, 0x80000000, v7
	v_lshl_add_u32 v3, v3, 23, v0
	v_or3_b32 v2, v7, v3, v2
.LBB2_1900:                             ;   in Loop: Header=BB2_1872 Depth=3
	s_or_b64 exec, exec, s[66:67]
.LBB2_1901:                             ;   in Loop: Header=BB2_1872 Depth=3
	s_or_b64 exec, exec, s[36:37]
.LBB2_1902:                             ;   in Loop: Header=BB2_1872 Depth=3
	s_or_b64 exec, exec, s[28:29]
	v_lshrrev_b16_e32 v52, 8, v16
	v_cmp_ne_u16_e32 vcc, 0, v52
	s_and_saveexec_b64 s[28:29], vcc
	s_cbranch_execz .LBB2_1908
; %bb.1903:                             ;   in Loop: Header=BB2_1872 Depth=3
	v_cmp_ne_u16_e32 vcc, s91, v52
	v_bfrev_b32_e32 v1, 1
	s_and_saveexec_b64 s[36:37], vcc
	s_cbranch_execz .LBB2_1907
; %bb.1904:                             ;   in Loop: Header=BB2_1872 Depth=3
	v_and_b32_e32 v3, 0x7f, v52
	v_cmp_ne_u32_e32 vcc, s92, v3
	v_mov_b32_e32 v1, 0x7f800001
	s_and_saveexec_b64 s[66:67], vcc
	s_cbranch_execz .LBB2_1906
; %bb.1905:                             ;   in Loop: Header=BB2_1872 Depth=3
	v_and_b32_e32 v1, 7, v52
	v_ffbh_u32_e32 v26, v1
	v_min_u32_e32 v30, 32, v26
	v_subrev_u32_e32 v26, 28, v30
	v_lshlrev_b64 v[26:27], v26, v[52:53]
	v_lshrrev_b32_e32 v7, 3, v3
	v_sub_u32_e32 v27, 29, v30
	v_and_b32_e32 v26, 7, v26
	v_cmp_gt_u32_e32 vcc, 8, v3
	v_cndmask_b32_e32 v3, v7, v27, vcc
	v_cndmask_b32_e32 v1, v1, v26, vcc
	v_lshlrev_b32_e32 v7, 16, v16
	v_lshlrev_b32_e32 v1, 20, v1
	v_and_b32_e32 v7, 0x80000000, v7
	v_lshl_add_u32 v3, v3, 23, v0
	v_or3_b32 v1, v7, v3, v1
.LBB2_1906:                             ;   in Loop: Header=BB2_1872 Depth=3
	s_or_b64 exec, exec, s[66:67]
.LBB2_1907:                             ;   in Loop: Header=BB2_1872 Depth=3
	s_or_b64 exec, exec, s[36:37]
.LBB2_1908:                             ;   in Loop: Header=BB2_1872 Depth=3
	s_or_b64 exec, exec, s[28:29]
	v_add_f32_e32 v2, v2, v1
	v_and_b32_sdwa v1, v2, s91 dst_sel:DWORD dst_unused:UNUSED_PAD src0_sel:BYTE_3 src1_sel:DWORD
	v_and_b32_e32 v26, 0x7f800000, v2
	v_mov_b32_e32 v27, v61
	v_and_b32_e32 v60, 0x7fffff, v2
	v_or_b32_e32 v40, 0x7e, v1
	v_cmp_ne_u64_e32 vcc, s[54:55], v[26:27]
	s_and_saveexec_b64 s[28:29], vcc
	s_xor_b64 s[36:37], exec, s[28:29]
	s_cbranch_execz .LBB2_1918
; %bb.1909:                             ;   in Loop: Header=BB2_1872 Depth=3
	v_and_b32_e32 v26, 0x7fffffff, v2
	v_mov_b32_e32 v27, v61
	v_cmp_gt_u64_e32 vcc, s[56:57], v[26:27]
	s_and_saveexec_b64 s[66:67], vcc
	s_cbranch_execz .LBB2_1917
; %bb.1910:                             ;   in Loop: Header=BB2_1872 Depth=3
	v_cmp_ne_u32_e32 vcc, 0, v2
	v_mov_b32_e32 v40, 0
	s_and_saveexec_b64 s[68:69], vcc
	s_cbranch_execz .LBB2_1916
; %bb.1911:                             ;   in Loop: Header=BB2_1872 Depth=3
	v_bfe_u32 v2, v2, 23, 8
	v_sub_u32_e32 v7, 0x79, v2
	v_cmp_gt_u32_e32 vcc, s93, v2
	v_add_u32_e32 v3, 0xffffff81, v2
	v_cndmask_b32_e32 v7, 0, v7, vcc
	v_cmp_eq_u32_e32 vcc, 0, v2
	v_mov_b32_e32 v2, 0xffffff82
	v_cndmask_b32_e32 v34, v3, v2, vcc
	v_mov_b32_e32 v2, 0x78
	v_cndmask_b32_e32 v7, v7, v2, vcc
	v_add_u32_e32 v2, 20, v7
	v_or_b32_e32 v26, 0x800000, v60
	v_lshlrev_b64 v[2:3], v2, -1
	v_cndmask_b32_e32 v60, v26, v60, vcc
	v_not_b32_e32 v2, v2
	v_and_b32_e32 v26, v60, v2
	v_add_u32_e32 v2, 19, v7
	v_lshrrev_b64 v[32:33], v7, v[60:61]
	v_not_b32_e32 v3, v3
	v_lshlrev_b64 v[30:31], v2, 1
	v_lshrrev_b32_e32 v2, 23, v32
	v_and_b32_e32 v27, 0, v3
	v_add3_u32 v7, v7, v34, v2
	v_bfe_u32 v2, v32, 20, 1
	v_add_u32_e32 v2, -1, v2
	v_cmp_eq_u64_e32 vcc, v[26:27], v[30:31]
	v_cndmask_b32_e32 v2, 0, v2, vcc
	v_add_u32_e32 v2, v2, v32
	v_and_b32_e32 v2, 0xfffff, v2
	v_add_co_u32_e32 v52, vcc, v2, v32
	v_add_u32_e32 v3, 6, v7
	v_addc_co_u32_e32 v53, vcc, 0, v33, vcc
	v_cmp_ne_u32_e32 vcc, 0, v3
                                        ; implicit-def: $vgpr2
	s_and_saveexec_b64 s[28:29], vcc
	s_xor_b64 s[28:29], exec, s[28:29]
; %bb.1912:                             ;   in Loop: Header=BB2_1872 Depth=3
	v_add_u32_e32 v2, 7, v7
	v_cmp_lt_u64_e32 vcc, s[58:59], v[52:53]
	v_cndmask_b32_e32 v2, v3, v2, vcc
	v_cndmask_b32_e64 v3, 0, 1, vcc
	v_lshrrev_b64 v[52:53], v3, v[52:53]
; %bb.1913:                             ;   in Loop: Header=BB2_1872 Depth=3
	s_andn2_saveexec_b64 s[28:29], s[28:29]
; %bb.1914:                             ;   in Loop: Header=BB2_1872 Depth=3
	v_bfe_u32 v2, v52, 23, 1
; %bb.1915:                             ;   in Loop: Header=BB2_1872 Depth=3
	s_or_b64 exec, exec, s[28:29]
	v_lshrrev_b64 v[26:27], 20, v[52:53]
	v_cmp_gt_i32_e32 vcc, 16, v2
	v_cndmask_b32_e32 v27, 0, v27, vcc
	v_cndmask_b32_e32 v26, 7, v26, vcc
	v_cmp_eq_u32_e32 vcc, 0, v2
	v_min_i32_e32 v2, 15, v2
	v_cmp_eq_u64_e64 s[28:29], 0, v[26:27]
	v_lshlrev_b32_e32 v2, 3, v2
	v_and_or_b32 v2, v26, 7, v2
	s_and_b64 s[28:29], vcc, s[28:29]
	v_cndmask_b32_e64 v2, v2, 0, s[28:29]
	v_or_b32_e32 v40, v2, v1
.LBB2_1916:                             ;   in Loop: Header=BB2_1872 Depth=3
	s_or_b64 exec, exec, s[68:69]
.LBB2_1917:                             ;   in Loop: Header=BB2_1872 Depth=3
	s_or_b64 exec, exec, s[66:67]
                                        ; implicit-def: $vgpr2
.LBB2_1918:                             ;   in Loop: Header=BB2_1872 Depth=3
	s_andn2_saveexec_b64 s[28:29], s[36:37]
; %bb.1919:                             ;   in Loop: Header=BB2_1872 Depth=3
	v_or_b32_sdwa v1, v2, s92 dst_sel:DWORD dst_unused:UNUSED_PAD src0_sel:BYTE_3 src1_sel:DWORD
	v_cmp_eq_u64_e32 vcc, 0, v[60:61]
	v_cndmask_b32_e32 v40, v1, v40, vcc
; %bb.1920:                             ;   in Loop: Header=BB2_1872 Depth=3
	s_or_b64 exec, exec, s[28:29]
	v_lshrrev_b32_e32 v52, 16, v20
	v_cmp_ne_u16_sdwa vcc, v52, v61 src0_sel:BYTE_0 src1_sel:DWORD
	v_mov_b32_e32 v1, 0
	v_mov_b32_e32 v2, 0
	s_and_saveexec_b64 s[28:29], vcc
	s_cbranch_execz .LBB2_1926
; %bb.1921:                             ;   in Loop: Header=BB2_1872 Depth=3
	v_cmp_ne_u16_sdwa vcc, v52, s91 src0_sel:BYTE_0 src1_sel:DWORD
	v_bfrev_b32_e32 v2, 1
	s_and_saveexec_b64 s[36:37], vcc
	s_cbranch_execz .LBB2_1925
; %bb.1922:                             ;   in Loop: Header=BB2_1872 Depth=3
	v_bfe_u32 v3, v20, 16, 7
	v_cmp_ne_u32_e32 vcc, s92, v3
	v_mov_b32_e32 v2, 0x7f800001
	s_and_saveexec_b64 s[66:67], vcc
	s_cbranch_execz .LBB2_1924
; %bb.1923:                             ;   in Loop: Header=BB2_1872 Depth=3
	v_and_b32_e32 v2, 7, v52
	v_ffbh_u32_e32 v26, v2
	v_min_u32_e32 v30, 32, v26
	v_subrev_u32_e32 v26, 28, v30
	v_lshlrev_b64 v[26:27], v26, v[52:53]
	v_lshrrev_b32_e32 v7, 3, v3
	v_sub_u32_e32 v27, 29, v30
	v_and_b32_e32 v26, 7, v26
	v_cmp_gt_u32_e32 vcc, 8, v3
	v_cndmask_b32_e32 v3, v7, v27, vcc
	v_cndmask_b32_e32 v2, v2, v26, vcc
	v_lshlrev_b32_e32 v7, 24, v52
	v_lshlrev_b32_e32 v2, 20, v2
	v_and_b32_e32 v7, 0x80000000, v7
	v_lshl_add_u32 v3, v3, 23, v0
	v_or3_b32 v2, v7, v3, v2
.LBB2_1924:                             ;   in Loop: Header=BB2_1872 Depth=3
	s_or_b64 exec, exec, s[66:67]
.LBB2_1925:                             ;   in Loop: Header=BB2_1872 Depth=3
	s_or_b64 exec, exec, s[36:37]
.LBB2_1926:                             ;   in Loop: Header=BB2_1872 Depth=3
	s_or_b64 exec, exec, s[28:29]
	v_lshrrev_b32_e32 v52, 16, v16
	v_cmp_ne_u16_sdwa vcc, v52, v61 src0_sel:BYTE_0 src1_sel:DWORD
	s_and_saveexec_b64 s[28:29], vcc
	s_cbranch_execz .LBB2_1932
; %bb.1927:                             ;   in Loop: Header=BB2_1872 Depth=3
	v_cmp_ne_u16_sdwa vcc, v52, s91 src0_sel:BYTE_0 src1_sel:DWORD
	v_bfrev_b32_e32 v1, 1
	s_and_saveexec_b64 s[36:37], vcc
	s_cbranch_execz .LBB2_1931
; %bb.1928:                             ;   in Loop: Header=BB2_1872 Depth=3
	v_bfe_u32 v3, v16, 16, 7
	v_cmp_ne_u32_e32 vcc, s92, v3
	v_mov_b32_e32 v1, 0x7f800001
	s_and_saveexec_b64 s[66:67], vcc
	s_cbranch_execz .LBB2_1930
; %bb.1929:                             ;   in Loop: Header=BB2_1872 Depth=3
	v_and_b32_e32 v1, 7, v52
	v_ffbh_u32_e32 v26, v1
	v_min_u32_e32 v30, 32, v26
	v_subrev_u32_e32 v26, 28, v30
	v_lshlrev_b64 v[26:27], v26, v[52:53]
	v_lshrrev_b32_e32 v7, 3, v3
	v_sub_u32_e32 v27, 29, v30
	v_and_b32_e32 v26, 7, v26
	v_cmp_gt_u32_e32 vcc, 8, v3
	v_cndmask_b32_e32 v3, v7, v27, vcc
	v_cndmask_b32_e32 v1, v1, v26, vcc
	v_lshlrev_b32_e32 v7, 8, v16
	v_lshlrev_b32_e32 v1, 20, v1
	v_and_b32_e32 v7, 0x80000000, v7
	v_lshl_add_u32 v3, v3, 23, v0
	v_or3_b32 v1, v7, v3, v1
.LBB2_1930:                             ;   in Loop: Header=BB2_1872 Depth=3
	s_or_b64 exec, exec, s[66:67]
.LBB2_1931:                             ;   in Loop: Header=BB2_1872 Depth=3
	s_or_b64 exec, exec, s[36:37]
.LBB2_1932:                             ;   in Loop: Header=BB2_1872 Depth=3
	s_or_b64 exec, exec, s[28:29]
	v_add_f32_e32 v2, v2, v1
	v_and_b32_sdwa v1, v2, s91 dst_sel:DWORD dst_unused:UNUSED_PAD src0_sel:BYTE_3 src1_sel:DWORD
	v_and_b32_e32 v26, 0x7f800000, v2
	v_mov_b32_e32 v27, v61
	v_and_b32_e32 v60, 0x7fffff, v2
	v_or_b32_e32 v3, 0x7e, v1
	v_cmp_ne_u64_e32 vcc, s[54:55], v[26:27]
	buffer_store_dword v3, off, s[0:3], s33 offset:180 ; 4-byte Folded Spill
	s_and_saveexec_b64 s[28:29], vcc
	s_xor_b64 s[36:37], exec, s[28:29]
	s_cbranch_execz .LBB2_1942
; %bb.1933:                             ;   in Loop: Header=BB2_1872 Depth=3
	v_and_b32_e32 v26, 0x7fffffff, v2
	v_mov_b32_e32 v27, v61
	v_cmp_gt_u64_e32 vcc, s[56:57], v[26:27]
	s_and_saveexec_b64 s[66:67], vcc
	s_cbranch_execz .LBB2_1941
; %bb.1934:                             ;   in Loop: Header=BB2_1872 Depth=3
	v_cmp_ne_u32_e32 vcc, 0, v2
	v_mov_b32_e32 v3, 0
	buffer_store_dword v3, off, s[0:3], s33 offset:180 ; 4-byte Folded Spill
	s_and_saveexec_b64 s[68:69], vcc
	s_cbranch_execz .LBB2_1940
; %bb.1935:                             ;   in Loop: Header=BB2_1872 Depth=3
	v_bfe_u32 v2, v2, 23, 8
	v_sub_u32_e32 v7, 0x79, v2
	v_cmp_gt_u32_e32 vcc, s93, v2
	v_add_u32_e32 v3, 0xffffff81, v2
	v_cndmask_b32_e32 v7, 0, v7, vcc
	v_cmp_eq_u32_e32 vcc, 0, v2
	v_mov_b32_e32 v2, 0xffffff82
	v_cndmask_b32_e32 v34, v3, v2, vcc
	v_mov_b32_e32 v2, 0x78
	v_cndmask_b32_e32 v7, v7, v2, vcc
	v_add_u32_e32 v2, 20, v7
	v_or_b32_e32 v26, 0x800000, v60
	v_lshlrev_b64 v[2:3], v2, -1
	v_cndmask_b32_e32 v60, v26, v60, vcc
	v_not_b32_e32 v2, v2
	v_and_b32_e32 v26, v60, v2
	v_add_u32_e32 v2, 19, v7
	v_lshrrev_b64 v[32:33], v7, v[60:61]
	v_not_b32_e32 v3, v3
	v_lshlrev_b64 v[30:31], v2, 1
	v_lshrrev_b32_e32 v2, 23, v32
	v_and_b32_e32 v27, 0, v3
	v_add3_u32 v7, v7, v34, v2
	v_bfe_u32 v2, v32, 20, 1
	v_add_u32_e32 v2, -1, v2
	v_cmp_eq_u64_e32 vcc, v[26:27], v[30:31]
	v_cndmask_b32_e32 v2, 0, v2, vcc
	v_add_u32_e32 v2, v2, v32
	v_and_b32_e32 v2, 0xfffff, v2
	v_add_co_u32_e32 v52, vcc, v2, v32
	v_add_u32_e32 v3, 6, v7
	v_addc_co_u32_e32 v53, vcc, 0, v33, vcc
	v_cmp_ne_u32_e32 vcc, 0, v3
                                        ; implicit-def: $vgpr2
	s_and_saveexec_b64 s[28:29], vcc
	s_xor_b64 s[28:29], exec, s[28:29]
; %bb.1936:                             ;   in Loop: Header=BB2_1872 Depth=3
	v_add_u32_e32 v2, 7, v7
	v_cmp_lt_u64_e32 vcc, s[58:59], v[52:53]
	v_cndmask_b32_e32 v2, v3, v2, vcc
	v_cndmask_b32_e64 v3, 0, 1, vcc
	v_lshrrev_b64 v[52:53], v3, v[52:53]
; %bb.1937:                             ;   in Loop: Header=BB2_1872 Depth=3
	s_andn2_saveexec_b64 s[28:29], s[28:29]
; %bb.1938:                             ;   in Loop: Header=BB2_1872 Depth=3
	v_bfe_u32 v2, v52, 23, 1
; %bb.1939:                             ;   in Loop: Header=BB2_1872 Depth=3
	s_or_b64 exec, exec, s[28:29]
	v_lshrrev_b64 v[26:27], 20, v[52:53]
	v_cmp_gt_i32_e32 vcc, 16, v2
	v_cndmask_b32_e32 v27, 0, v27, vcc
	v_cndmask_b32_e32 v26, 7, v26, vcc
	v_cmp_eq_u32_e32 vcc, 0, v2
	v_min_i32_e32 v2, 15, v2
	v_cmp_eq_u64_e64 s[28:29], 0, v[26:27]
	v_lshlrev_b32_e32 v2, 3, v2
	v_and_or_b32 v2, v26, 7, v2
	s_and_b64 s[28:29], vcc, s[28:29]
	v_cndmask_b32_e64 v2, v2, 0, s[28:29]
	v_or_b32_e32 v1, v2, v1
	buffer_store_dword v1, off, s[0:3], s33 offset:180 ; 4-byte Folded Spill
.LBB2_1940:                             ;   in Loop: Header=BB2_1872 Depth=3
	s_or_b64 exec, exec, s[68:69]
.LBB2_1941:                             ;   in Loop: Header=BB2_1872 Depth=3
	s_or_b64 exec, exec, s[66:67]
                                        ; implicit-def: $vgpr2
.LBB2_1942:                             ;   in Loop: Header=BB2_1872 Depth=3
	s_andn2_saveexec_b64 s[28:29], s[36:37]
	s_cbranch_execz .LBB2_1944
; %bb.1943:                             ;   in Loop: Header=BB2_1872 Depth=3
	v_or_b32_sdwa v1, v2, s92 dst_sel:DWORD dst_unused:UNUSED_PAD src0_sel:BYTE_3 src1_sel:DWORD
	buffer_load_dword v2, off, s[0:3], s33 offset:180 ; 4-byte Folded Reload
	v_cmp_eq_u64_e32 vcc, 0, v[60:61]
	s_waitcnt vmcnt(0)
	v_cndmask_b32_e32 v2, v1, v2, vcc
	buffer_store_dword v2, off, s[0:3], s33 offset:180 ; 4-byte Folded Spill
.LBB2_1944:                             ;   in Loop: Header=BB2_1872 Depth=3
	s_or_b64 exec, exec, s[28:29]
	v_cmp_lt_u32_e32 vcc, s45, v20
	v_mov_b32_e32 v1, 0
	v_mov_b32_e32 v2, 0
	s_and_saveexec_b64 s[28:29], vcc
	s_cbranch_execz .LBB2_1950
; %bb.1945:                             ;   in Loop: Header=BB2_1872 Depth=3
	v_lshrrev_b32_e32 v52, 24, v20
	v_cmp_ne_u32_e32 vcc, s91, v52
	v_bfrev_b32_e32 v2, 1
	s_and_saveexec_b64 s[36:37], vcc
	s_cbranch_execz .LBB2_1949
; %bb.1946:                             ;   in Loop: Header=BB2_1872 Depth=3
	v_bfe_u32 v3, v20, 24, 7
	v_cmp_ne_u32_e32 vcc, s92, v3
	v_mov_b32_e32 v2, 0x7f800001
	s_and_saveexec_b64 s[66:67], vcc
	s_cbranch_execz .LBB2_1948
; %bb.1947:                             ;   in Loop: Header=BB2_1872 Depth=3
	v_and_b32_e32 v2, 7, v52
	v_ffbh_u32_e32 v26, v2
	v_min_u32_e32 v30, 32, v26
	v_subrev_u32_e32 v26, 28, v30
	v_lshlrev_b64 v[26:27], v26, v[52:53]
	v_lshrrev_b32_e32 v7, 3, v3
	v_sub_u32_e32 v27, 29, v30
	v_and_b32_e32 v26, 7, v26
	v_cmp_gt_u32_e32 vcc, 8, v3
	v_cndmask_b32_e32 v3, v7, v27, vcc
	v_cndmask_b32_e32 v2, v2, v26, vcc
	v_lshlrev_b32_e32 v7, 24, v52
	v_lshlrev_b32_e32 v2, 20, v2
	v_and_b32_e32 v7, 0x80000000, v7
	v_lshl_add_u32 v3, v3, 23, v0
	v_or3_b32 v2, v7, v3, v2
.LBB2_1948:                             ;   in Loop: Header=BB2_1872 Depth=3
	s_or_b64 exec, exec, s[66:67]
.LBB2_1949:                             ;   in Loop: Header=BB2_1872 Depth=3
	s_or_b64 exec, exec, s[36:37]
.LBB2_1950:                             ;   in Loop: Header=BB2_1872 Depth=3
	s_or_b64 exec, exec, s[28:29]
	v_cmp_lt_u32_e32 vcc, s45, v16
	s_and_saveexec_b64 s[28:29], vcc
	s_cbranch_execz .LBB2_1956
; %bb.1951:                             ;   in Loop: Header=BB2_1872 Depth=3
	v_lshrrev_b32_e32 v52, 24, v16
	v_cmp_ne_u32_e32 vcc, s91, v52
	v_bfrev_b32_e32 v1, 1
	s_and_saveexec_b64 s[36:37], vcc
	s_cbranch_execz .LBB2_1955
; %bb.1952:                             ;   in Loop: Header=BB2_1872 Depth=3
	v_bfe_u32 v3, v16, 24, 7
	v_cmp_ne_u32_e32 vcc, s92, v3
	v_mov_b32_e32 v1, 0x7f800001
	s_and_saveexec_b64 s[66:67], vcc
	s_cbranch_execz .LBB2_1954
; %bb.1953:                             ;   in Loop: Header=BB2_1872 Depth=3
	v_and_b32_e32 v1, 7, v52
	v_ffbh_u32_e32 v26, v1
	v_min_u32_e32 v30, 32, v26
	v_subrev_u32_e32 v26, 28, v30
	v_lshlrev_b64 v[26:27], v26, v[52:53]
	v_lshrrev_b32_e32 v7, 3, v3
	v_sub_u32_e32 v27, 29, v30
	v_and_b32_e32 v26, 7, v26
	v_cmp_gt_u32_e32 vcc, 8, v3
	v_cndmask_b32_e32 v3, v7, v27, vcc
	v_cndmask_b32_e32 v1, v1, v26, vcc
	v_lshlrev_b32_e32 v7, 24, v52
	v_lshlrev_b32_e32 v1, 20, v1
	v_and_b32_e32 v7, 0x80000000, v7
	v_lshl_add_u32 v3, v3, 23, v0
	v_or3_b32 v1, v7, v3, v1
.LBB2_1954:                             ;   in Loop: Header=BB2_1872 Depth=3
	s_or_b64 exec, exec, s[66:67]
.LBB2_1955:                             ;   in Loop: Header=BB2_1872 Depth=3
	s_or_b64 exec, exec, s[36:37]
.LBB2_1956:                             ;   in Loop: Header=BB2_1872 Depth=3
	s_or_b64 exec, exec, s[28:29]
	v_add_f32_e32 v2, v2, v1
	v_and_b32_sdwa v1, v2, s91 dst_sel:DWORD dst_unused:UNUSED_PAD src0_sel:BYTE_3 src1_sel:DWORD
	v_and_b32_e32 v26, 0x7f800000, v2
	v_mov_b32_e32 v27, v61
	v_and_b32_e32 v60, 0x7fffff, v2
	v_or_b32_e32 v47, 0x7e, v1
	v_cmp_ne_u64_e32 vcc, s[54:55], v[26:27]
	s_and_saveexec_b64 s[28:29], vcc
	s_xor_b64 s[36:37], exec, s[28:29]
	s_cbranch_execz .LBB2_1966
; %bb.1957:                             ;   in Loop: Header=BB2_1872 Depth=3
	v_and_b32_e32 v26, 0x7fffffff, v2
	v_mov_b32_e32 v27, v61
	v_cmp_gt_u64_e32 vcc, s[56:57], v[26:27]
	s_and_saveexec_b64 s[66:67], vcc
	s_cbranch_execz .LBB2_1965
; %bb.1958:                             ;   in Loop: Header=BB2_1872 Depth=3
	v_cmp_ne_u32_e32 vcc, 0, v2
	v_mov_b32_e32 v47, 0
	s_and_saveexec_b64 s[68:69], vcc
	s_cbranch_execz .LBB2_1964
; %bb.1959:                             ;   in Loop: Header=BB2_1872 Depth=3
	v_bfe_u32 v2, v2, 23, 8
	v_sub_u32_e32 v7, 0x79, v2
	v_cmp_gt_u32_e32 vcc, s93, v2
	v_add_u32_e32 v3, 0xffffff81, v2
	v_cndmask_b32_e32 v7, 0, v7, vcc
	v_cmp_eq_u32_e32 vcc, 0, v2
	v_mov_b32_e32 v2, 0xffffff82
	v_cndmask_b32_e32 v34, v3, v2, vcc
	v_mov_b32_e32 v2, 0x78
	v_cndmask_b32_e32 v7, v7, v2, vcc
	v_add_u32_e32 v2, 20, v7
	v_or_b32_e32 v26, 0x800000, v60
	v_lshlrev_b64 v[2:3], v2, -1
	v_cndmask_b32_e32 v60, v26, v60, vcc
	v_not_b32_e32 v2, v2
	v_and_b32_e32 v26, v60, v2
	v_add_u32_e32 v2, 19, v7
	v_lshrrev_b64 v[32:33], v7, v[60:61]
	v_not_b32_e32 v3, v3
	v_lshlrev_b64 v[30:31], v2, 1
	v_lshrrev_b32_e32 v2, 23, v32
	v_and_b32_e32 v27, 0, v3
	v_add3_u32 v7, v7, v34, v2
	v_bfe_u32 v2, v32, 20, 1
	v_add_u32_e32 v2, -1, v2
	v_cmp_eq_u64_e32 vcc, v[26:27], v[30:31]
	v_cndmask_b32_e32 v2, 0, v2, vcc
	v_add_u32_e32 v2, v2, v32
	v_and_b32_e32 v2, 0xfffff, v2
	v_add_co_u32_e32 v52, vcc, v2, v32
	v_add_u32_e32 v3, 6, v7
	v_addc_co_u32_e32 v53, vcc, 0, v33, vcc
	v_cmp_ne_u32_e32 vcc, 0, v3
                                        ; implicit-def: $vgpr2
	s_and_saveexec_b64 s[28:29], vcc
	s_xor_b64 s[28:29], exec, s[28:29]
; %bb.1960:                             ;   in Loop: Header=BB2_1872 Depth=3
	v_add_u32_e32 v2, 7, v7
	v_cmp_lt_u64_e32 vcc, s[58:59], v[52:53]
	v_cndmask_b32_e32 v2, v3, v2, vcc
	v_cndmask_b32_e64 v3, 0, 1, vcc
	v_lshrrev_b64 v[52:53], v3, v[52:53]
; %bb.1961:                             ;   in Loop: Header=BB2_1872 Depth=3
	s_andn2_saveexec_b64 s[28:29], s[28:29]
; %bb.1962:                             ;   in Loop: Header=BB2_1872 Depth=3
	v_bfe_u32 v2, v52, 23, 1
; %bb.1963:                             ;   in Loop: Header=BB2_1872 Depth=3
	s_or_b64 exec, exec, s[28:29]
	v_lshrrev_b64 v[26:27], 20, v[52:53]
	v_cmp_gt_i32_e32 vcc, 16, v2
	v_cndmask_b32_e32 v27, 0, v27, vcc
	v_cndmask_b32_e32 v26, 7, v26, vcc
	v_cmp_eq_u32_e32 vcc, 0, v2
	v_min_i32_e32 v2, 15, v2
	v_cmp_eq_u64_e64 s[28:29], 0, v[26:27]
	v_lshlrev_b32_e32 v2, 3, v2
	v_and_or_b32 v2, v26, 7, v2
	s_and_b64 s[28:29], vcc, s[28:29]
	v_cndmask_b32_e64 v2, v2, 0, s[28:29]
	v_or_b32_e32 v47, v2, v1
.LBB2_1964:                             ;   in Loop: Header=BB2_1872 Depth=3
	s_or_b64 exec, exec, s[68:69]
.LBB2_1965:                             ;   in Loop: Header=BB2_1872 Depth=3
	s_or_b64 exec, exec, s[66:67]
                                        ; implicit-def: $vgpr2
.LBB2_1966:                             ;   in Loop: Header=BB2_1872 Depth=3
	s_andn2_saveexec_b64 s[28:29], s[36:37]
; %bb.1967:                             ;   in Loop: Header=BB2_1872 Depth=3
	v_or_b32_sdwa v1, v2, s92 dst_sel:DWORD dst_unused:UNUSED_PAD src0_sel:BYTE_3 src1_sel:DWORD
	v_cmp_eq_u64_e32 vcc, 0, v[60:61]
	v_cndmask_b32_e32 v47, v1, v47, vcc
; %bb.1968:                             ;   in Loop: Header=BB2_1872 Depth=3
	s_or_b64 exec, exec, s[28:29]
	v_mov_b32_e32 v60, v21
	v_cmp_ne_u16_sdwa vcc, v21, v61 src0_sel:BYTE_0 src1_sel:DWORD
	v_mov_b32_e32 v2, 0
	v_mov_b32_e32 v1, 0
	s_and_saveexec_b64 s[28:29], vcc
	s_cbranch_execz .LBB2_1974
; %bb.1969:                             ;   in Loop: Header=BB2_1872 Depth=3
	v_cmp_ne_u16_sdwa vcc, v21, s91 src0_sel:BYTE_0 src1_sel:DWORD
	v_bfrev_b32_e32 v1, 1
	s_and_saveexec_b64 s[36:37], vcc
	s_cbranch_execz .LBB2_1973
; %bb.1970:                             ;   in Loop: Header=BB2_1872 Depth=3
	v_and_b32_e32 v3, 0x7f, v21
	v_cmp_ne_u32_e32 vcc, s92, v3
	v_mov_b32_e32 v1, 0x7f800001
	s_and_saveexec_b64 s[66:67], vcc
	s_cbranch_execz .LBB2_1972
; %bb.1971:                             ;   in Loop: Header=BB2_1872 Depth=3
	v_and_b32_e32 v1, 7, v21
	v_ffbh_u32_e32 v1, v1
	v_min_u32_e32 v1, 32, v1
	v_subrev_u32_e32 v26, 28, v1
	v_cmp_gt_u32_e32 vcc, 8, v3
	v_lshrrev_b32_e32 v7, 3, v3
	v_cndmask_b32_e32 v3, 0, v26, vcc
	v_sub_u32_e32 v1, 29, v1
	v_lshlrev_b64 v[26:27], v3, v[60:61]
	v_cndmask_b32_e32 v1, v7, v1, vcc
	v_lshlrev_b32_e32 v3, 20, v26
	v_lshlrev_b32_e32 v7, 24, v60
	v_and_b32_e32 v3, 0x700000, v3
	v_and_b32_e32 v7, 0x80000000, v7
	v_lshl_add_u32 v1, v1, 23, v0
	v_or3_b32 v1, v7, v1, v3
.LBB2_1972:                             ;   in Loop: Header=BB2_1872 Depth=3
	s_or_b64 exec, exec, s[66:67]
.LBB2_1973:                             ;   in Loop: Header=BB2_1872 Depth=3
	s_or_b64 exec, exec, s[36:37]
.LBB2_1974:                             ;   in Loop: Header=BB2_1872 Depth=3
	s_or_b64 exec, exec, s[28:29]
	v_cmp_ne_u16_sdwa vcc, v17, v61 src0_sel:BYTE_0 src1_sel:DWORD
	s_and_saveexec_b64 s[28:29], vcc
	s_cbranch_execz .LBB2_1980
; %bb.1975:                             ;   in Loop: Header=BB2_1872 Depth=3
	v_cmp_ne_u16_sdwa vcc, v17, s91 src0_sel:BYTE_0 src1_sel:DWORD
	v_bfrev_b32_e32 v2, 1
	s_and_saveexec_b64 s[36:37], vcc
	s_cbranch_execz .LBB2_1979
; %bb.1976:                             ;   in Loop: Header=BB2_1872 Depth=3
	v_and_b32_e32 v3, 0x7f, v17
	v_cmp_ne_u32_e32 vcc, s92, v3
	v_mov_b32_e32 v2, 0x7f800001
	s_and_saveexec_b64 s[66:67], vcc
	s_cbranch_execz .LBB2_1978
; %bb.1977:                             ;   in Loop: Header=BB2_1872 Depth=3
	v_and_b32_e32 v2, 7, v17
	v_ffbh_u32_e32 v2, v2
	v_min_u32_e32 v2, 32, v2
	v_lshrrev_b32_e32 v7, 3, v3
	v_subrev_u32_e32 v30, 28, v2
	v_sub_u32_e32 v2, 29, v2
	v_cmp_gt_u32_e32 vcc, 8, v3
	v_mov_b32_e32 v26, v17
	v_mov_b32_e32 v27, v61
	v_cndmask_b32_e32 v7, v7, v2, vcc
	v_cndmask_b32_e32 v2, 0, v30, vcc
	v_lshlrev_b64 v[2:3], v2, v[26:27]
	v_lshlrev_b32_e32 v2, 20, v2
	v_lshlrev_b32_e32 v3, 24, v26
	v_and_b32_e32 v2, 0x700000, v2
	v_and_b32_e32 v3, 0x80000000, v3
	v_lshl_add_u32 v7, v7, 23, v0
	v_or3_b32 v2, v3, v7, v2
.LBB2_1978:                             ;   in Loop: Header=BB2_1872 Depth=3
	s_or_b64 exec, exec, s[66:67]
.LBB2_1979:                             ;   in Loop: Header=BB2_1872 Depth=3
	s_or_b64 exec, exec, s[36:37]
.LBB2_1980:                             ;   in Loop: Header=BB2_1872 Depth=3
	s_or_b64 exec, exec, s[28:29]
	v_add_f32_e32 v2, v1, v2
	v_and_b32_sdwa v1, v2, s91 dst_sel:DWORD dst_unused:UNUSED_PAD src0_sel:BYTE_3 src1_sel:DWORD
	v_and_b32_e32 v30, 0x7f800000, v2
	v_mov_b32_e32 v31, v61
	v_and_b32_e32 v52, 0x7fffff, v2
	v_mov_b32_e32 v53, v61
	v_or_b32_e32 v26, 0x7e, v1
	v_cmp_ne_u64_e32 vcc, s[54:55], v[30:31]
	s_and_saveexec_b64 s[28:29], vcc
	s_xor_b64 s[36:37], exec, s[28:29]
	s_cbranch_execz .LBB2_1990
; %bb.1981:                             ;   in Loop: Header=BB2_1872 Depth=3
	v_and_b32_e32 v30, 0x7fffffff, v2
	v_mov_b32_e32 v31, v61
	v_cmp_gt_u64_e32 vcc, s[56:57], v[30:31]
	s_and_saveexec_b64 s[66:67], vcc
	s_cbranch_execz .LBB2_1989
; %bb.1982:                             ;   in Loop: Header=BB2_1872 Depth=3
	v_cmp_ne_u32_e32 vcc, 0, v2
	v_mov_b32_e32 v26, 0
	s_and_saveexec_b64 s[68:69], vcc
	s_cbranch_execz .LBB2_1988
; %bb.1983:                             ;   in Loop: Header=BB2_1872 Depth=3
	v_bfe_u32 v2, v2, 23, 8
	v_sub_u32_e32 v7, 0x79, v2
	v_cmp_gt_u32_e32 vcc, s93, v2
	v_add_u32_e32 v3, 0xffffff81, v2
	v_cndmask_b32_e32 v7, 0, v7, vcc
	v_cmp_eq_u32_e32 vcc, 0, v2
	v_mov_b32_e32 v2, 0xffffff82
	v_cndmask_b32_e32 v34, v3, v2, vcc
	v_mov_b32_e32 v2, 0x78
	v_cndmask_b32_e32 v7, v7, v2, vcc
	v_add_u32_e32 v2, 20, v7
	v_or_b32_e32 v26, 0x800000, v52
	v_lshlrev_b64 v[2:3], v2, -1
	v_cndmask_b32_e32 v52, v26, v52, vcc
	v_not_b32_e32 v2, v2
	v_and_b32_e32 v26, v52, v2
	v_add_u32_e32 v2, 19, v7
	v_lshrrev_b64 v[32:33], v7, v[52:53]
	v_not_b32_e32 v3, v3
	v_lshlrev_b64 v[30:31], v2, 1
	v_lshrrev_b32_e32 v2, 23, v32
	v_and_b32_e32 v27, 0, v3
	v_add3_u32 v7, v7, v34, v2
	v_bfe_u32 v2, v32, 20, 1
	v_add_u32_e32 v2, -1, v2
	v_cmp_eq_u64_e32 vcc, v[26:27], v[30:31]
	v_cndmask_b32_e32 v2, 0, v2, vcc
	v_add_u32_e32 v2, v2, v32
	v_and_b32_e32 v2, 0xfffff, v2
	v_add_co_u32_e32 v52, vcc, v2, v32
	v_add_u32_e32 v3, 6, v7
	v_addc_co_u32_e32 v53, vcc, 0, v33, vcc
	v_cmp_ne_u32_e32 vcc, 0, v3
                                        ; implicit-def: $vgpr2
	s_and_saveexec_b64 s[28:29], vcc
	s_xor_b64 s[28:29], exec, s[28:29]
; %bb.1984:                             ;   in Loop: Header=BB2_1872 Depth=3
	v_add_u32_e32 v2, 7, v7
	v_cmp_lt_u64_e32 vcc, s[58:59], v[52:53]
	v_cndmask_b32_e32 v2, v3, v2, vcc
	v_cndmask_b32_e64 v3, 0, 1, vcc
	v_lshrrev_b64 v[52:53], v3, v[52:53]
; %bb.1985:                             ;   in Loop: Header=BB2_1872 Depth=3
	s_andn2_saveexec_b64 s[28:29], s[28:29]
; %bb.1986:                             ;   in Loop: Header=BB2_1872 Depth=3
	v_bfe_u32 v2, v52, 23, 1
; %bb.1987:                             ;   in Loop: Header=BB2_1872 Depth=3
	s_or_b64 exec, exec, s[28:29]
	v_lshrrev_b64 v[26:27], 20, v[52:53]
	v_cmp_gt_i32_e32 vcc, 16, v2
	v_cndmask_b32_e32 v27, 0, v27, vcc
	v_cndmask_b32_e32 v26, 7, v26, vcc
	v_cmp_eq_u32_e32 vcc, 0, v2
	v_min_i32_e32 v2, 15, v2
	v_cmp_eq_u64_e64 s[28:29], 0, v[26:27]
	v_lshlrev_b32_e32 v2, 3, v2
	v_and_or_b32 v2, v26, 7, v2
	s_and_b64 s[28:29], vcc, s[28:29]
	v_cndmask_b32_e64 v2, v2, 0, s[28:29]
	v_or_b32_e32 v26, v2, v1
.LBB2_1988:                             ;   in Loop: Header=BB2_1872 Depth=3
	s_or_b64 exec, exec, s[68:69]
.LBB2_1989:                             ;   in Loop: Header=BB2_1872 Depth=3
	s_or_b64 exec, exec, s[66:67]
                                        ; implicit-def: $vgpr2
                                        ; implicit-def: $vgpr52_vgpr53
.LBB2_1990:                             ;   in Loop: Header=BB2_1872 Depth=3
	s_andn2_saveexec_b64 s[28:29], s[36:37]
; %bb.1991:                             ;   in Loop: Header=BB2_1872 Depth=3
	v_or_b32_sdwa v1, v2, s92 dst_sel:DWORD dst_unused:UNUSED_PAD src0_sel:BYTE_3 src1_sel:DWORD
	v_cmp_eq_u64_e32 vcc, 0, v[52:53]
	v_cndmask_b32_e32 v26, v1, v26, vcc
; %bb.1992:                             ;   in Loop: Header=BB2_1872 Depth=3
	s_or_b64 exec, exec, s[28:29]
	v_lshrrev_b16_e32 v52, 8, v60
	v_cmp_ne_u16_e32 vcc, 0, v52
	v_mov_b32_e32 v1, 0
	v_mov_b32_e32 v2, 0
	s_and_saveexec_b64 s[28:29], vcc
	s_cbranch_execz .LBB2_1998
; %bb.1993:                             ;   in Loop: Header=BB2_1872 Depth=3
	v_cmp_ne_u16_e32 vcc, s91, v52
	v_bfrev_b32_e32 v2, 1
	s_and_saveexec_b64 s[36:37], vcc
	s_cbranch_execz .LBB2_1997
; %bb.1994:                             ;   in Loop: Header=BB2_1872 Depth=3
	v_and_b32_e32 v3, 0x7f, v52
	v_cmp_ne_u32_e32 vcc, s92, v3
	v_mov_b32_e32 v2, 0x7f800001
	s_and_saveexec_b64 s[66:67], vcc
	s_cbranch_execz .LBB2_1996
; %bb.1995:                             ;   in Loop: Header=BB2_1872 Depth=3
	v_and_b32_e32 v2, 7, v52
	v_ffbh_u32_e32 v27, v2
	v_min_u32_e32 v27, 32, v27
	v_subrev_u32_e32 v30, 28, v27
	v_lshlrev_b64 v[30:31], v30, v[52:53]
	v_lshrrev_b32_e32 v7, 3, v3
	v_sub_u32_e32 v27, 29, v27
	v_and_b32_e32 v30, 7, v30
	v_cmp_gt_u32_e32 vcc, 8, v3
	v_cndmask_b32_e32 v3, v7, v27, vcc
	v_cndmask_b32_e32 v2, v2, v30, vcc
	v_lshlrev_b32_e32 v7, 16, v60
	v_lshlrev_b32_e32 v2, 20, v2
	v_and_b32_e32 v7, 0x80000000, v7
	v_lshl_add_u32 v3, v3, 23, v0
	v_or3_b32 v2, v7, v3, v2
.LBB2_1996:                             ;   in Loop: Header=BB2_1872 Depth=3
	s_or_b64 exec, exec, s[66:67]
.LBB2_1997:                             ;   in Loop: Header=BB2_1872 Depth=3
	s_or_b64 exec, exec, s[36:37]
.LBB2_1998:                             ;   in Loop: Header=BB2_1872 Depth=3
	s_or_b64 exec, exec, s[28:29]
	v_mov_b32_e32 v52, v17
	v_lshrrev_b16_e32 v60, 8, v52
	v_cmp_ne_u16_e32 vcc, 0, v60
	s_and_saveexec_b64 s[28:29], vcc
	s_cbranch_execz .LBB2_2004
; %bb.1999:                             ;   in Loop: Header=BB2_1872 Depth=3
	v_cmp_ne_u16_e32 vcc, s91, v60
	v_bfrev_b32_e32 v1, 1
	s_and_saveexec_b64 s[36:37], vcc
	s_cbranch_execz .LBB2_2003
; %bb.2000:                             ;   in Loop: Header=BB2_1872 Depth=3
	v_and_b32_e32 v3, 0x7f, v60
	v_cmp_ne_u32_e32 vcc, s92, v3
	v_mov_b32_e32 v1, 0x7f800001
	s_and_saveexec_b64 s[66:67], vcc
	s_cbranch_execz .LBB2_2002
; %bb.2001:                             ;   in Loop: Header=BB2_1872 Depth=3
	v_and_b32_e32 v1, 7, v60
	v_ffbh_u32_e32 v27, v1
	v_min_u32_e32 v27, 32, v27
	v_subrev_u32_e32 v30, 28, v27
	v_lshlrev_b64 v[30:31], v30, v[60:61]
	v_lshrrev_b32_e32 v7, 3, v3
	v_sub_u32_e32 v27, 29, v27
	v_and_b32_e32 v30, 7, v30
	v_cmp_gt_u32_e32 vcc, 8, v3
	v_cndmask_b32_e32 v3, v7, v27, vcc
	v_cndmask_b32_e32 v1, v1, v30, vcc
	v_lshlrev_b32_e32 v7, 16, v52
	v_lshlrev_b32_e32 v1, 20, v1
	v_and_b32_e32 v7, 0x80000000, v7
	v_lshl_add_u32 v3, v3, 23, v0
	v_or3_b32 v1, v7, v3, v1
.LBB2_2002:                             ;   in Loop: Header=BB2_1872 Depth=3
	s_or_b64 exec, exec, s[66:67]
.LBB2_2003:                             ;   in Loop: Header=BB2_1872 Depth=3
	s_or_b64 exec, exec, s[36:37]
.LBB2_2004:                             ;   in Loop: Header=BB2_1872 Depth=3
	s_or_b64 exec, exec, s[28:29]
	v_add_f32_e32 v2, v2, v1
	v_and_b32_sdwa v1, v2, s91 dst_sel:DWORD dst_unused:UNUSED_PAD src0_sel:BYTE_3 src1_sel:DWORD
	v_and_b32_e32 v30, 0x7f800000, v2
	v_mov_b32_e32 v31, v61
	v_and_b32_e32 v60, 0x7fffff, v2
	v_or_b32_e32 v36, 0x7e, v1
	v_cmp_ne_u64_e32 vcc, s[54:55], v[30:31]
	s_and_saveexec_b64 s[28:29], vcc
	s_xor_b64 s[36:37], exec, s[28:29]
	s_cbranch_execz .LBB2_2014
; %bb.2005:                             ;   in Loop: Header=BB2_1872 Depth=3
	v_and_b32_e32 v30, 0x7fffffff, v2
	v_mov_b32_e32 v31, v61
	v_cmp_gt_u64_e32 vcc, s[56:57], v[30:31]
	s_and_saveexec_b64 s[66:67], vcc
	s_cbranch_execz .LBB2_2013
; %bb.2006:                             ;   in Loop: Header=BB2_1872 Depth=3
	v_cmp_ne_u32_e32 vcc, 0, v2
	v_mov_b32_e32 v36, 0
	s_and_saveexec_b64 s[68:69], vcc
	s_cbranch_execz .LBB2_2012
; %bb.2007:                             ;   in Loop: Header=BB2_1872 Depth=3
	v_bfe_u32 v2, v2, 23, 8
	v_sub_u32_e32 v7, 0x79, v2
	v_cmp_gt_u32_e32 vcc, s93, v2
	v_add_u32_e32 v3, 0xffffff81, v2
	v_cndmask_b32_e32 v7, 0, v7, vcc
	v_cmp_eq_u32_e32 vcc, 0, v2
	v_mov_b32_e32 v2, 0xffffff82
	v_cndmask_b32_e32 v36, v3, v2, vcc
	v_mov_b32_e32 v2, 0x78
	v_cndmask_b32_e32 v7, v7, v2, vcc
	v_add_u32_e32 v2, 20, v7
	v_or_b32_e32 v27, 0x800000, v60
	v_lshlrev_b64 v[2:3], v2, -1
	v_cndmask_b32_e32 v60, v27, v60, vcc
	v_not_b32_e32 v2, v2
	v_mov_b32_e32 v37, v35
	v_and_b32_e32 v30, v60, v2
	v_add_u32_e32 v2, 19, v7
	v_lshrrev_b64 v[34:35], v7, v[60:61]
	v_not_b32_e32 v3, v3
	v_lshlrev_b64 v[32:33], v2, 1
	v_lshrrev_b32_e32 v2, 23, v34
	v_and_b32_e32 v31, 0, v3
	v_add3_u32 v7, v7, v36, v2
	v_bfe_u32 v2, v34, 20, 1
	v_add_u32_e32 v2, -1, v2
	v_cmp_eq_u64_e32 vcc, v[30:31], v[32:33]
	v_cndmask_b32_e32 v2, 0, v2, vcc
	v_add_u32_e32 v2, v2, v34
	v_and_b32_e32 v2, 0xfffff, v2
	v_add_co_u32_e32 v52, vcc, v2, v34
	v_add_u32_e32 v3, 6, v7
	v_addc_co_u32_e32 v53, vcc, 0, v35, vcc
	v_cmp_ne_u32_e32 vcc, 0, v3
                                        ; implicit-def: $vgpr2
	s_and_saveexec_b64 s[28:29], vcc
	s_xor_b64 s[28:29], exec, s[28:29]
; %bb.2008:                             ;   in Loop: Header=BB2_1872 Depth=3
	v_add_u32_e32 v2, 7, v7
	v_cmp_lt_u64_e32 vcc, s[58:59], v[52:53]
	v_cndmask_b32_e32 v2, v3, v2, vcc
	v_cndmask_b32_e64 v3, 0, 1, vcc
	v_lshrrev_b64 v[52:53], v3, v[52:53]
; %bb.2009:                             ;   in Loop: Header=BB2_1872 Depth=3
	s_andn2_saveexec_b64 s[28:29], s[28:29]
; %bb.2010:                             ;   in Loop: Header=BB2_1872 Depth=3
	v_bfe_u32 v2, v52, 23, 1
; %bb.2011:                             ;   in Loop: Header=BB2_1872 Depth=3
	s_or_b64 exec, exec, s[28:29]
	v_lshrrev_b64 v[30:31], 20, v[52:53]
	v_cmp_gt_i32_e32 vcc, 16, v2
	v_cndmask_b32_e32 v31, 0, v31, vcc
	v_cndmask_b32_e32 v30, 7, v30, vcc
	v_cmp_eq_u32_e32 vcc, 0, v2
	v_min_i32_e32 v2, 15, v2
	v_cmp_eq_u64_e64 s[28:29], 0, v[30:31]
	v_lshlrev_b32_e32 v2, 3, v2
	v_and_or_b32 v2, v30, 7, v2
	s_and_b64 s[28:29], vcc, s[28:29]
	v_cndmask_b32_e64 v2, v2, 0, s[28:29]
	v_or_b32_e32 v36, v2, v1
	v_mov_b32_e32 v35, v37
.LBB2_2012:                             ;   in Loop: Header=BB2_1872 Depth=3
	s_or_b64 exec, exec, s[68:69]
.LBB2_2013:                             ;   in Loop: Header=BB2_1872 Depth=3
	s_or_b64 exec, exec, s[66:67]
                                        ; implicit-def: $vgpr2
.LBB2_2014:                             ;   in Loop: Header=BB2_1872 Depth=3
	s_andn2_saveexec_b64 s[28:29], s[36:37]
; %bb.2015:                             ;   in Loop: Header=BB2_1872 Depth=3
	v_or_b32_sdwa v1, v2, s92 dst_sel:DWORD dst_unused:UNUSED_PAD src0_sel:BYTE_3 src1_sel:DWORD
	v_cmp_eq_u64_e32 vcc, 0, v[60:61]
	v_cndmask_b32_e32 v36, v1, v36, vcc
; %bb.2016:                             ;   in Loop: Header=BB2_1872 Depth=3
	s_or_b64 exec, exec, s[28:29]
	v_lshrrev_b32_e32 v52, 16, v21
	v_cmp_ne_u16_sdwa vcc, v52, v61 src0_sel:BYTE_0 src1_sel:DWORD
	v_mov_b32_e32 v1, 0
	v_mov_b32_e32 v2, 0
	s_and_saveexec_b64 s[28:29], vcc
	s_cbranch_execz .LBB2_2022
; %bb.2017:                             ;   in Loop: Header=BB2_1872 Depth=3
	v_cmp_ne_u16_sdwa vcc, v52, s91 src0_sel:BYTE_0 src1_sel:DWORD
	v_bfrev_b32_e32 v2, 1
	s_and_saveexec_b64 s[36:37], vcc
	s_cbranch_execz .LBB2_2021
; %bb.2018:                             ;   in Loop: Header=BB2_1872 Depth=3
	v_bfe_u32 v3, v21, 16, 7
	v_cmp_ne_u32_e32 vcc, s92, v3
	v_mov_b32_e32 v2, 0x7f800001
	s_and_saveexec_b64 s[66:67], vcc
	s_cbranch_execz .LBB2_2020
; %bb.2019:                             ;   in Loop: Header=BB2_1872 Depth=3
	v_and_b32_e32 v2, 7, v52
	v_ffbh_u32_e32 v27, v2
	v_min_u32_e32 v27, 32, v27
	v_subrev_u32_e32 v30, 28, v27
	v_lshlrev_b64 v[30:31], v30, v[52:53]
	v_lshrrev_b32_e32 v7, 3, v3
	v_sub_u32_e32 v27, 29, v27
	v_and_b32_e32 v30, 7, v30
	v_cmp_gt_u32_e32 vcc, 8, v3
	v_cndmask_b32_e32 v3, v7, v27, vcc
	v_cndmask_b32_e32 v2, v2, v30, vcc
	v_lshlrev_b32_e32 v7, 24, v52
	v_lshlrev_b32_e32 v2, 20, v2
	v_and_b32_e32 v7, 0x80000000, v7
	v_lshl_add_u32 v3, v3, 23, v0
	v_or3_b32 v2, v7, v3, v2
.LBB2_2020:                             ;   in Loop: Header=BB2_1872 Depth=3
	s_or_b64 exec, exec, s[66:67]
.LBB2_2021:                             ;   in Loop: Header=BB2_1872 Depth=3
	s_or_b64 exec, exec, s[36:37]
.LBB2_2022:                             ;   in Loop: Header=BB2_1872 Depth=3
	s_or_b64 exec, exec, s[28:29]
	v_lshrrev_b32_e32 v52, 16, v17
	v_cmp_ne_u16_sdwa vcc, v52, v61 src0_sel:BYTE_0 src1_sel:DWORD
	s_and_saveexec_b64 s[28:29], vcc
	s_cbranch_execz .LBB2_2028
; %bb.2023:                             ;   in Loop: Header=BB2_1872 Depth=3
	v_cmp_ne_u16_sdwa vcc, v52, s91 src0_sel:BYTE_0 src1_sel:DWORD
	v_bfrev_b32_e32 v1, 1
	s_and_saveexec_b64 s[36:37], vcc
	s_cbranch_execz .LBB2_2027
; %bb.2024:                             ;   in Loop: Header=BB2_1872 Depth=3
	v_bfe_u32 v3, v17, 16, 7
	v_cmp_ne_u32_e32 vcc, s92, v3
	v_mov_b32_e32 v1, 0x7f800001
	s_and_saveexec_b64 s[66:67], vcc
	s_cbranch_execz .LBB2_2026
; %bb.2025:                             ;   in Loop: Header=BB2_1872 Depth=3
	v_and_b32_e32 v1, 7, v52
	v_ffbh_u32_e32 v27, v1
	v_min_u32_e32 v27, 32, v27
	v_subrev_u32_e32 v30, 28, v27
	v_lshlrev_b64 v[30:31], v30, v[52:53]
	v_lshrrev_b32_e32 v7, 3, v3
	v_sub_u32_e32 v27, 29, v27
	v_and_b32_e32 v30, 7, v30
	v_cmp_gt_u32_e32 vcc, 8, v3
	v_cndmask_b32_e32 v3, v7, v27, vcc
	v_cndmask_b32_e32 v1, v1, v30, vcc
	v_lshlrev_b32_e32 v7, 8, v17
	v_lshlrev_b32_e32 v1, 20, v1
	v_and_b32_e32 v7, 0x80000000, v7
	v_lshl_add_u32 v3, v3, 23, v0
	v_or3_b32 v1, v7, v3, v1
.LBB2_2026:                             ;   in Loop: Header=BB2_1872 Depth=3
	s_or_b64 exec, exec, s[66:67]
.LBB2_2027:                             ;   in Loop: Header=BB2_1872 Depth=3
	s_or_b64 exec, exec, s[36:37]
.LBB2_2028:                             ;   in Loop: Header=BB2_1872 Depth=3
	s_or_b64 exec, exec, s[28:29]
	v_add_f32_e32 v2, v2, v1
	v_and_b32_sdwa v1, v2, s91 dst_sel:DWORD dst_unused:UNUSED_PAD src0_sel:BYTE_3 src1_sel:DWORD
	v_and_b32_e32 v30, 0x7f800000, v2
	v_mov_b32_e32 v31, v61
	v_and_b32_e32 v60, 0x7fffff, v2
	v_or_b32_e32 v37, 0x7e, v1
	v_cmp_ne_u64_e32 vcc, s[54:55], v[30:31]
	s_and_saveexec_b64 s[28:29], vcc
	s_xor_b64 s[36:37], exec, s[28:29]
	s_cbranch_execz .LBB2_2038
; %bb.2029:                             ;   in Loop: Header=BB2_1872 Depth=3
	v_and_b32_e32 v30, 0x7fffffff, v2
	v_mov_b32_e32 v31, v61
	v_cmp_gt_u64_e32 vcc, s[56:57], v[30:31]
	s_and_saveexec_b64 s[66:67], vcc
	s_cbranch_execz .LBB2_2037
; %bb.2030:                             ;   in Loop: Header=BB2_1872 Depth=3
	v_cmp_ne_u32_e32 vcc, 0, v2
	v_mov_b32_e32 v37, 0
	s_and_saveexec_b64 s[68:69], vcc
	s_cbranch_execz .LBB2_2036
; %bb.2031:                             ;   in Loop: Header=BB2_1872 Depth=3
	v_bfe_u32 v2, v2, 23, 8
	v_sub_u32_e32 v7, 0x79, v2
	v_cmp_gt_u32_e32 vcc, s93, v2
	v_add_u32_e32 v3, 0xffffff81, v2
	v_cndmask_b32_e32 v7, 0, v7, vcc
	v_cmp_eq_u32_e32 vcc, 0, v2
	v_mov_b32_e32 v2, 0xffffff82
	v_cndmask_b32_e32 v37, v3, v2, vcc
	v_mov_b32_e32 v2, 0x78
	v_cndmask_b32_e32 v7, v7, v2, vcc
	v_add_u32_e32 v2, 20, v7
	v_or_b32_e32 v27, 0x800000, v60
	v_lshlrev_b64 v[2:3], v2, -1
	v_cndmask_b32_e32 v60, v27, v60, vcc
	v_not_b32_e32 v2, v2
	v_mov_b32_e32 v38, v35
	v_and_b32_e32 v30, v60, v2
	v_add_u32_e32 v2, 19, v7
	v_lshrrev_b64 v[34:35], v7, v[60:61]
	v_not_b32_e32 v3, v3
	v_lshlrev_b64 v[32:33], v2, 1
	v_lshrrev_b32_e32 v2, 23, v34
	v_and_b32_e32 v31, 0, v3
	v_add3_u32 v7, v7, v37, v2
	v_bfe_u32 v2, v34, 20, 1
	v_add_u32_e32 v2, -1, v2
	v_cmp_eq_u64_e32 vcc, v[30:31], v[32:33]
	v_cndmask_b32_e32 v2, 0, v2, vcc
	v_add_u32_e32 v2, v2, v34
	v_and_b32_e32 v2, 0xfffff, v2
	v_add_co_u32_e32 v52, vcc, v2, v34
	v_add_u32_e32 v3, 6, v7
	v_addc_co_u32_e32 v53, vcc, 0, v35, vcc
	v_cmp_ne_u32_e32 vcc, 0, v3
                                        ; implicit-def: $vgpr2
	s_and_saveexec_b64 s[28:29], vcc
	s_xor_b64 s[28:29], exec, s[28:29]
; %bb.2032:                             ;   in Loop: Header=BB2_1872 Depth=3
	v_add_u32_e32 v2, 7, v7
	v_cmp_lt_u64_e32 vcc, s[58:59], v[52:53]
	v_cndmask_b32_e32 v2, v3, v2, vcc
	v_cndmask_b32_e64 v3, 0, 1, vcc
	v_lshrrev_b64 v[52:53], v3, v[52:53]
; %bb.2033:                             ;   in Loop: Header=BB2_1872 Depth=3
	s_andn2_saveexec_b64 s[28:29], s[28:29]
; %bb.2034:                             ;   in Loop: Header=BB2_1872 Depth=3
	v_bfe_u32 v2, v52, 23, 1
; %bb.2035:                             ;   in Loop: Header=BB2_1872 Depth=3
	s_or_b64 exec, exec, s[28:29]
	v_lshrrev_b64 v[30:31], 20, v[52:53]
	v_cmp_gt_i32_e32 vcc, 16, v2
	v_cndmask_b32_e32 v31, 0, v31, vcc
	v_cndmask_b32_e32 v30, 7, v30, vcc
	v_cmp_eq_u32_e32 vcc, 0, v2
	v_min_i32_e32 v2, 15, v2
	v_lshlrev_b32_e32 v2, 3, v2
	v_cmp_eq_u64_e64 s[28:29], 0, v[30:31]
	v_and_b32_e32 v2, 0xf8, v2
	v_and_or_b32 v2, v30, 7, v2
	s_and_b64 s[28:29], vcc, s[28:29]
	v_cndmask_b32_e64 v2, v2, 0, s[28:29]
	v_or_b32_e32 v37, v2, v1
	v_mov_b32_e32 v35, v38
.LBB2_2036:                             ;   in Loop: Header=BB2_1872 Depth=3
	s_or_b64 exec, exec, s[68:69]
.LBB2_2037:                             ;   in Loop: Header=BB2_1872 Depth=3
	s_or_b64 exec, exec, s[66:67]
                                        ; implicit-def: $vgpr2
.LBB2_2038:                             ;   in Loop: Header=BB2_1872 Depth=3
	s_andn2_saveexec_b64 s[28:29], s[36:37]
; %bb.2039:                             ;   in Loop: Header=BB2_1872 Depth=3
	v_or_b32_sdwa v1, v2, s92 dst_sel:DWORD dst_unused:UNUSED_PAD src0_sel:BYTE_3 src1_sel:DWORD
	v_cmp_eq_u64_e32 vcc, 0, v[60:61]
	v_cndmask_b32_e32 v37, v1, v37, vcc
; %bb.2040:                             ;   in Loop: Header=BB2_1872 Depth=3
	s_or_b64 exec, exec, s[28:29]
	v_cmp_lt_u64_e32 vcc, s[44:45], v[20:21]
	v_mov_b32_e32 v1, 0
	v_mov_b32_e32 v2, 0
	s_and_saveexec_b64 s[28:29], vcc
	s_cbranch_execz .LBB2_2046
; %bb.2041:                             ;   in Loop: Header=BB2_1872 Depth=3
	v_lshrrev_b32_e32 v20, 24, v21
	v_cmp_ne_u32_e32 vcc, s91, v20
	v_bfrev_b32_e32 v2, 1
	s_and_saveexec_b64 s[36:37], vcc
	s_cbranch_execz .LBB2_2045
; %bb.2042:                             ;   in Loop: Header=BB2_1872 Depth=3
	v_bfe_u32 v3, v21, 24, 7
	v_cmp_ne_u32_e32 vcc, s92, v3
	v_mov_b32_e32 v2, 0x7f800001
	s_and_saveexec_b64 s[66:67], vcc
	s_cbranch_execz .LBB2_2044
; %bb.2043:                             ;   in Loop: Header=BB2_1872 Depth=3
	v_and_b32_e32 v2, 7, v20
	v_ffbh_u32_e32 v21, v2
	v_min_u32_e32 v21, 32, v21
	v_subrev_u32_e32 v27, 28, v21
	v_lshlrev_b64 v[30:31], v27, v[20:21]
	v_lshrrev_b32_e32 v7, 3, v3
	v_sub_u32_e32 v21, 29, v21
	v_and_b32_e32 v27, 7, v30
	v_cmp_gt_u32_e32 vcc, 8, v3
	v_cndmask_b32_e32 v3, v7, v21, vcc
	v_cndmask_b32_e32 v2, v2, v27, vcc
	v_lshlrev_b32_e32 v7, 24, v20
	v_lshlrev_b32_e32 v2, 20, v2
	v_and_b32_e32 v7, 0x80000000, v7
	v_lshl_add_u32 v3, v3, 23, v0
	v_or3_b32 v2, v7, v3, v2
.LBB2_2044:                             ;   in Loop: Header=BB2_1872 Depth=3
	s_or_b64 exec, exec, s[66:67]
.LBB2_2045:                             ;   in Loop: Header=BB2_1872 Depth=3
	s_or_b64 exec, exec, s[36:37]
.LBB2_2046:                             ;   in Loop: Header=BB2_1872 Depth=3
	s_or_b64 exec, exec, s[28:29]
	v_cmp_lt_u64_e32 vcc, s[44:45], v[16:17]
	s_and_saveexec_b64 s[28:29], vcc
	s_cbranch_execz .LBB2_2052
; %bb.2047:                             ;   in Loop: Header=BB2_1872 Depth=3
	v_lshrrev_b32_e32 v16, 24, v17
	v_cmp_ne_u32_e32 vcc, s91, v16
	v_bfrev_b32_e32 v1, 1
	s_and_saveexec_b64 s[36:37], vcc
	s_cbranch_execz .LBB2_2051
; %bb.2048:                             ;   in Loop: Header=BB2_1872 Depth=3
	v_bfe_u32 v3, v17, 24, 7
	v_cmp_ne_u32_e32 vcc, s92, v3
	v_mov_b32_e32 v1, 0x7f800001
	s_and_saveexec_b64 s[66:67], vcc
	s_cbranch_execz .LBB2_2050
; %bb.2049:                             ;   in Loop: Header=BB2_1872 Depth=3
	v_and_b32_e32 v1, 7, v16
	v_ffbh_u32_e32 v17, v1
	v_min_u32_e32 v17, 32, v17
	v_subrev_u32_e32 v20, 28, v17
	v_lshlrev_b64 v[20:21], v20, v[16:17]
	v_lshrrev_b32_e32 v7, 3, v3
	v_sub_u32_e32 v17, 29, v17
	v_and_b32_e32 v20, 7, v20
	v_cmp_gt_u32_e32 vcc, 8, v3
	v_cndmask_b32_e32 v3, v7, v17, vcc
	v_cndmask_b32_e32 v1, v1, v20, vcc
	v_lshlrev_b32_e32 v7, 24, v16
	v_lshlrev_b32_e32 v1, 20, v1
	v_and_b32_e32 v7, 0x80000000, v7
	v_lshl_add_u32 v3, v3, 23, v0
	v_or3_b32 v1, v7, v3, v1
.LBB2_2050:                             ;   in Loop: Header=BB2_1872 Depth=3
	s_or_b64 exec, exec, s[66:67]
.LBB2_2051:                             ;   in Loop: Header=BB2_1872 Depth=3
	s_or_b64 exec, exec, s[36:37]
.LBB2_2052:                             ;   in Loop: Header=BB2_1872 Depth=3
	s_or_b64 exec, exec, s[28:29]
	v_add_f32_e32 v2, v2, v1
	v_and_b32_sdwa v1, v2, s91 dst_sel:DWORD dst_unused:UNUSED_PAD src0_sel:BYTE_3 src1_sel:DWORD
	v_and_b32_e32 v16, 0x7f800000, v2
	v_mov_b32_e32 v17, v61
	v_and_b32_e32 v60, 0x7fffff, v2
	v_or_b32_e32 v21, 0x7e, v1
	v_cmp_ne_u64_e32 vcc, s[54:55], v[16:17]
	s_and_saveexec_b64 s[28:29], vcc
	s_xor_b64 s[36:37], exec, s[28:29]
	s_cbranch_execz .LBB2_2062
; %bb.2053:                             ;   in Loop: Header=BB2_1872 Depth=3
	v_and_b32_e32 v16, 0x7fffffff, v2
	v_mov_b32_e32 v17, v61
	v_cmp_gt_u64_e32 vcc, s[56:57], v[16:17]
	s_and_saveexec_b64 s[66:67], vcc
	s_cbranch_execz .LBB2_2061
; %bb.2054:                             ;   in Loop: Header=BB2_1872 Depth=3
	v_cmp_ne_u32_e32 vcc, 0, v2
	v_mov_b32_e32 v21, 0
	s_and_saveexec_b64 s[68:69], vcc
	s_cbranch_execz .LBB2_2060
; %bb.2055:                             ;   in Loop: Header=BB2_1872 Depth=3
	v_bfe_u32 v2, v2, 23, 8
	v_sub_u32_e32 v7, 0x79, v2
	v_cmp_gt_u32_e32 vcc, s93, v2
	v_add_u32_e32 v3, 0xffffff81, v2
	v_cndmask_b32_e32 v7, 0, v7, vcc
	v_cmp_eq_u32_e32 vcc, 0, v2
	v_mov_b32_e32 v2, 0xffffff82
	v_cndmask_b32_e32 v27, v3, v2, vcc
	v_mov_b32_e32 v2, 0x78
	v_cndmask_b32_e32 v7, v7, v2, vcc
	v_add_u32_e32 v2, 20, v7
	v_or_b32_e32 v16, 0x800000, v60
	v_lshlrev_b64 v[2:3], v2, -1
	v_cndmask_b32_e32 v60, v16, v60, vcc
	v_not_b32_e32 v2, v2
	v_and_b32_e32 v16, v60, v2
	v_add_u32_e32 v2, 19, v7
	v_lshrrev_b64 v[30:31], v7, v[60:61]
	v_not_b32_e32 v3, v3
	v_lshlrev_b64 v[20:21], v2, 1
	v_lshrrev_b32_e32 v2, 23, v30
	v_and_b32_e32 v17, 0, v3
	v_add3_u32 v7, v7, v27, v2
	v_bfe_u32 v2, v30, 20, 1
	v_add_u32_e32 v2, -1, v2
	v_cmp_eq_u64_e32 vcc, v[16:17], v[20:21]
	v_cndmask_b32_e32 v2, 0, v2, vcc
	v_add_u32_e32 v2, v2, v30
	v_and_b32_e32 v2, 0xfffff, v2
	v_add_co_u32_e32 v16, vcc, v2, v30
	v_add_u32_e32 v3, 6, v7
	v_addc_co_u32_e32 v17, vcc, 0, v31, vcc
	v_cmp_ne_u32_e32 vcc, 0, v3
                                        ; implicit-def: $vgpr2
	s_and_saveexec_b64 s[28:29], vcc
	s_xor_b64 s[28:29], exec, s[28:29]
; %bb.2056:                             ;   in Loop: Header=BB2_1872 Depth=3
	v_add_u32_e32 v2, 7, v7
	v_cmp_lt_u64_e32 vcc, s[58:59], v[16:17]
	v_cndmask_b32_e32 v2, v3, v2, vcc
	v_cndmask_b32_e64 v3, 0, 1, vcc
	v_lshrrev_b64 v[16:17], v3, v[16:17]
; %bb.2057:                             ;   in Loop: Header=BB2_1872 Depth=3
	s_andn2_saveexec_b64 s[28:29], s[28:29]
; %bb.2058:                             ;   in Loop: Header=BB2_1872 Depth=3
	v_bfe_u32 v2, v16, 23, 1
; %bb.2059:                             ;   in Loop: Header=BB2_1872 Depth=3
	s_or_b64 exec, exec, s[28:29]
	v_lshrrev_b64 v[16:17], 20, v[16:17]
	v_cmp_gt_i32_e32 vcc, 16, v2
	v_cndmask_b32_e32 v17, 0, v17, vcc
	v_cndmask_b32_e32 v16, 7, v16, vcc
	v_cmp_eq_u32_e32 vcc, 0, v2
	v_min_i32_e32 v2, 15, v2
	v_lshlrev_b32_e32 v2, 3, v2
	v_cmp_eq_u64_e64 s[28:29], 0, v[16:17]
	v_and_b32_e32 v2, 0xf8, v2
	v_and_or_b32 v2, v16, 7, v2
	s_and_b64 s[28:29], vcc, s[28:29]
	v_cndmask_b32_e64 v2, v2, 0, s[28:29]
	v_or_b32_e32 v21, v2, v1
.LBB2_2060:                             ;   in Loop: Header=BB2_1872 Depth=3
	s_or_b64 exec, exec, s[68:69]
.LBB2_2061:                             ;   in Loop: Header=BB2_1872 Depth=3
	s_or_b64 exec, exec, s[66:67]
                                        ; implicit-def: $vgpr2
.LBB2_2062:                             ;   in Loop: Header=BB2_1872 Depth=3
	s_andn2_saveexec_b64 s[28:29], s[36:37]
; %bb.2063:                             ;   in Loop: Header=BB2_1872 Depth=3
	v_or_b32_sdwa v1, v2, s92 dst_sel:DWORD dst_unused:UNUSED_PAD src0_sel:BYTE_3 src1_sel:DWORD
	v_cmp_eq_u64_e32 vcc, 0, v[60:61]
	v_cndmask_b32_e32 v21, v1, v21, vcc
; %bb.2064:                             ;   in Loop: Header=BB2_1872 Depth=3
	s_or_b64 exec, exec, s[28:29]
	v_cmp_ne_u16_sdwa vcc, v22, v61 src0_sel:BYTE_0 src1_sel:DWORD
	v_mov_b32_e32 v1, 0
	v_mov_b32_e32 v2, 0
	s_and_saveexec_b64 s[28:29], vcc
	s_cbranch_execz .LBB2_2070
; %bb.2065:                             ;   in Loop: Header=BB2_1872 Depth=3
	v_cmp_ne_u16_sdwa vcc, v22, s91 src0_sel:BYTE_0 src1_sel:DWORD
	v_bfrev_b32_e32 v2, 1
	s_and_saveexec_b64 s[36:37], vcc
	s_cbranch_execz .LBB2_2069
; %bb.2066:                             ;   in Loop: Header=BB2_1872 Depth=3
	v_and_b32_e32 v3, 0x7f, v22
	v_cmp_ne_u32_e32 vcc, s92, v3
	v_mov_b32_e32 v2, 0x7f800001
	s_and_saveexec_b64 s[66:67], vcc
	s_cbranch_execz .LBB2_2068
; %bb.2067:                             ;   in Loop: Header=BB2_1872 Depth=3
	v_and_b32_e32 v2, 7, v22
	v_ffbh_u32_e32 v2, v2
	v_min_u32_e32 v2, 32, v2
	v_lshrrev_b32_e32 v7, 3, v3
	v_subrev_u32_e32 v16, 28, v2
	v_sub_u32_e32 v2, 29, v2
	v_cmp_gt_u32_e32 vcc, 8, v3
	v_cndmask_b32_e32 v7, v7, v2, vcc
	v_cndmask_b32_e32 v2, 0, v16, vcc
	v_lshlrev_b64 v[2:3], v2, v[22:23]
	v_lshlrev_b32_e32 v2, 20, v2
	v_lshlrev_b32_e32 v3, 24, v22
	v_and_b32_e32 v2, 0x700000, v2
	v_and_b32_e32 v3, 0x80000000, v3
	v_lshl_add_u32 v7, v7, 23, v0
	v_or3_b32 v2, v3, v7, v2
.LBB2_2068:                             ;   in Loop: Header=BB2_1872 Depth=3
	s_or_b64 exec, exec, s[66:67]
.LBB2_2069:                             ;   in Loop: Header=BB2_1872 Depth=3
	s_or_b64 exec, exec, s[36:37]
.LBB2_2070:                             ;   in Loop: Header=BB2_1872 Depth=3
	s_or_b64 exec, exec, s[28:29]
	v_cmp_ne_u16_sdwa vcc, v18, v61 src0_sel:BYTE_0 src1_sel:DWORD
	s_and_saveexec_b64 s[28:29], vcc
	s_cbranch_execz .LBB2_2076
; %bb.2071:                             ;   in Loop: Header=BB2_1872 Depth=3
	v_cmp_ne_u16_sdwa vcc, v18, s91 src0_sel:BYTE_0 src1_sel:DWORD
	v_bfrev_b32_e32 v1, 1
	s_and_saveexec_b64 s[36:37], vcc
	s_cbranch_execz .LBB2_2075
; %bb.2072:                             ;   in Loop: Header=BB2_1872 Depth=3
	v_and_b32_e32 v3, 0x7f, v18
	v_cmp_ne_u32_e32 vcc, s92, v3
	v_mov_b32_e32 v1, 0x7f800001
	s_and_saveexec_b64 s[66:67], vcc
	s_cbranch_execz .LBB2_2074
; %bb.2073:                             ;   in Loop: Header=BB2_1872 Depth=3
	v_and_b32_e32 v1, 7, v18
	v_ffbh_u32_e32 v1, v1
	v_min_u32_e32 v1, 32, v1
	v_subrev_u32_e32 v16, 28, v1
	v_cmp_gt_u32_e32 vcc, 8, v3
	v_lshrrev_b32_e32 v7, 3, v3
	v_cndmask_b32_e32 v3, 0, v16, vcc
	v_sub_u32_e32 v1, 29, v1
	v_lshlrev_b64 v[16:17], v3, v[18:19]
	v_cndmask_b32_e32 v1, v7, v1, vcc
	v_lshlrev_b32_e32 v3, 20, v16
	v_lshlrev_b32_e32 v7, 24, v18
	v_and_b32_e32 v3, 0x700000, v3
	v_and_b32_e32 v7, 0x80000000, v7
	v_lshl_add_u32 v1, v1, 23, v0
	v_or3_b32 v1, v7, v1, v3
.LBB2_2074:                             ;   in Loop: Header=BB2_1872 Depth=3
	s_or_b64 exec, exec, s[66:67]
.LBB2_2075:                             ;   in Loop: Header=BB2_1872 Depth=3
	s_or_b64 exec, exec, s[36:37]
.LBB2_2076:                             ;   in Loop: Header=BB2_1872 Depth=3
	s_or_b64 exec, exec, s[28:29]
	v_add_f32_e32 v2, v2, v1
	v_and_b32_sdwa v1, v2, s91 dst_sel:DWORD dst_unused:UNUSED_PAD src0_sel:BYTE_3 src1_sel:DWORD
	v_and_b32_e32 v16, 0x7f800000, v2
	v_mov_b32_e32 v17, v61
	v_and_b32_e32 v60, 0x7fffff, v2
	v_or_b32_e32 v52, 0x7e, v1
	v_cmp_ne_u64_e32 vcc, s[54:55], v[16:17]
	s_and_saveexec_b64 s[28:29], vcc
	s_xor_b64 s[36:37], exec, s[28:29]
	s_cbranch_execz .LBB2_2086
; %bb.2077:                             ;   in Loop: Header=BB2_1872 Depth=3
	v_and_b32_e32 v16, 0x7fffffff, v2
	v_mov_b32_e32 v17, v61
	v_cmp_gt_u64_e32 vcc, s[56:57], v[16:17]
	s_and_saveexec_b64 s[66:67], vcc
	s_cbranch_execz .LBB2_2085
; %bb.2078:                             ;   in Loop: Header=BB2_1872 Depth=3
	v_cmp_ne_u32_e32 vcc, 0, v2
	v_mov_b32_e32 v52, 0
	s_and_saveexec_b64 s[68:69], vcc
	s_cbranch_execz .LBB2_2084
; %bb.2079:                             ;   in Loop: Header=BB2_1872 Depth=3
	v_bfe_u32 v2, v2, 23, 8
	v_sub_u32_e32 v7, 0x79, v2
	v_cmp_gt_u32_e32 vcc, s93, v2
	v_add_u32_e32 v3, 0xffffff81, v2
	v_cndmask_b32_e32 v7, 0, v7, vcc
	v_cmp_eq_u32_e32 vcc, 0, v2
	v_mov_b32_e32 v2, 0xffffff82
	v_cndmask_b32_e32 v20, v3, v2, vcc
	v_mov_b32_e32 v2, 0x78
	v_cndmask_b32_e32 v7, v7, v2, vcc
	v_add_u32_e32 v2, 20, v7
	v_or_b32_e32 v16, 0x800000, v60
	v_lshlrev_b64 v[2:3], v2, -1
	v_cndmask_b32_e32 v60, v16, v60, vcc
	v_not_b32_e32 v2, v2
	v_and_b32_e32 v16, v60, v2
	v_add_u32_e32 v2, 19, v7
	v_lshrrev_b64 v[32:33], v7, v[60:61]
	v_not_b32_e32 v3, v3
	v_lshlrev_b64 v[30:31], v2, 1
	v_lshrrev_b32_e32 v2, 23, v32
	v_and_b32_e32 v17, 0, v3
	v_add3_u32 v7, v7, v20, v2
	v_bfe_u32 v2, v32, 20, 1
	v_add_u32_e32 v2, -1, v2
	v_cmp_eq_u64_e32 vcc, v[16:17], v[30:31]
	v_cndmask_b32_e32 v2, 0, v2, vcc
	v_add_u32_e32 v2, v2, v32
	v_and_b32_e32 v2, 0xfffff, v2
	v_add_co_u32_e32 v16, vcc, v2, v32
	v_add_u32_e32 v3, 6, v7
	v_addc_co_u32_e32 v17, vcc, 0, v33, vcc
	v_cmp_ne_u32_e32 vcc, 0, v3
                                        ; implicit-def: $vgpr2
	s_and_saveexec_b64 s[28:29], vcc
	s_xor_b64 s[28:29], exec, s[28:29]
; %bb.2080:                             ;   in Loop: Header=BB2_1872 Depth=3
	v_add_u32_e32 v2, 7, v7
	v_cmp_lt_u64_e32 vcc, s[58:59], v[16:17]
	v_cndmask_b32_e32 v2, v3, v2, vcc
	v_cndmask_b32_e64 v3, 0, 1, vcc
	v_lshrrev_b64 v[16:17], v3, v[16:17]
; %bb.2081:                             ;   in Loop: Header=BB2_1872 Depth=3
	s_andn2_saveexec_b64 s[28:29], s[28:29]
; %bb.2082:                             ;   in Loop: Header=BB2_1872 Depth=3
	v_bfe_u32 v2, v16, 23, 1
; %bb.2083:                             ;   in Loop: Header=BB2_1872 Depth=3
	s_or_b64 exec, exec, s[28:29]
	v_lshrrev_b64 v[16:17], 20, v[16:17]
	v_cmp_gt_i32_e32 vcc, 16, v2
	v_cndmask_b32_e32 v17, 0, v17, vcc
	v_cndmask_b32_e32 v16, 7, v16, vcc
	v_cmp_eq_u32_e32 vcc, 0, v2
	v_min_i32_e32 v2, 15, v2
	v_cmp_eq_u64_e64 s[28:29], 0, v[16:17]
	v_lshlrev_b32_e32 v2, 3, v2
	v_and_or_b32 v2, v16, 7, v2
	s_and_b64 s[28:29], vcc, s[28:29]
	v_cndmask_b32_e64 v2, v2, 0, s[28:29]
	v_or_b32_e32 v52, v2, v1
.LBB2_2084:                             ;   in Loop: Header=BB2_1872 Depth=3
	s_or_b64 exec, exec, s[68:69]
.LBB2_2085:                             ;   in Loop: Header=BB2_1872 Depth=3
	s_or_b64 exec, exec, s[66:67]
                                        ; implicit-def: $vgpr2
.LBB2_2086:                             ;   in Loop: Header=BB2_1872 Depth=3
	s_andn2_saveexec_b64 s[28:29], s[36:37]
; %bb.2087:                             ;   in Loop: Header=BB2_1872 Depth=3
	v_or_b32_sdwa v1, v2, s92 dst_sel:DWORD dst_unused:UNUSED_PAD src0_sel:BYTE_3 src1_sel:DWORD
	v_cmp_eq_u64_e32 vcc, 0, v[60:61]
	v_cndmask_b32_e32 v52, v1, v52, vcc
; %bb.2088:                             ;   in Loop: Header=BB2_1872 Depth=3
	s_or_b64 exec, exec, s[28:29]
	v_lshrrev_b16_e32 v16, 8, v22
	v_cmp_ne_u16_e32 vcc, 0, v16
	v_mov_b32_e32 v1, 0
	v_mov_b32_e32 v2, 0
	s_and_saveexec_b64 s[28:29], vcc
	s_cbranch_execz .LBB2_2094
; %bb.2089:                             ;   in Loop: Header=BB2_1872 Depth=3
	v_cmp_ne_u16_e32 vcc, s91, v16
	v_bfrev_b32_e32 v2, 1
	s_and_saveexec_b64 s[36:37], vcc
	s_cbranch_execz .LBB2_2093
; %bb.2090:                             ;   in Loop: Header=BB2_1872 Depth=3
	v_and_b32_e32 v3, 0x7f, v16
	v_cmp_ne_u32_e32 vcc, s92, v3
	v_mov_b32_e32 v2, 0x7f800001
	s_and_saveexec_b64 s[66:67], vcc
	s_cbranch_execz .LBB2_2092
; %bb.2091:                             ;   in Loop: Header=BB2_1872 Depth=3
	v_and_b32_e32 v2, 7, v16
	v_ffbh_u32_e32 v17, v2
	v_min_u32_e32 v20, 32, v17
	v_subrev_u32_e32 v17, 28, v20
	v_lshlrev_b64 v[16:17], v17, v[16:17]
	v_lshrrev_b32_e32 v7, 3, v3
	v_sub_u32_e32 v17, 29, v20
	v_and_b32_e32 v16, 7, v16
	v_cmp_gt_u32_e32 vcc, 8, v3
	v_cndmask_b32_e32 v3, v7, v17, vcc
	v_cndmask_b32_e32 v2, v2, v16, vcc
	v_lshlrev_b32_e32 v7, 16, v22
	v_lshlrev_b32_e32 v2, 20, v2
	v_and_b32_e32 v7, 0x80000000, v7
	v_lshl_add_u32 v3, v3, 23, v0
	v_or3_b32 v2, v7, v3, v2
.LBB2_2092:                             ;   in Loop: Header=BB2_1872 Depth=3
	s_or_b64 exec, exec, s[66:67]
.LBB2_2093:                             ;   in Loop: Header=BB2_1872 Depth=3
	s_or_b64 exec, exec, s[36:37]
.LBB2_2094:                             ;   in Loop: Header=BB2_1872 Depth=3
	s_or_b64 exec, exec, s[28:29]
	v_lshrrev_b16_e32 v16, 8, v18
	v_cmp_ne_u16_e32 vcc, 0, v16
	s_and_saveexec_b64 s[28:29], vcc
	s_cbranch_execz .LBB2_2100
; %bb.2095:                             ;   in Loop: Header=BB2_1872 Depth=3
	v_cmp_ne_u16_e32 vcc, s91, v16
	v_bfrev_b32_e32 v1, 1
	s_and_saveexec_b64 s[36:37], vcc
	s_cbranch_execz .LBB2_2099
; %bb.2096:                             ;   in Loop: Header=BB2_1872 Depth=3
	v_and_b32_e32 v3, 0x7f, v16
	v_cmp_ne_u32_e32 vcc, s92, v3
	v_mov_b32_e32 v1, 0x7f800001
	s_and_saveexec_b64 s[66:67], vcc
	s_cbranch_execz .LBB2_2098
; %bb.2097:                             ;   in Loop: Header=BB2_1872 Depth=3
	v_and_b32_e32 v1, 7, v16
	v_ffbh_u32_e32 v17, v1
	v_min_u32_e32 v20, 32, v17
	v_subrev_u32_e32 v17, 28, v20
	v_lshlrev_b64 v[16:17], v17, v[16:17]
	v_lshrrev_b32_e32 v7, 3, v3
	v_sub_u32_e32 v17, 29, v20
	v_and_b32_e32 v16, 7, v16
	v_cmp_gt_u32_e32 vcc, 8, v3
	v_cndmask_b32_e32 v3, v7, v17, vcc
	v_cndmask_b32_e32 v1, v1, v16, vcc
	v_lshlrev_b32_e32 v7, 16, v18
	v_lshlrev_b32_e32 v1, 20, v1
	v_and_b32_e32 v7, 0x80000000, v7
	v_lshl_add_u32 v3, v3, 23, v0
	v_or3_b32 v1, v7, v3, v1
.LBB2_2098:                             ;   in Loop: Header=BB2_1872 Depth=3
	s_or_b64 exec, exec, s[66:67]
.LBB2_2099:                             ;   in Loop: Header=BB2_1872 Depth=3
	s_or_b64 exec, exec, s[36:37]
.LBB2_2100:                             ;   in Loop: Header=BB2_1872 Depth=3
	s_or_b64 exec, exec, s[28:29]
	v_add_f32_e32 v2, v2, v1
	v_and_b32_sdwa v1, v2, s91 dst_sel:DWORD dst_unused:UNUSED_PAD src0_sel:BYTE_3 src1_sel:DWORD
	v_and_b32_e32 v16, 0x7f800000, v2
	v_mov_b32_e32 v17, v61
	v_and_b32_e32 v60, 0x7fffff, v2
	v_or_b32_e32 v53, 0x7e, v1
	v_cmp_ne_u64_e32 vcc, s[54:55], v[16:17]
	s_and_saveexec_b64 s[28:29], vcc
	s_xor_b64 s[36:37], exec, s[28:29]
	s_cbranch_execz .LBB2_2110
; %bb.2101:                             ;   in Loop: Header=BB2_1872 Depth=3
	v_and_b32_e32 v16, 0x7fffffff, v2
	v_mov_b32_e32 v17, v61
	v_cmp_gt_u64_e32 vcc, s[56:57], v[16:17]
	s_and_saveexec_b64 s[66:67], vcc
	s_cbranch_execz .LBB2_2109
; %bb.2102:                             ;   in Loop: Header=BB2_1872 Depth=3
	v_cmp_ne_u32_e32 vcc, 0, v2
	v_mov_b32_e32 v53, 0
	s_and_saveexec_b64 s[68:69], vcc
	s_cbranch_execz .LBB2_2108
; %bb.2103:                             ;   in Loop: Header=BB2_1872 Depth=3
	v_bfe_u32 v2, v2, 23, 8
	v_sub_u32_e32 v7, 0x79, v2
	v_cmp_gt_u32_e32 vcc, s93, v2
	v_add_u32_e32 v3, 0xffffff81, v2
	v_cndmask_b32_e32 v7, 0, v7, vcc
	v_cmp_eq_u32_e32 vcc, 0, v2
	v_mov_b32_e32 v2, 0xffffff82
	v_cndmask_b32_e32 v20, v3, v2, vcc
	v_mov_b32_e32 v2, 0x78
	v_cndmask_b32_e32 v7, v7, v2, vcc
	v_add_u32_e32 v2, 20, v7
	v_or_b32_e32 v16, 0x800000, v60
	v_lshlrev_b64 v[2:3], v2, -1
	v_cndmask_b32_e32 v60, v16, v60, vcc
	v_not_b32_e32 v2, v2
	v_and_b32_e32 v16, v60, v2
	v_add_u32_e32 v2, 19, v7
	v_lshrrev_b64 v[32:33], v7, v[60:61]
	v_not_b32_e32 v3, v3
	v_lshlrev_b64 v[30:31], v2, 1
	v_lshrrev_b32_e32 v2, 23, v32
	v_and_b32_e32 v17, 0, v3
	v_add3_u32 v7, v7, v20, v2
	v_bfe_u32 v2, v32, 20, 1
	v_add_u32_e32 v2, -1, v2
	v_cmp_eq_u64_e32 vcc, v[16:17], v[30:31]
	v_cndmask_b32_e32 v2, 0, v2, vcc
	v_add_u32_e32 v2, v2, v32
	v_and_b32_e32 v2, 0xfffff, v2
	v_add_co_u32_e32 v16, vcc, v2, v32
	v_add_u32_e32 v3, 6, v7
	v_addc_co_u32_e32 v17, vcc, 0, v33, vcc
	v_cmp_ne_u32_e32 vcc, 0, v3
                                        ; implicit-def: $vgpr2
	s_and_saveexec_b64 s[28:29], vcc
	s_xor_b64 s[28:29], exec, s[28:29]
; %bb.2104:                             ;   in Loop: Header=BB2_1872 Depth=3
	v_add_u32_e32 v2, 7, v7
	v_cmp_lt_u64_e32 vcc, s[58:59], v[16:17]
	v_cndmask_b32_e32 v2, v3, v2, vcc
	v_cndmask_b32_e64 v3, 0, 1, vcc
	v_lshrrev_b64 v[16:17], v3, v[16:17]
; %bb.2105:                             ;   in Loop: Header=BB2_1872 Depth=3
	s_andn2_saveexec_b64 s[28:29], s[28:29]
; %bb.2106:                             ;   in Loop: Header=BB2_1872 Depth=3
	v_bfe_u32 v2, v16, 23, 1
; %bb.2107:                             ;   in Loop: Header=BB2_1872 Depth=3
	s_or_b64 exec, exec, s[28:29]
	v_lshrrev_b64 v[16:17], 20, v[16:17]
	v_cmp_gt_i32_e32 vcc, 16, v2
	v_cndmask_b32_e32 v17, 0, v17, vcc
	v_cndmask_b32_e32 v16, 7, v16, vcc
	v_cmp_eq_u32_e32 vcc, 0, v2
	v_min_i32_e32 v2, 15, v2
	v_cmp_eq_u64_e64 s[28:29], 0, v[16:17]
	v_lshlrev_b32_e32 v2, 3, v2
	v_and_or_b32 v2, v16, 7, v2
	s_and_b64 s[28:29], vcc, s[28:29]
	v_cndmask_b32_e64 v2, v2, 0, s[28:29]
	v_or_b32_e32 v53, v2, v1
.LBB2_2108:                             ;   in Loop: Header=BB2_1872 Depth=3
	s_or_b64 exec, exec, s[68:69]
.LBB2_2109:                             ;   in Loop: Header=BB2_1872 Depth=3
	s_or_b64 exec, exec, s[66:67]
                                        ; implicit-def: $vgpr2
.LBB2_2110:                             ;   in Loop: Header=BB2_1872 Depth=3
	s_andn2_saveexec_b64 s[28:29], s[36:37]
; %bb.2111:                             ;   in Loop: Header=BB2_1872 Depth=3
	v_or_b32_sdwa v1, v2, s92 dst_sel:DWORD dst_unused:UNUSED_PAD src0_sel:BYTE_3 src1_sel:DWORD
	v_cmp_eq_u64_e32 vcc, 0, v[60:61]
	v_cndmask_b32_e32 v53, v1, v53, vcc
; %bb.2112:                             ;   in Loop: Header=BB2_1872 Depth=3
	s_or_b64 exec, exec, s[28:29]
	v_lshrrev_b32_e32 v16, 16, v22
	v_cmp_ne_u16_sdwa vcc, v16, v61 src0_sel:BYTE_0 src1_sel:DWORD
	v_mov_b32_e32 v1, 0
	v_mov_b32_e32 v2, 0
	s_and_saveexec_b64 s[28:29], vcc
	s_cbranch_execz .LBB2_2118
; %bb.2113:                             ;   in Loop: Header=BB2_1872 Depth=3
	v_cmp_ne_u16_sdwa vcc, v16, s91 src0_sel:BYTE_0 src1_sel:DWORD
	v_bfrev_b32_e32 v2, 1
	s_and_saveexec_b64 s[36:37], vcc
	s_cbranch_execz .LBB2_2117
; %bb.2114:                             ;   in Loop: Header=BB2_1872 Depth=3
	v_bfe_u32 v3, v22, 16, 7
	v_cmp_ne_u32_e32 vcc, s92, v3
	v_mov_b32_e32 v2, 0x7f800001
	s_and_saveexec_b64 s[66:67], vcc
	s_cbranch_execz .LBB2_2116
; %bb.2115:                             ;   in Loop: Header=BB2_1872 Depth=3
	v_and_b32_e32 v2, 7, v16
	v_ffbh_u32_e32 v17, v2
	v_min_u32_e32 v17, 32, v17
	v_subrev_u32_e32 v20, 28, v17
	v_lshlrev_b64 v[30:31], v20, v[16:17]
	v_lshrrev_b32_e32 v7, 3, v3
	v_sub_u32_e32 v17, 29, v17
	v_and_b32_e32 v20, 7, v30
	v_cmp_gt_u32_e32 vcc, 8, v3
	v_cndmask_b32_e32 v3, v7, v17, vcc
	v_cndmask_b32_e32 v2, v2, v20, vcc
	v_lshlrev_b32_e32 v7, 24, v16
	v_lshlrev_b32_e32 v2, 20, v2
	v_and_b32_e32 v7, 0x80000000, v7
	v_lshl_add_u32 v3, v3, 23, v0
	v_or3_b32 v2, v7, v3, v2
.LBB2_2116:                             ;   in Loop: Header=BB2_1872 Depth=3
	s_or_b64 exec, exec, s[66:67]
.LBB2_2117:                             ;   in Loop: Header=BB2_1872 Depth=3
	s_or_b64 exec, exec, s[36:37]
.LBB2_2118:                             ;   in Loop: Header=BB2_1872 Depth=3
	s_or_b64 exec, exec, s[28:29]
	v_lshrrev_b32_e32 v16, 16, v18
	v_cmp_ne_u16_sdwa vcc, v16, v61 src0_sel:BYTE_0 src1_sel:DWORD
	s_and_saveexec_b64 s[28:29], vcc
	s_cbranch_execz .LBB2_2124
; %bb.2119:                             ;   in Loop: Header=BB2_1872 Depth=3
	v_cmp_ne_u16_sdwa vcc, v16, s91 src0_sel:BYTE_0 src1_sel:DWORD
	v_bfrev_b32_e32 v1, 1
	s_and_saveexec_b64 s[36:37], vcc
	s_cbranch_execz .LBB2_2123
; %bb.2120:                             ;   in Loop: Header=BB2_1872 Depth=3
	v_bfe_u32 v3, v18, 16, 7
	v_cmp_ne_u32_e32 vcc, s92, v3
	v_mov_b32_e32 v1, 0x7f800001
	s_and_saveexec_b64 s[66:67], vcc
	s_cbranch_execz .LBB2_2122
; %bb.2121:                             ;   in Loop: Header=BB2_1872 Depth=3
	v_and_b32_e32 v1, 7, v16
	v_ffbh_u32_e32 v17, v1
	v_min_u32_e32 v20, 32, v17
	v_subrev_u32_e32 v17, 28, v20
	v_lshlrev_b64 v[16:17], v17, v[16:17]
	v_lshrrev_b32_e32 v7, 3, v3
	v_sub_u32_e32 v17, 29, v20
	v_and_b32_e32 v16, 7, v16
	v_cmp_gt_u32_e32 vcc, 8, v3
	v_cndmask_b32_e32 v3, v7, v17, vcc
	v_cndmask_b32_e32 v1, v1, v16, vcc
	v_lshlrev_b32_e32 v7, 8, v18
	v_lshlrev_b32_e32 v1, 20, v1
	v_and_b32_e32 v7, 0x80000000, v7
	v_lshl_add_u32 v3, v3, 23, v0
	v_or3_b32 v1, v7, v3, v1
.LBB2_2122:                             ;   in Loop: Header=BB2_1872 Depth=3
	s_or_b64 exec, exec, s[66:67]
.LBB2_2123:                             ;   in Loop: Header=BB2_1872 Depth=3
	s_or_b64 exec, exec, s[36:37]
.LBB2_2124:                             ;   in Loop: Header=BB2_1872 Depth=3
	s_or_b64 exec, exec, s[28:29]
	v_add_f32_e32 v2, v2, v1
	v_and_b32_sdwa v1, v2, s91 dst_sel:DWORD dst_unused:UNUSED_PAD src0_sel:BYTE_3 src1_sel:DWORD
	v_and_b32_e32 v16, 0x7f800000, v2
	v_mov_b32_e32 v17, v61
	v_and_b32_e32 v60, 0x7fffff, v2
	v_or_b32_e32 v7, 0x7e, v1
	v_cmp_ne_u64_e32 vcc, s[54:55], v[16:17]
	s_and_saveexec_b64 s[28:29], vcc
	s_xor_b64 s[36:37], exec, s[28:29]
	s_cbranch_execz .LBB2_2134
; %bb.2125:                             ;   in Loop: Header=BB2_1872 Depth=3
	v_and_b32_e32 v16, 0x7fffffff, v2
	v_mov_b32_e32 v17, v61
	v_cmp_gt_u64_e32 vcc, s[56:57], v[16:17]
	s_and_saveexec_b64 s[66:67], vcc
	s_cbranch_execz .LBB2_2133
; %bb.2126:                             ;   in Loop: Header=BB2_1872 Depth=3
	v_cmp_ne_u32_e32 vcc, 0, v2
	v_mov_b32_e32 v7, 0
	s_and_saveexec_b64 s[68:69], vcc
	s_cbranch_execz .LBB2_2132
; %bb.2127:                             ;   in Loop: Header=BB2_1872 Depth=3
	v_bfe_u32 v2, v2, 23, 8
	v_sub_u32_e32 v7, 0x79, v2
	v_cmp_gt_u32_e32 vcc, s93, v2
	v_add_u32_e32 v3, 0xffffff81, v2
	v_cndmask_b32_e32 v7, 0, v7, vcc
	v_cmp_eq_u32_e32 vcc, 0, v2
	v_mov_b32_e32 v2, 0xffffff82
	v_cndmask_b32_e32 v20, v3, v2, vcc
	v_mov_b32_e32 v2, 0x78
	v_cndmask_b32_e32 v7, v7, v2, vcc
	v_add_u32_e32 v2, 20, v7
	v_or_b32_e32 v16, 0x800000, v60
	v_lshlrev_b64 v[2:3], v2, -1
	v_cndmask_b32_e32 v60, v16, v60, vcc
	v_not_b32_e32 v2, v2
	v_and_b32_e32 v16, v60, v2
	v_add_u32_e32 v2, 19, v7
	v_lshrrev_b64 v[32:33], v7, v[60:61]
	v_not_b32_e32 v3, v3
	v_lshlrev_b64 v[30:31], v2, 1
	v_lshrrev_b32_e32 v2, 23, v32
	v_and_b32_e32 v17, 0, v3
	v_add3_u32 v7, v7, v20, v2
	v_bfe_u32 v2, v32, 20, 1
	v_add_u32_e32 v2, -1, v2
	v_cmp_eq_u64_e32 vcc, v[16:17], v[30:31]
	v_cndmask_b32_e32 v2, 0, v2, vcc
	v_add_u32_e32 v2, v2, v32
	v_and_b32_e32 v2, 0xfffff, v2
	v_add_co_u32_e32 v16, vcc, v2, v32
	v_add_u32_e32 v3, 6, v7
	v_addc_co_u32_e32 v17, vcc, 0, v33, vcc
	v_cmp_ne_u32_e32 vcc, 0, v3
                                        ; implicit-def: $vgpr2
	s_and_saveexec_b64 s[28:29], vcc
	s_xor_b64 s[28:29], exec, s[28:29]
; %bb.2128:                             ;   in Loop: Header=BB2_1872 Depth=3
	v_add_u32_e32 v2, 7, v7
	v_cmp_lt_u64_e32 vcc, s[58:59], v[16:17]
	v_cndmask_b32_e32 v2, v3, v2, vcc
	v_cndmask_b32_e64 v3, 0, 1, vcc
	v_lshrrev_b64 v[16:17], v3, v[16:17]
; %bb.2129:                             ;   in Loop: Header=BB2_1872 Depth=3
	s_andn2_saveexec_b64 s[28:29], s[28:29]
; %bb.2130:                             ;   in Loop: Header=BB2_1872 Depth=3
	v_bfe_u32 v2, v16, 23, 1
; %bb.2131:                             ;   in Loop: Header=BB2_1872 Depth=3
	s_or_b64 exec, exec, s[28:29]
	v_lshrrev_b64 v[16:17], 20, v[16:17]
	v_cmp_gt_i32_e32 vcc, 16, v2
	v_cndmask_b32_e32 v17, 0, v17, vcc
	v_cndmask_b32_e32 v16, 7, v16, vcc
	v_cmp_eq_u32_e32 vcc, 0, v2
	v_min_i32_e32 v2, 15, v2
	v_cmp_eq_u64_e64 s[28:29], 0, v[16:17]
	v_lshlrev_b32_e32 v2, 3, v2
	v_and_or_b32 v2, v16, 7, v2
	s_and_b64 s[28:29], vcc, s[28:29]
	v_cndmask_b32_e64 v2, v2, 0, s[28:29]
	v_or_b32_e32 v7, v2, v1
.LBB2_2132:                             ;   in Loop: Header=BB2_1872 Depth=3
	s_or_b64 exec, exec, s[68:69]
.LBB2_2133:                             ;   in Loop: Header=BB2_1872 Depth=3
	s_or_b64 exec, exec, s[66:67]
                                        ; implicit-def: $vgpr2
.LBB2_2134:                             ;   in Loop: Header=BB2_1872 Depth=3
	s_andn2_saveexec_b64 s[28:29], s[36:37]
; %bb.2135:                             ;   in Loop: Header=BB2_1872 Depth=3
	v_or_b32_sdwa v1, v2, s92 dst_sel:DWORD dst_unused:UNUSED_PAD src0_sel:BYTE_3 src1_sel:DWORD
	v_cmp_eq_u64_e32 vcc, 0, v[60:61]
	v_cndmask_b32_e32 v7, v1, v7, vcc
; %bb.2136:                             ;   in Loop: Header=BB2_1872 Depth=3
	s_or_b64 exec, exec, s[28:29]
	v_cmp_lt_u32_e32 vcc, s45, v22
	v_mov_b32_e32 v1, 0
	v_mov_b32_e32 v2, 0
	s_and_saveexec_b64 s[28:29], vcc
	s_cbranch_execz .LBB2_2142
; %bb.2137:                             ;   in Loop: Header=BB2_1872 Depth=3
	v_lshrrev_b32_e32 v16, 24, v22
	v_cmp_ne_u32_e32 vcc, s91, v16
	v_bfrev_b32_e32 v2, 1
	s_and_saveexec_b64 s[36:37], vcc
	s_cbranch_execz .LBB2_2141
; %bb.2138:                             ;   in Loop: Header=BB2_1872 Depth=3
	v_bfe_u32 v3, v22, 24, 7
	v_cmp_ne_u32_e32 vcc, s92, v3
	v_mov_b32_e32 v2, 0x7f800001
	s_and_saveexec_b64 s[66:67], vcc
	s_cbranch_execz .LBB2_2140
; %bb.2139:                             ;   in Loop: Header=BB2_1872 Depth=3
	v_and_b32_e32 v2, 7, v16
	v_ffbh_u32_e32 v20, v2
	v_min_u32_e32 v20, 32, v20
	v_lshrrev_b32_e32 v17, 3, v3
	v_subrev_u32_e32 v27, 28, v20
	v_lshlrev_b64 v[30:31], v27, v[16:17]
	v_sub_u32_e32 v20, 29, v20
	v_and_b32_e32 v27, 7, v30
	v_cmp_gt_u32_e32 vcc, 8, v3
	v_cndmask_b32_e32 v3, v17, v20, vcc
	v_cndmask_b32_e32 v2, v2, v27, vcc
	v_lshlrev_b32_e32 v16, 24, v16
	v_lshlrev_b32_e32 v2, 20, v2
	v_and_b32_e32 v16, 0x80000000, v16
	v_lshl_add_u32 v3, v3, 23, v0
	v_or3_b32 v2, v16, v3, v2
.LBB2_2140:                             ;   in Loop: Header=BB2_1872 Depth=3
	s_or_b64 exec, exec, s[66:67]
.LBB2_2141:                             ;   in Loop: Header=BB2_1872 Depth=3
	s_or_b64 exec, exec, s[36:37]
.LBB2_2142:                             ;   in Loop: Header=BB2_1872 Depth=3
	s_or_b64 exec, exec, s[28:29]
	v_cmp_lt_u32_e32 vcc, s45, v18
	s_and_saveexec_b64 s[28:29], vcc
	s_cbranch_execz .LBB2_2148
; %bb.2143:                             ;   in Loop: Header=BB2_1872 Depth=3
	v_lshrrev_b32_e32 v16, 24, v18
	v_cmp_ne_u32_e32 vcc, s91, v16
	v_bfrev_b32_e32 v1, 1
	s_and_saveexec_b64 s[36:37], vcc
	s_cbranch_execz .LBB2_2147
; %bb.2144:                             ;   in Loop: Header=BB2_1872 Depth=3
	v_bfe_u32 v3, v18, 24, 7
	v_cmp_ne_u32_e32 vcc, s92, v3
	v_mov_b32_e32 v1, 0x7f800001
	s_and_saveexec_b64 s[66:67], vcc
	s_cbranch_execz .LBB2_2146
; %bb.2145:                             ;   in Loop: Header=BB2_1872 Depth=3
	v_and_b32_e32 v1, 7, v16
	v_ffbh_u32_e32 v20, v1
	v_min_u32_e32 v20, 32, v20
	v_lshrrev_b32_e32 v17, 3, v3
	v_subrev_u32_e32 v27, 28, v20
	v_lshlrev_b64 v[30:31], v27, v[16:17]
	v_sub_u32_e32 v20, 29, v20
	v_and_b32_e32 v27, 7, v30
	v_cmp_gt_u32_e32 vcc, 8, v3
	v_cndmask_b32_e32 v3, v17, v20, vcc
	v_cndmask_b32_e32 v1, v1, v27, vcc
	v_lshlrev_b32_e32 v16, 24, v16
	v_lshlrev_b32_e32 v1, 20, v1
	v_and_b32_e32 v16, 0x80000000, v16
	v_lshl_add_u32 v3, v3, 23, v0
	v_or3_b32 v1, v16, v3, v1
.LBB2_2146:                             ;   in Loop: Header=BB2_1872 Depth=3
	s_or_b64 exec, exec, s[66:67]
.LBB2_2147:                             ;   in Loop: Header=BB2_1872 Depth=3
	s_or_b64 exec, exec, s[36:37]
.LBB2_2148:                             ;   in Loop: Header=BB2_1872 Depth=3
	s_or_b64 exec, exec, s[28:29]
	v_add_f32_e32 v2, v2, v1
	v_and_b32_sdwa v1, v2, s91 dst_sel:DWORD dst_unused:UNUSED_PAD src0_sel:BYTE_3 src1_sel:DWORD
	v_and_b32_e32 v16, 0x7f800000, v2
	v_mov_b32_e32 v17, v61
	v_and_b32_e32 v60, 0x7fffff, v2
	v_or_b32_e32 v3, 0x7e, v1
	v_cmp_ne_u64_e32 vcc, s[54:55], v[16:17]
	s_and_saveexec_b64 s[28:29], vcc
	s_xor_b64 s[36:37], exec, s[28:29]
	s_cbranch_execz .LBB2_2158
; %bb.2149:                             ;   in Loop: Header=BB2_1872 Depth=3
	v_and_b32_e32 v16, 0x7fffffff, v2
	v_mov_b32_e32 v17, v61
	v_cmp_gt_u64_e32 vcc, s[56:57], v[16:17]
	s_and_saveexec_b64 s[66:67], vcc
	s_cbranch_execz .LBB2_2157
; %bb.2150:                             ;   in Loop: Header=BB2_1872 Depth=3
	v_cmp_ne_u32_e32 vcc, 0, v2
	v_mov_b32_e32 v3, 0
	s_and_saveexec_b64 s[68:69], vcc
	s_cbranch_execz .LBB2_2156
; %bb.2151:                             ;   in Loop: Header=BB2_1872 Depth=3
	v_bfe_u32 v2, v2, 23, 8
	v_sub_u32_e32 v16, 0x79, v2
	v_cmp_gt_u32_e32 vcc, s93, v2
	v_add_u32_e32 v3, 0xffffff81, v2
	v_cndmask_b32_e32 v16, 0, v16, vcc
	v_cmp_eq_u32_e32 vcc, 0, v2
	v_mov_b32_e32 v2, 0xffffff82
	v_cndmask_b32_e32 v20, v3, v2, vcc
	v_mov_b32_e32 v2, 0x78
	v_cndmask_b32_e32 v27, v16, v2, vcc
	v_add_u32_e32 v2, 20, v27
	v_or_b32_e32 v17, 0x800000, v60
	v_lshlrev_b64 v[2:3], v2, -1
	v_cndmask_b32_e32 v60, v17, v60, vcc
	v_not_b32_e32 v2, v2
	v_and_b32_e32 v16, v60, v2
	v_add_u32_e32 v2, 19, v27
	v_lshrrev_b64 v[32:33], v27, v[60:61]
	v_not_b32_e32 v3, v3
	v_lshlrev_b64 v[30:31], v2, 1
	v_lshrrev_b32_e32 v2, 23, v32
	v_and_b32_e32 v17, 0, v3
	v_add3_u32 v20, v27, v20, v2
	v_bfe_u32 v2, v32, 20, 1
	v_add_u32_e32 v2, -1, v2
	v_cmp_eq_u64_e32 vcc, v[16:17], v[30:31]
	v_cndmask_b32_e32 v2, 0, v2, vcc
	v_add_u32_e32 v2, v2, v32
	v_and_b32_e32 v2, 0xfffff, v2
	v_add_co_u32_e32 v16, vcc, v2, v32
	v_add_u32_e32 v3, 6, v20
	v_addc_co_u32_e32 v17, vcc, 0, v33, vcc
	v_cmp_ne_u32_e32 vcc, 0, v3
                                        ; implicit-def: $vgpr2
	s_and_saveexec_b64 s[28:29], vcc
	s_xor_b64 s[28:29], exec, s[28:29]
; %bb.2152:                             ;   in Loop: Header=BB2_1872 Depth=3
	v_add_u32_e32 v2, 7, v20
	v_cmp_lt_u64_e32 vcc, s[58:59], v[16:17]
	v_cndmask_b32_e32 v2, v3, v2, vcc
	v_cndmask_b32_e64 v3, 0, 1, vcc
	v_lshrrev_b64 v[16:17], v3, v[16:17]
; %bb.2153:                             ;   in Loop: Header=BB2_1872 Depth=3
	s_andn2_saveexec_b64 s[28:29], s[28:29]
; %bb.2154:                             ;   in Loop: Header=BB2_1872 Depth=3
	v_bfe_u32 v2, v16, 23, 1
; %bb.2155:                             ;   in Loop: Header=BB2_1872 Depth=3
	s_or_b64 exec, exec, s[28:29]
	v_lshrrev_b64 v[16:17], 20, v[16:17]
	v_cmp_gt_i32_e32 vcc, 16, v2
	v_cndmask_b32_e32 v17, 0, v17, vcc
	v_cndmask_b32_e32 v16, 7, v16, vcc
	v_cmp_eq_u32_e32 vcc, 0, v2
	v_min_i32_e32 v2, 15, v2
	v_cmp_eq_u64_e64 s[28:29], 0, v[16:17]
	v_lshlrev_b32_e32 v2, 3, v2
	v_and_or_b32 v2, v16, 7, v2
	s_and_b64 s[28:29], vcc, s[28:29]
	v_cndmask_b32_e64 v2, v2, 0, s[28:29]
	v_or_b32_e32 v3, v2, v1
.LBB2_2156:                             ;   in Loop: Header=BB2_1872 Depth=3
	s_or_b64 exec, exec, s[68:69]
.LBB2_2157:                             ;   in Loop: Header=BB2_1872 Depth=3
	s_or_b64 exec, exec, s[66:67]
                                        ; implicit-def: $vgpr2
.LBB2_2158:                             ;   in Loop: Header=BB2_1872 Depth=3
	s_andn2_saveexec_b64 s[28:29], s[36:37]
; %bb.2159:                             ;   in Loop: Header=BB2_1872 Depth=3
	v_or_b32_sdwa v1, v2, s92 dst_sel:DWORD dst_unused:UNUSED_PAD src0_sel:BYTE_3 src1_sel:DWORD
	v_cmp_eq_u64_e32 vcc, 0, v[60:61]
	v_cndmask_b32_e32 v3, v1, v3, vcc
; %bb.2160:                             ;   in Loop: Header=BB2_1872 Depth=3
	s_or_b64 exec, exec, s[28:29]
	v_mov_b32_e32 v60, v23
	v_cmp_ne_u16_sdwa vcc, v23, v61 src0_sel:BYTE_0 src1_sel:DWORD
	v_mov_b32_e32 v2, 0
	v_mov_b32_e32 v1, 0
	s_and_saveexec_b64 s[28:29], vcc
	s_cbranch_execz .LBB2_2166
; %bb.2161:                             ;   in Loop: Header=BB2_1872 Depth=3
	v_cmp_ne_u16_sdwa vcc, v23, s91 src0_sel:BYTE_0 src1_sel:DWORD
	v_bfrev_b32_e32 v1, 1
	s_and_saveexec_b64 s[36:37], vcc
	s_cbranch_execz .LBB2_2165
; %bb.2162:                             ;   in Loop: Header=BB2_1872 Depth=3
	v_and_b32_e32 v16, 0x7f, v23
	v_cmp_ne_u32_e32 vcc, s92, v16
	v_mov_b32_e32 v1, 0x7f800001
	s_and_saveexec_b64 s[66:67], vcc
	s_cbranch_execz .LBB2_2164
; %bb.2163:                             ;   in Loop: Header=BB2_1872 Depth=3
	v_and_b32_e32 v1, 7, v23
	v_ffbh_u32_e32 v1, v1
	v_min_u32_e32 v1, 32, v1
	v_subrev_u32_e32 v20, 28, v1
	v_cmp_gt_u32_e32 vcc, 8, v16
	v_lshrrev_b32_e32 v17, 3, v16
	v_sub_u32_e32 v1, 29, v1
	v_cndmask_b32_e32 v16, 0, v20, vcc
	v_cndmask_b32_e32 v1, v17, v1, vcc
	v_lshlrev_b64 v[16:17], v16, v[60:61]
	v_lshlrev_b32_e32 v16, 20, v16
	v_lshlrev_b32_e32 v17, 24, v60
	v_and_b32_e32 v16, 0x700000, v16
	v_and_b32_e32 v17, 0x80000000, v17
	v_lshl_add_u32 v1, v1, 23, v0
	v_or3_b32 v1, v17, v1, v16
.LBB2_2164:                             ;   in Loop: Header=BB2_1872 Depth=3
	s_or_b64 exec, exec, s[66:67]
.LBB2_2165:                             ;   in Loop: Header=BB2_1872 Depth=3
	s_or_b64 exec, exec, s[36:37]
.LBB2_2166:                             ;   in Loop: Header=BB2_1872 Depth=3
	s_or_b64 exec, exec, s[28:29]
	v_cmp_ne_u16_sdwa vcc, v19, v61 src0_sel:BYTE_0 src1_sel:DWORD
	s_and_saveexec_b64 s[28:29], vcc
	s_cbranch_execz .LBB2_2172
; %bb.2167:                             ;   in Loop: Header=BB2_1872 Depth=3
	v_cmp_ne_u16_sdwa vcc, v19, s91 src0_sel:BYTE_0 src1_sel:DWORD
	v_bfrev_b32_e32 v2, 1
	s_and_saveexec_b64 s[36:37], vcc
	s_cbranch_execz .LBB2_2171
; %bb.2168:                             ;   in Loop: Header=BB2_1872 Depth=3
	v_and_b32_e32 v16, 0x7f, v19
	v_cmp_ne_u32_e32 vcc, s92, v16
	v_mov_b32_e32 v2, 0x7f800001
	s_and_saveexec_b64 s[66:67], vcc
	s_cbranch_execz .LBB2_2170
; %bb.2169:                             ;   in Loop: Header=BB2_1872 Depth=3
	v_and_b32_e32 v2, 7, v19
	v_ffbh_u32_e32 v2, v2
	v_min_u32_e32 v2, 32, v2
	v_subrev_u32_e32 v20, 28, v2
	v_cmp_gt_u32_e32 vcc, 8, v16
	v_mov_b32_e32 v30, v19
	v_mov_b32_e32 v31, v61
	v_lshrrev_b32_e32 v17, 3, v16
	v_sub_u32_e32 v2, 29, v2
	v_cndmask_b32_e32 v16, 0, v20, vcc
	v_cndmask_b32_e32 v2, v17, v2, vcc
	v_lshlrev_b64 v[16:17], v16, v[30:31]
	v_lshlrev_b32_e32 v16, 20, v16
	v_lshlrev_b32_e32 v17, 24, v30
	v_and_b32_e32 v16, 0x700000, v16
	v_and_b32_e32 v17, 0x80000000, v17
	v_lshl_add_u32 v2, v2, 23, v0
	v_or3_b32 v2, v17, v2, v16
.LBB2_2170:                             ;   in Loop: Header=BB2_1872 Depth=3
	s_or_b64 exec, exec, s[66:67]
.LBB2_2171:                             ;   in Loop: Header=BB2_1872 Depth=3
	s_or_b64 exec, exec, s[36:37]
.LBB2_2172:                             ;   in Loop: Header=BB2_1872 Depth=3
	s_or_b64 exec, exec, s[28:29]
	v_add_f32_e32 v20, v1, v2
	v_and_b32_sdwa v1, v20, s91 dst_sel:DWORD dst_unused:UNUSED_PAD src0_sel:BYTE_3 src1_sel:DWORD
	v_and_b32_e32 v30, 0x7f800000, v20
	v_mov_b32_e32 v31, v61
	v_and_b32_e32 v16, 0x7fffff, v20
	v_mov_b32_e32 v17, v61
	v_or_b32_e32 v2, 0x7e, v1
	v_cmp_ne_u64_e32 vcc, s[54:55], v[30:31]
	s_and_saveexec_b64 s[28:29], vcc
	s_xor_b64 s[36:37], exec, s[28:29]
	s_cbranch_execz .LBB2_2182
; %bb.2173:                             ;   in Loop: Header=BB2_1872 Depth=3
	v_and_b32_e32 v30, 0x7fffffff, v20
	v_mov_b32_e32 v31, v61
	v_cmp_gt_u64_e32 vcc, s[56:57], v[30:31]
	s_and_saveexec_b64 s[66:67], vcc
	s_cbranch_execz .LBB2_2181
; %bb.2174:                             ;   in Loop: Header=BB2_1872 Depth=3
	v_cmp_ne_u32_e32 vcc, 0, v20
	v_mov_b32_e32 v2, 0
	s_and_saveexec_b64 s[68:69], vcc
	s_cbranch_execz .LBB2_2180
; %bb.2175:                             ;   in Loop: Header=BB2_1872 Depth=3
	v_bfe_u32 v2, v20, 23, 8
	v_sub_u32_e32 v27, 0x79, v2
	v_cmp_gt_u32_e32 vcc, s93, v2
	v_add_u32_e32 v20, 0xffffff81, v2
	v_cndmask_b32_e32 v27, 0, v27, vcc
	v_cmp_eq_u32_e32 vcc, 0, v2
	v_mov_b32_e32 v2, 0xffffff82
	v_cndmask_b32_e32 v2, v20, v2, vcc
	v_mov_b32_e32 v20, 0x78
	v_cndmask_b32_e32 v20, v27, v20, vcc
	v_or_b32_e32 v30, 0x800000, v16
	v_add_u32_e32 v27, 20, v20
	v_cndmask_b32_e32 v16, v30, v16, vcc
	v_lshlrev_b64 v[30:31], v27, -1
	v_not_b32_e32 v27, v31
	v_not_b32_e32 v30, v30
	v_and_b32_e32 v31, 0, v27
	v_and_b32_e32 v30, v16, v30
	v_add_u32_e32 v27, 19, v20
	v_lshrrev_b64 v[16:17], v20, v[16:17]
	v_lshlrev_b64 v[32:33], v27, 1
	v_lshrrev_b32_e32 v27, 23, v16
	v_add3_u32 v27, v20, v2, v27
	v_bfe_u32 v2, v16, 20, 1
	v_add_u32_e32 v2, -1, v2
	v_cmp_eq_u64_e32 vcc, v[30:31], v[32:33]
	v_cndmask_b32_e32 v2, 0, v2, vcc
	v_add_u32_e32 v2, v2, v16
	v_and_b32_e32 v2, 0xfffff, v2
	v_add_co_u32_e32 v16, vcc, v2, v16
	v_add_u32_e32 v20, 6, v27
	v_addc_co_u32_e32 v17, vcc, 0, v17, vcc
	v_cmp_ne_u32_e32 vcc, 0, v20
                                        ; implicit-def: $vgpr2
	s_and_saveexec_b64 s[28:29], vcc
	s_xor_b64 s[28:29], exec, s[28:29]
; %bb.2176:                             ;   in Loop: Header=BB2_1872 Depth=3
	v_add_u32_e32 v2, 7, v27
	v_cmp_lt_u64_e32 vcc, s[58:59], v[16:17]
	v_cndmask_b32_e32 v2, v20, v2, vcc
	v_cndmask_b32_e64 v20, 0, 1, vcc
	v_lshrrev_b64 v[16:17], v20, v[16:17]
; %bb.2177:                             ;   in Loop: Header=BB2_1872 Depth=3
	s_andn2_saveexec_b64 s[28:29], s[28:29]
; %bb.2178:                             ;   in Loop: Header=BB2_1872 Depth=3
	v_bfe_u32 v2, v16, 23, 1
; %bb.2179:                             ;   in Loop: Header=BB2_1872 Depth=3
	s_or_b64 exec, exec, s[28:29]
	v_lshrrev_b64 v[16:17], 20, v[16:17]
	v_cmp_gt_i32_e32 vcc, 16, v2
	v_cndmask_b32_e32 v17, 0, v17, vcc
	v_cndmask_b32_e32 v16, 7, v16, vcc
	v_cmp_eq_u32_e32 vcc, 0, v2
	v_min_i32_e32 v2, 15, v2
	v_cmp_eq_u64_e64 s[28:29], 0, v[16:17]
	v_lshlrev_b32_e32 v2, 3, v2
	v_and_or_b32 v2, v16, 7, v2
	s_and_b64 s[28:29], vcc, s[28:29]
	v_cndmask_b32_e64 v2, v2, 0, s[28:29]
	v_or_b32_e32 v2, v2, v1
.LBB2_2180:                             ;   in Loop: Header=BB2_1872 Depth=3
	s_or_b64 exec, exec, s[68:69]
.LBB2_2181:                             ;   in Loop: Header=BB2_1872 Depth=3
	s_or_b64 exec, exec, s[66:67]
                                        ; implicit-def: $vgpr20
                                        ; implicit-def: $vgpr16_vgpr17
.LBB2_2182:                             ;   in Loop: Header=BB2_1872 Depth=3
	s_andn2_saveexec_b64 s[28:29], s[36:37]
; %bb.2183:                             ;   in Loop: Header=BB2_1872 Depth=3
	v_or_b32_sdwa v1, v20, s92 dst_sel:DWORD dst_unused:UNUSED_PAD src0_sel:BYTE_3 src1_sel:DWORD
	v_cmp_eq_u64_e32 vcc, 0, v[16:17]
	v_cndmask_b32_e32 v2, v1, v2, vcc
; %bb.2184:                             ;   in Loop: Header=BB2_1872 Depth=3
	s_or_b64 exec, exec, s[28:29]
	v_lshrrev_b16_e32 v16, 8, v60
	v_cmp_ne_u16_e32 vcc, 0, v16
	v_mov_b32_e32 v1, 0
	v_mov_b32_e32 v17, 0
	s_and_saveexec_b64 s[28:29], vcc
	s_cbranch_execz .LBB2_2190
; %bb.2185:                             ;   in Loop: Header=BB2_1872 Depth=3
	v_cmp_ne_u16_e32 vcc, s91, v16
	v_bfrev_b32_e32 v17, 1
	s_and_saveexec_b64 s[36:37], vcc
	s_cbranch_execz .LBB2_2189
; %bb.2186:                             ;   in Loop: Header=BB2_1872 Depth=3
	v_and_b32_e32 v20, 0x7f, v16
	v_cmp_ne_u32_e32 vcc, s92, v20
	v_mov_b32_e32 v17, 0x7f800001
	s_and_saveexec_b64 s[66:67], vcc
	s_cbranch_execz .LBB2_2188
; %bb.2187:                             ;   in Loop: Header=BB2_1872 Depth=3
	v_and_b32_e32 v27, 7, v16
	v_ffbh_u32_e32 v17, v27
	v_min_u32_e32 v31, 32, v17
	v_subrev_u32_e32 v17, 28, v31
	v_lshlrev_b64 v[16:17], v17, v[16:17]
	v_lshrrev_b32_e32 v30, 3, v20
	v_sub_u32_e32 v17, 29, v31
	v_and_b32_e32 v16, 7, v16
	v_cmp_gt_u32_e32 vcc, 8, v20
	v_cndmask_b32_e32 v17, v30, v17, vcc
	v_cndmask_b32_e32 v16, v27, v16, vcc
	v_lshlrev_b32_e32 v20, 16, v60
	v_lshlrev_b32_e32 v16, 20, v16
	v_and_b32_e32 v20, 0x80000000, v20
	v_lshl_add_u32 v17, v17, 23, v0
	v_or3_b32 v17, v20, v17, v16
.LBB2_2188:                             ;   in Loop: Header=BB2_1872 Depth=3
	s_or_b64 exec, exec, s[66:67]
.LBB2_2189:                             ;   in Loop: Header=BB2_1872 Depth=3
	s_or_b64 exec, exec, s[36:37]
.LBB2_2190:                             ;   in Loop: Header=BB2_1872 Depth=3
	s_or_b64 exec, exec, s[28:29]
	v_mov_b32_e32 v16, v19
	v_lshrrev_b16_e32 v20, 8, v16
	v_cmp_ne_u16_e32 vcc, 0, v20
	s_and_saveexec_b64 s[28:29], vcc
	s_cbranch_execz .LBB2_2196
; %bb.2191:                             ;   in Loop: Header=BB2_1872 Depth=3
	v_cmp_ne_u16_e32 vcc, s91, v20
	v_bfrev_b32_e32 v1, 1
	s_and_saveexec_b64 s[36:37], vcc
	s_cbranch_execz .LBB2_2195
; %bb.2192:                             ;   in Loop: Header=BB2_1872 Depth=3
	v_and_b32_e32 v27, 0x7f, v20
	v_cmp_ne_u32_e32 vcc, s92, v27
	v_mov_b32_e32 v1, 0x7f800001
	s_and_saveexec_b64 s[66:67], vcc
	s_cbranch_execz .LBB2_2194
; %bb.2193:                             ;   in Loop: Header=BB2_1872 Depth=3
	v_and_b32_e32 v1, 7, v20
	v_ffbh_u32_e32 v30, v1
	v_min_u32_e32 v33, 32, v30
	v_subrev_u32_e32 v30, 28, v33
	v_lshlrev_b64 v[30:31], v30, v[20:21]
	v_lshrrev_b32_e32 v32, 3, v27
	v_sub_u32_e32 v20, 29, v33
	v_and_b32_e32 v30, 7, v30
	v_cmp_gt_u32_e32 vcc, 8, v27
	v_cndmask_b32_e32 v20, v32, v20, vcc
	v_cndmask_b32_e32 v1, v1, v30, vcc
	v_lshlrev_b32_e32 v16, 16, v16
	v_lshlrev_b32_e32 v1, 20, v1
	v_and_b32_e32 v16, 0x80000000, v16
	v_lshl_add_u32 v20, v20, 23, v0
	v_or3_b32 v1, v16, v20, v1
.LBB2_2194:                             ;   in Loop: Header=BB2_1872 Depth=3
	s_or_b64 exec, exec, s[66:67]
.LBB2_2195:                             ;   in Loop: Header=BB2_1872 Depth=3
	s_or_b64 exec, exec, s[36:37]
.LBB2_2196:                             ;   in Loop: Header=BB2_1872 Depth=3
	s_or_b64 exec, exec, s[28:29]
	v_add_f32_e32 v16, v17, v1
	v_and_b32_sdwa v1, v16, s91 dst_sel:DWORD dst_unused:UNUSED_PAD src0_sel:BYTE_3 src1_sel:DWORD
	v_and_b32_e32 v30, 0x7f800000, v16
	v_mov_b32_e32 v31, v61
	v_and_b32_e32 v60, 0x7fffff, v16
	v_or_b32_e32 v41, 0x7e, v1
	v_cmp_ne_u64_e32 vcc, s[54:55], v[30:31]
	s_and_saveexec_b64 s[28:29], vcc
	s_xor_b64 s[36:37], exec, s[28:29]
	s_cbranch_execz .LBB2_2206
; %bb.2197:                             ;   in Loop: Header=BB2_1872 Depth=3
	v_and_b32_e32 v30, 0x7fffffff, v16
	v_mov_b32_e32 v31, v61
	v_cmp_gt_u64_e32 vcc, s[56:57], v[30:31]
	s_and_saveexec_b64 s[66:67], vcc
	s_cbranch_execz .LBB2_2205
; %bb.2198:                             ;   in Loop: Header=BB2_1872 Depth=3
	v_cmp_ne_u32_e32 vcc, 0, v16
	v_mov_b32_e32 v41, 0
	s_and_saveexec_b64 s[68:69], vcc
	s_cbranch_execz .LBB2_2204
; %bb.2199:                             ;   in Loop: Header=BB2_1872 Depth=3
	v_bfe_u32 v16, v16, 23, 8
	v_sub_u32_e32 v20, 0x79, v16
	v_cmp_gt_u32_e32 vcc, s93, v16
	v_add_u32_e32 v17, 0xffffff81, v16
	v_cndmask_b32_e32 v20, 0, v20, vcc
	v_cmp_eq_u32_e32 vcc, 0, v16
	v_mov_b32_e32 v16, 0xffffff82
	v_cndmask_b32_e32 v30, v17, v16, vcc
	v_mov_b32_e32 v16, 0x78
	v_or_b32_e32 v27, 0x800000, v60
	v_cndmask_b32_e32 v20, v20, v16, vcc
	v_cndmask_b32_e32 v60, v27, v60, vcc
	v_add_u32_e32 v16, 20, v20
	v_mov_b32_e32 v31, v35
	v_lshlrev_b64 v[16:17], v16, -1
	v_add_u32_e32 v27, 19, v20
	v_lshrrev_b64 v[34:35], v20, v[60:61]
	v_not_b32_e32 v17, v17
	v_not_b32_e32 v16, v16
	v_lshlrev_b64 v[32:33], v27, 1
	v_lshrrev_b32_e32 v27, 23, v34
	v_and_b32_e32 v17, 0, v17
	v_and_b32_e32 v16, v60, v16
	v_add3_u32 v30, v20, v30, v27
	v_bfe_u32 v20, v34, 20, 1
	v_add_u32_e32 v20, -1, v20
	v_cmp_eq_u64_e32 vcc, v[16:17], v[32:33]
	v_cndmask_b32_e32 v16, 0, v20, vcc
	v_add_u32_e32 v16, v16, v34
	v_and_b32_e32 v16, 0xfffff, v16
	v_add_co_u32_e32 v16, vcc, v16, v34
	v_add_u32_e32 v27, 6, v30
	v_addc_co_u32_e32 v17, vcc, 0, v35, vcc
	v_cmp_ne_u32_e32 vcc, 0, v27
                                        ; implicit-def: $vgpr20
	s_and_saveexec_b64 s[28:29], vcc
	s_xor_b64 s[28:29], exec, s[28:29]
; %bb.2200:                             ;   in Loop: Header=BB2_1872 Depth=3
	v_add_u32_e32 v20, 7, v30
	v_cmp_lt_u64_e32 vcc, s[58:59], v[16:17]
	v_cndmask_b32_e32 v20, v27, v20, vcc
	v_cndmask_b32_e64 v27, 0, 1, vcc
	v_lshrrev_b64 v[16:17], v27, v[16:17]
; %bb.2201:                             ;   in Loop: Header=BB2_1872 Depth=3
	s_andn2_saveexec_b64 s[28:29], s[28:29]
; %bb.2202:                             ;   in Loop: Header=BB2_1872 Depth=3
	v_bfe_u32 v20, v16, 23, 1
; %bb.2203:                             ;   in Loop: Header=BB2_1872 Depth=3
	s_or_b64 exec, exec, s[28:29]
	v_lshrrev_b64 v[16:17], 20, v[16:17]
	v_cmp_gt_i32_e32 vcc, 16, v20
	v_cndmask_b32_e32 v17, 0, v17, vcc
	v_cndmask_b32_e32 v16, 7, v16, vcc
	v_cmp_eq_u64_e64 s[28:29], 0, v[16:17]
	v_min_i32_e32 v17, 15, v20
	v_cmp_eq_u32_e32 vcc, 0, v20
	v_lshlrev_b32_e32 v17, 3, v17
	v_and_or_b32 v16, v16, 7, v17
	s_and_b64 s[28:29], vcc, s[28:29]
	v_cndmask_b32_e64 v16, v16, 0, s[28:29]
	v_or_b32_e32 v41, v16, v1
	v_mov_b32_e32 v35, v31
.LBB2_2204:                             ;   in Loop: Header=BB2_1872 Depth=3
	s_or_b64 exec, exec, s[68:69]
.LBB2_2205:                             ;   in Loop: Header=BB2_1872 Depth=3
	s_or_b64 exec, exec, s[66:67]
                                        ; implicit-def: $vgpr16
.LBB2_2206:                             ;   in Loop: Header=BB2_1872 Depth=3
	s_andn2_saveexec_b64 s[28:29], s[36:37]
; %bb.2207:                             ;   in Loop: Header=BB2_1872 Depth=3
	v_or_b32_sdwa v1, v16, s92 dst_sel:DWORD dst_unused:UNUSED_PAD src0_sel:BYTE_3 src1_sel:DWORD
	v_cmp_eq_u64_e32 vcc, 0, v[60:61]
	v_cndmask_b32_e32 v41, v1, v41, vcc
; %bb.2208:                             ;   in Loop: Header=BB2_1872 Depth=3
	s_or_b64 exec, exec, s[28:29]
	v_lshrrev_b32_e32 v16, 16, v23
	v_cmp_ne_u16_sdwa vcc, v16, v61 src0_sel:BYTE_0 src1_sel:DWORD
	v_mov_b32_e32 v1, 0
	v_mov_b32_e32 v17, 0
	s_and_saveexec_b64 s[28:29], vcc
	s_cbranch_execz .LBB2_2214
; %bb.2209:                             ;   in Loop: Header=BB2_1872 Depth=3
	v_cmp_ne_u16_sdwa vcc, v16, s91 src0_sel:BYTE_0 src1_sel:DWORD
	v_bfrev_b32_e32 v17, 1
	s_and_saveexec_b64 s[36:37], vcc
	s_cbranch_execz .LBB2_2213
; %bb.2210:                             ;   in Loop: Header=BB2_1872 Depth=3
	v_bfe_u32 v27, v23, 16, 7
	v_cmp_ne_u32_e32 vcc, s92, v27
	v_mov_b32_e32 v17, 0x7f800001
	s_and_saveexec_b64 s[66:67], vcc
	s_cbranch_execz .LBB2_2212
; %bb.2211:                             ;   in Loop: Header=BB2_1872 Depth=3
	v_and_b32_e32 v17, 7, v16
	v_ffbh_u32_e32 v30, v17
	v_min_u32_e32 v32, 32, v30
	v_subrev_u32_e32 v30, 28, v32
	v_lshlrev_b64 v[30:31], v30, v[16:17]
	v_lshrrev_b32_e32 v20, 3, v27
	v_sub_u32_e32 v31, 29, v32
	v_and_b32_e32 v30, 7, v30
	v_cmp_gt_u32_e32 vcc, 8, v27
	v_cndmask_b32_e32 v20, v20, v31, vcc
	v_cndmask_b32_e32 v17, v17, v30, vcc
	v_lshlrev_b32_e32 v16, 24, v16
	v_lshlrev_b32_e32 v17, 20, v17
	v_and_b32_e32 v16, 0x80000000, v16
	v_lshl_add_u32 v20, v20, 23, v0
	v_or3_b32 v17, v16, v20, v17
.LBB2_2212:                             ;   in Loop: Header=BB2_1872 Depth=3
	s_or_b64 exec, exec, s[66:67]
.LBB2_2213:                             ;   in Loop: Header=BB2_1872 Depth=3
	s_or_b64 exec, exec, s[36:37]
.LBB2_2214:                             ;   in Loop: Header=BB2_1872 Depth=3
	s_or_b64 exec, exec, s[28:29]
	v_lshrrev_b32_e32 v16, 16, v19
	v_cmp_ne_u16_sdwa vcc, v16, v61 src0_sel:BYTE_0 src1_sel:DWORD
	s_and_saveexec_b64 s[28:29], vcc
	s_cbranch_execz .LBB2_2220
; %bb.2215:                             ;   in Loop: Header=BB2_1872 Depth=3
	v_cmp_ne_u16_sdwa vcc, v16, s91 src0_sel:BYTE_0 src1_sel:DWORD
	v_bfrev_b32_e32 v1, 1
	s_and_saveexec_b64 s[36:37], vcc
	s_cbranch_execz .LBB2_2219
; %bb.2216:                             ;   in Loop: Header=BB2_1872 Depth=3
	v_bfe_u32 v27, v19, 16, 7
	v_cmp_ne_u32_e32 vcc, s92, v27
	v_mov_b32_e32 v1, 0x7f800001
	s_and_saveexec_b64 s[66:67], vcc
	s_cbranch_execz .LBB2_2218
; %bb.2217:                             ;   in Loop: Header=BB2_1872 Depth=3
	v_and_b32_e32 v1, 7, v16
	v_ffbh_u32_e32 v30, v1
	v_min_u32_e32 v32, 32, v30
	v_subrev_u32_e32 v30, 28, v32
	v_lshlrev_b64 v[30:31], v30, v[16:17]
	v_lshrrev_b32_e32 v20, 3, v27
	v_sub_u32_e32 v16, 29, v32
	v_and_b32_e32 v30, 7, v30
	v_cmp_gt_u32_e32 vcc, 8, v27
	v_cndmask_b32_e32 v16, v20, v16, vcc
	v_cndmask_b32_e32 v1, v1, v30, vcc
	v_lshlrev_b32_e32 v20, 8, v19
	v_lshlrev_b32_e32 v1, 20, v1
	v_and_b32_e32 v20, 0x80000000, v20
	v_lshl_add_u32 v16, v16, 23, v0
	v_or3_b32 v1, v20, v16, v1
.LBB2_2218:                             ;   in Loop: Header=BB2_1872 Depth=3
	s_or_b64 exec, exec, s[66:67]
.LBB2_2219:                             ;   in Loop: Header=BB2_1872 Depth=3
	s_or_b64 exec, exec, s[36:37]
.LBB2_2220:                             ;   in Loop: Header=BB2_1872 Depth=3
	s_or_b64 exec, exec, s[28:29]
	v_add_f32_e32 v16, v17, v1
	v_and_b32_sdwa v1, v16, s91 dst_sel:DWORD dst_unused:UNUSED_PAD src0_sel:BYTE_3 src1_sel:DWORD
	v_and_b32_e32 v30, 0x7f800000, v16
	v_mov_b32_e32 v31, v61
	v_and_b32_e32 v60, 0x7fffff, v16
	v_or_b32_e32 v55, 0x7e, v1
	v_cmp_ne_u64_e32 vcc, s[54:55], v[30:31]
	s_and_saveexec_b64 s[28:29], vcc
	s_xor_b64 s[36:37], exec, s[28:29]
	s_cbranch_execz .LBB2_2230
; %bb.2221:                             ;   in Loop: Header=BB2_1872 Depth=3
	v_and_b32_e32 v30, 0x7fffffff, v16
	v_mov_b32_e32 v31, v61
	v_cmp_gt_u64_e32 vcc, s[56:57], v[30:31]
	s_and_saveexec_b64 s[66:67], vcc
	s_cbranch_execz .LBB2_2229
; %bb.2222:                             ;   in Loop: Header=BB2_1872 Depth=3
	v_cmp_ne_u32_e32 vcc, 0, v16
	v_mov_b32_e32 v55, 0
	s_and_saveexec_b64 s[68:69], vcc
	s_cbranch_execz .LBB2_2228
; %bb.2223:                             ;   in Loop: Header=BB2_1872 Depth=3
	v_bfe_u32 v16, v16, 23, 8
	v_sub_u32_e32 v20, 0x79, v16
	v_cmp_gt_u32_e32 vcc, s93, v16
	v_add_u32_e32 v17, 0xffffff81, v16
	v_cndmask_b32_e32 v20, 0, v20, vcc
	v_cmp_eq_u32_e32 vcc, 0, v16
	v_mov_b32_e32 v16, 0xffffff82
	v_cndmask_b32_e32 v30, v17, v16, vcc
	v_mov_b32_e32 v16, 0x78
	v_or_b32_e32 v27, 0x800000, v60
	v_cndmask_b32_e32 v20, v20, v16, vcc
	v_cndmask_b32_e32 v60, v27, v60, vcc
	v_add_u32_e32 v16, 20, v20
	v_mov_b32_e32 v38, v35
	v_lshlrev_b64 v[16:17], v16, -1
	v_add_u32_e32 v27, 19, v20
	v_lshrrev_b64 v[34:35], v20, v[60:61]
	v_not_b32_e32 v17, v17
	v_not_b32_e32 v16, v16
	v_lshlrev_b64 v[32:33], v27, 1
	v_lshrrev_b32_e32 v27, 23, v34
	v_and_b32_e32 v17, 0, v17
	v_and_b32_e32 v16, v60, v16
	v_add3_u32 v31, v20, v30, v27
	v_bfe_u32 v20, v34, 20, 1
	v_add_u32_e32 v20, -1, v20
	v_cmp_eq_u64_e32 vcc, v[16:17], v[32:33]
	v_cndmask_b32_e32 v16, 0, v20, vcc
	v_add_u32_e32 v16, v16, v34
	v_and_b32_e32 v16, 0xfffff, v16
	v_add_co_u32_e32 v16, vcc, v16, v34
	v_add_u32_e32 v30, 6, v31
	v_addc_co_u32_e32 v17, vcc, 0, v35, vcc
	v_cmp_ne_u32_e32 vcc, 0, v30
                                        ; implicit-def: $vgpr27
	s_and_saveexec_b64 s[28:29], vcc
	s_xor_b64 s[28:29], exec, s[28:29]
; %bb.2224:                             ;   in Loop: Header=BB2_1872 Depth=3
	v_add_u32_e32 v20, 7, v31
	v_cmp_lt_u64_e32 vcc, s[58:59], v[16:17]
	v_cndmask_b32_e32 v27, v30, v20, vcc
	v_cndmask_b32_e64 v20, 0, 1, vcc
	v_lshrrev_b64 v[16:17], v20, v[16:17]
; %bb.2225:                             ;   in Loop: Header=BB2_1872 Depth=3
	s_andn2_saveexec_b64 s[28:29], s[28:29]
; %bb.2226:                             ;   in Loop: Header=BB2_1872 Depth=3
	v_bfe_u32 v27, v16, 23, 1
; %bb.2227:                             ;   in Loop: Header=BB2_1872 Depth=3
	s_or_b64 exec, exec, s[28:29]
	v_lshrrev_b64 v[16:17], 20, v[16:17]
	v_cmp_gt_i32_e32 vcc, 16, v27
	v_cndmask_b32_e32 v17, 0, v17, vcc
	v_cndmask_b32_e32 v16, 7, v16, vcc
	v_cmp_eq_u64_e64 s[28:29], 0, v[16:17]
	v_min_i32_e32 v17, 15, v27
	v_lshlrev_b32_e32 v17, 3, v17
	v_cmp_eq_u32_e32 vcc, 0, v27
	v_and_b32_e32 v17, 0xf8, v17
	v_and_or_b32 v16, v16, 7, v17
	s_and_b64 s[28:29], vcc, s[28:29]
	v_cndmask_b32_e64 v16, v16, 0, s[28:29]
	v_or_b32_e32 v55, v16, v1
	v_mov_b32_e32 v35, v38
.LBB2_2228:                             ;   in Loop: Header=BB2_1872 Depth=3
	s_or_b64 exec, exec, s[68:69]
.LBB2_2229:                             ;   in Loop: Header=BB2_1872 Depth=3
	s_or_b64 exec, exec, s[66:67]
                                        ; implicit-def: $vgpr16
.LBB2_2230:                             ;   in Loop: Header=BB2_1872 Depth=3
	s_andn2_saveexec_b64 s[28:29], s[36:37]
; %bb.2231:                             ;   in Loop: Header=BB2_1872 Depth=3
	v_or_b32_sdwa v1, v16, s92 dst_sel:DWORD dst_unused:UNUSED_PAD src0_sel:BYTE_3 src1_sel:DWORD
	v_cmp_eq_u64_e32 vcc, 0, v[60:61]
	v_cndmask_b32_e32 v55, v1, v55, vcc
; %bb.2232:                             ;   in Loop: Header=BB2_1872 Depth=3
	s_or_b64 exec, exec, s[28:29]
	v_cmp_lt_u64_e32 vcc, s[44:45], v[22:23]
	v_mov_b32_e32 v1, 0
	v_mov_b32_e32 v17, 0
	s_and_saveexec_b64 s[28:29], vcc
	s_cbranch_execz .LBB2_2238
; %bb.2233:                             ;   in Loop: Header=BB2_1872 Depth=3
	v_lshrrev_b32_e32 v16, 24, v23
	v_cmp_ne_u32_e32 vcc, s91, v16
	v_bfrev_b32_e32 v17, 1
	s_and_saveexec_b64 s[36:37], vcc
	s_cbranch_execz .LBB2_2237
; %bb.2234:                             ;   in Loop: Header=BB2_1872 Depth=3
	v_bfe_u32 v22, v23, 24, 7
	v_cmp_ne_u32_e32 vcc, s92, v22
	v_mov_b32_e32 v17, 0x7f800001
	s_and_saveexec_b64 s[66:67], vcc
	s_cbranch_execz .LBB2_2236
; %bb.2235:                             ;   in Loop: Header=BB2_1872 Depth=3
	v_and_b32_e32 v17, 7, v16
	v_ffbh_u32_e32 v23, v17
	v_min_u32_e32 v23, 32, v23
	v_subrev_u32_e32 v27, 28, v23
	v_lshlrev_b64 v[30:31], v27, v[16:17]
	v_lshrrev_b32_e32 v20, 3, v22
	v_sub_u32_e32 v23, 29, v23
	v_and_b32_e32 v27, 7, v30
	v_cmp_gt_u32_e32 vcc, 8, v22
	v_cndmask_b32_e32 v20, v20, v23, vcc
	v_cndmask_b32_e32 v17, v17, v27, vcc
	v_lshlrev_b32_e32 v16, 24, v16
	v_lshlrev_b32_e32 v17, 20, v17
	v_and_b32_e32 v16, 0x80000000, v16
	v_lshl_add_u32 v20, v20, 23, v0
	v_or3_b32 v17, v16, v20, v17
.LBB2_2236:                             ;   in Loop: Header=BB2_1872 Depth=3
	s_or_b64 exec, exec, s[66:67]
.LBB2_2237:                             ;   in Loop: Header=BB2_1872 Depth=3
	s_or_b64 exec, exec, s[36:37]
.LBB2_2238:                             ;   in Loop: Header=BB2_1872 Depth=3
	s_or_b64 exec, exec, s[28:29]
	v_cmp_lt_u64_e32 vcc, s[44:45], v[18:19]
	s_and_saveexec_b64 s[28:29], vcc
	s_cbranch_execz .LBB2_2244
; %bb.2239:                             ;   in Loop: Header=BB2_1872 Depth=3
	v_lshrrev_b32_e32 v16, 24, v19
	v_cmp_ne_u32_e32 vcc, s91, v16
	v_bfrev_b32_e32 v1, 1
	s_and_saveexec_b64 s[36:37], vcc
	s_cbranch_execz .LBB2_2243
; %bb.2240:                             ;   in Loop: Header=BB2_1872 Depth=3
	v_bfe_u32 v18, v19, 24, 7
	v_cmp_ne_u32_e32 vcc, s92, v18
	v_mov_b32_e32 v1, 0x7f800001
	s_and_saveexec_b64 s[66:67], vcc
	s_cbranch_execz .LBB2_2242
; %bb.2241:                             ;   in Loop: Header=BB2_1872 Depth=3
	v_and_b32_e32 v1, 7, v16
	v_ffbh_u32_e32 v20, v1
	v_min_u32_e32 v20, 32, v20
	v_subrev_u32_e32 v22, 28, v20
	v_lshlrev_b64 v[22:23], v22, v[16:17]
	v_lshrrev_b32_e32 v19, 3, v18
	v_sub_u32_e32 v20, 29, v20
	v_and_b32_e32 v22, 7, v22
	v_cmp_gt_u32_e32 vcc, 8, v18
	v_cndmask_b32_e32 v18, v19, v20, vcc
	v_cndmask_b32_e32 v1, v1, v22, vcc
	v_lshlrev_b32_e32 v16, 24, v16
	v_lshlrev_b32_e32 v1, 20, v1
	v_and_b32_e32 v16, 0x80000000, v16
	v_lshl_add_u32 v18, v18, 23, v0
	v_or3_b32 v1, v16, v18, v1
.LBB2_2242:                             ;   in Loop: Header=BB2_1872 Depth=3
	s_or_b64 exec, exec, s[66:67]
.LBB2_2243:                             ;   in Loop: Header=BB2_1872 Depth=3
	s_or_b64 exec, exec, s[36:37]
.LBB2_2244:                             ;   in Loop: Header=BB2_1872 Depth=3
	s_or_b64 exec, exec, s[28:29]
	v_add_f32_e32 v16, v17, v1
	v_and_b32_sdwa v1, v16, s91 dst_sel:DWORD dst_unused:UNUSED_PAD src0_sel:BYTE_3 src1_sel:DWORD
	v_and_b32_e32 v22, 0x7f800000, v16
	v_mov_b32_e32 v23, v61
	v_and_b32_e32 v60, 0x7fffff, v16
	v_or_b32_e32 v19, 0x7e, v1
	v_cmp_ne_u64_e32 vcc, s[54:55], v[22:23]
	s_and_saveexec_b64 s[28:29], vcc
	s_xor_b64 s[36:37], exec, s[28:29]
	s_cbranch_execz .LBB2_2254
; %bb.2245:                             ;   in Loop: Header=BB2_1872 Depth=3
	v_and_b32_e32 v22, 0x7fffffff, v16
	v_mov_b32_e32 v23, v61
	v_cmp_gt_u64_e32 vcc, s[56:57], v[22:23]
	s_and_saveexec_b64 s[66:67], vcc
	s_cbranch_execz .LBB2_2253
; %bb.2246:                             ;   in Loop: Header=BB2_1872 Depth=3
	v_cmp_ne_u32_e32 vcc, 0, v16
	v_mov_b32_e32 v19, 0
	s_and_saveexec_b64 s[68:69], vcc
	s_cbranch_execz .LBB2_2252
; %bb.2247:                             ;   in Loop: Header=BB2_1872 Depth=3
	v_bfe_u32 v16, v16, 23, 8
	v_sub_u32_e32 v18, 0x79, v16
	v_cmp_gt_u32_e32 vcc, s93, v16
	v_add_u32_e32 v17, 0xffffff81, v16
	v_cndmask_b32_e32 v18, 0, v18, vcc
	v_cmp_eq_u32_e32 vcc, 0, v16
	v_mov_b32_e32 v16, 0xffffff82
	v_cndmask_b32_e32 v20, v17, v16, vcc
	v_mov_b32_e32 v16, 0x78
	v_or_b32_e32 v19, 0x800000, v60
	v_cndmask_b32_e32 v18, v18, v16, vcc
	v_cndmask_b32_e32 v60, v19, v60, vcc
	v_add_u32_e32 v16, 20, v18
	v_lshlrev_b64 v[16:17], v16, -1
	v_add_u32_e32 v19, 19, v18
	v_lshrrev_b64 v[32:33], v18, v[60:61]
	v_not_b32_e32 v17, v17
	v_not_b32_e32 v16, v16
	v_lshlrev_b64 v[30:31], v19, 1
	v_lshrrev_b32_e32 v19, 23, v32
	v_and_b32_e32 v17, 0, v17
	v_and_b32_e32 v16, v60, v16
	v_add3_u32 v22, v18, v20, v19
	v_bfe_u32 v18, v32, 20, 1
	v_add_u32_e32 v18, -1, v18
	v_cmp_eq_u64_e32 vcc, v[16:17], v[30:31]
	v_cndmask_b32_e32 v16, 0, v18, vcc
	v_add_u32_e32 v16, v16, v32
	v_and_b32_e32 v16, 0xfffff, v16
	v_add_co_u32_e32 v16, vcc, v16, v32
	v_add_u32_e32 v19, 6, v22
	v_addc_co_u32_e32 v17, vcc, 0, v33, vcc
	v_cmp_ne_u32_e32 vcc, 0, v19
                                        ; implicit-def: $vgpr18
	s_and_saveexec_b64 s[28:29], vcc
	s_xor_b64 s[28:29], exec, s[28:29]
; %bb.2248:                             ;   in Loop: Header=BB2_1872 Depth=3
	v_add_u32_e32 v18, 7, v22
	v_cmp_lt_u64_e32 vcc, s[58:59], v[16:17]
	v_cndmask_b32_e32 v18, v19, v18, vcc
	v_cndmask_b32_e64 v19, 0, 1, vcc
	v_lshrrev_b64 v[16:17], v19, v[16:17]
; %bb.2249:                             ;   in Loop: Header=BB2_1872 Depth=3
	s_andn2_saveexec_b64 s[28:29], s[28:29]
; %bb.2250:                             ;   in Loop: Header=BB2_1872 Depth=3
	v_bfe_u32 v18, v16, 23, 1
; %bb.2251:                             ;   in Loop: Header=BB2_1872 Depth=3
	s_or_b64 exec, exec, s[28:29]
	v_lshrrev_b64 v[16:17], 20, v[16:17]
	v_cmp_gt_i32_e32 vcc, 16, v18
	v_cndmask_b32_e32 v17, 0, v17, vcc
	v_cndmask_b32_e32 v16, 7, v16, vcc
	v_cmp_eq_u64_e64 s[28:29], 0, v[16:17]
	v_min_i32_e32 v17, 15, v18
	v_lshlrev_b32_e32 v17, 3, v17
	v_cmp_eq_u32_e32 vcc, 0, v18
	v_and_b32_e32 v17, 0xf8, v17
	v_and_or_b32 v16, v16, 7, v17
	s_and_b64 s[28:29], vcc, s[28:29]
	v_cndmask_b32_e64 v16, v16, 0, s[28:29]
	v_or_b32_e32 v19, v16, v1
.LBB2_2252:                             ;   in Loop: Header=BB2_1872 Depth=3
	s_or_b64 exec, exec, s[68:69]
.LBB2_2253:                             ;   in Loop: Header=BB2_1872 Depth=3
	s_or_b64 exec, exec, s[66:67]
                                        ; implicit-def: $vgpr16
.LBB2_2254:                             ;   in Loop: Header=BB2_1872 Depth=3
	s_andn2_saveexec_b64 s[28:29], s[36:37]
; %bb.2255:                             ;   in Loop: Header=BB2_1872 Depth=3
	v_or_b32_sdwa v1, v16, s92 dst_sel:DWORD dst_unused:UNUSED_PAD src0_sel:BYTE_3 src1_sel:DWORD
	v_cmp_eq_u64_e32 vcc, 0, v[60:61]
	v_cndmask_b32_e32 v19, v1, v19, vcc
; %bb.2256:                             ;   in Loop: Header=BB2_1872 Depth=3
	s_or_b64 exec, exec, s[28:29]
	v_cmp_ne_u16_sdwa vcc, v12, v61 src0_sel:BYTE_0 src1_sel:DWORD
	v_mov_b32_e32 v1, 0
	v_mov_b32_e32 v16, 0
	s_and_saveexec_b64 s[28:29], vcc
	s_cbranch_execz .LBB2_2262
; %bb.2257:                             ;   in Loop: Header=BB2_1872 Depth=3
	v_cmp_ne_u16_sdwa vcc, v12, s91 src0_sel:BYTE_0 src1_sel:DWORD
	v_bfrev_b32_e32 v16, 1
	s_and_saveexec_b64 s[36:37], vcc
	s_cbranch_execz .LBB2_2261
; %bb.2258:                             ;   in Loop: Header=BB2_1872 Depth=3
	v_and_b32_e32 v17, 0x7f, v12
	v_cmp_ne_u32_e32 vcc, s92, v17
	v_mov_b32_e32 v16, 0x7f800001
	s_and_saveexec_b64 s[66:67], vcc
	s_cbranch_execz .LBB2_2260
; %bb.2259:                             ;   in Loop: Header=BB2_1872 Depth=3
	v_and_b32_e32 v16, 7, v12
	v_ffbh_u32_e32 v16, v16
	v_min_u32_e32 v16, 32, v16
	v_lshrrev_b32_e32 v18, 3, v17
	v_subrev_u32_e32 v20, 28, v16
	v_sub_u32_e32 v16, 29, v16
	v_cmp_gt_u32_e32 vcc, 8, v17
	v_cndmask_b32_e32 v18, v18, v16, vcc
	v_cndmask_b32_e32 v16, 0, v20, vcc
	v_lshlrev_b64 v[16:17], v16, v[12:13]
	v_lshlrev_b32_e32 v16, 20, v16
	v_lshlrev_b32_e32 v17, 24, v12
	v_and_b32_e32 v16, 0x700000, v16
	v_and_b32_e32 v17, 0x80000000, v17
	v_lshl_add_u32 v18, v18, 23, v0
	v_or3_b32 v16, v17, v18, v16
.LBB2_2260:                             ;   in Loop: Header=BB2_1872 Depth=3
	s_or_b64 exec, exec, s[66:67]
.LBB2_2261:                             ;   in Loop: Header=BB2_1872 Depth=3
	s_or_b64 exec, exec, s[36:37]
.LBB2_2262:                             ;   in Loop: Header=BB2_1872 Depth=3
	s_or_b64 exec, exec, s[28:29]
	s_waitcnt vmcnt(1)
	v_cmp_ne_u16_sdwa vcc, v8, v61 src0_sel:BYTE_0 src1_sel:DWORD
	s_and_saveexec_b64 s[28:29], vcc
	s_cbranch_execz .LBB2_2268
; %bb.2263:                             ;   in Loop: Header=BB2_1872 Depth=3
	v_cmp_ne_u16_sdwa vcc, v8, s91 src0_sel:BYTE_0 src1_sel:DWORD
	v_bfrev_b32_e32 v1, 1
	s_and_saveexec_b64 s[36:37], vcc
	s_cbranch_execz .LBB2_2267
; %bb.2264:                             ;   in Loop: Header=BB2_1872 Depth=3
	v_and_b32_e32 v17, 0x7f, v8
	v_cmp_ne_u32_e32 vcc, s92, v17
	v_mov_b32_e32 v1, 0x7f800001
	s_and_saveexec_b64 s[66:67], vcc
	s_cbranch_execz .LBB2_2266
; %bb.2265:                             ;   in Loop: Header=BB2_1872 Depth=3
	v_and_b32_e32 v1, 7, v8
	v_ffbh_u32_e32 v1, v1
	v_min_u32_e32 v1, 32, v1
	v_subrev_u32_e32 v20, 28, v1
	v_cmp_gt_u32_e32 vcc, 8, v17
	v_lshrrev_b32_e32 v18, 3, v17
	v_cndmask_b32_e32 v17, 0, v20, vcc
	v_sub_u32_e32 v1, 29, v1
	v_lshlrev_b64 v[22:23], v17, v[8:9]
	v_cndmask_b32_e32 v1, v18, v1, vcc
	v_lshlrev_b32_e32 v17, 20, v22
	v_lshlrev_b32_e32 v18, 24, v8
	v_and_b32_e32 v17, 0x700000, v17
	v_and_b32_e32 v18, 0x80000000, v18
	v_lshl_add_u32 v1, v1, 23, v0
	v_or3_b32 v1, v18, v1, v17
.LBB2_2266:                             ;   in Loop: Header=BB2_1872 Depth=3
	s_or_b64 exec, exec, s[66:67]
.LBB2_2267:                             ;   in Loop: Header=BB2_1872 Depth=3
	s_or_b64 exec, exec, s[36:37]
.LBB2_2268:                             ;   in Loop: Header=BB2_1872 Depth=3
	s_or_b64 exec, exec, s[28:29]
	v_add_f32_e32 v16, v16, v1
	v_and_b32_sdwa v1, v16, s91 dst_sel:DWORD dst_unused:UNUSED_PAD src0_sel:BYTE_3 src1_sel:DWORD
	v_and_b32_e32 v22, 0x7f800000, v16
	v_mov_b32_e32 v23, v61
	v_and_b32_e32 v60, 0x7fffff, v16
	v_or_b32_e32 v56, 0x7e, v1
	v_cmp_ne_u64_e32 vcc, s[54:55], v[22:23]
	s_and_saveexec_b64 s[28:29], vcc
	s_xor_b64 s[36:37], exec, s[28:29]
	s_cbranch_execz .LBB2_2278
; %bb.2269:                             ;   in Loop: Header=BB2_1872 Depth=3
	v_and_b32_e32 v22, 0x7fffffff, v16
	v_mov_b32_e32 v23, v61
	v_cmp_gt_u64_e32 vcc, s[56:57], v[22:23]
	s_and_saveexec_b64 s[66:67], vcc
	s_cbranch_execz .LBB2_2277
; %bb.2270:                             ;   in Loop: Header=BB2_1872 Depth=3
	v_cmp_ne_u32_e32 vcc, 0, v16
	v_mov_b32_e32 v56, 0
	s_and_saveexec_b64 s[68:69], vcc
	s_cbranch_execz .LBB2_2276
; %bb.2271:                             ;   in Loop: Header=BB2_1872 Depth=3
	v_bfe_u32 v16, v16, 23, 8
	v_sub_u32_e32 v18, 0x79, v16
	v_cmp_gt_u32_e32 vcc, s93, v16
	v_add_u32_e32 v17, 0xffffff81, v16
	v_cndmask_b32_e32 v18, 0, v18, vcc
	v_cmp_eq_u32_e32 vcc, 0, v16
	v_mov_b32_e32 v16, 0xffffff82
	v_cndmask_b32_e32 v22, v17, v16, vcc
	v_mov_b32_e32 v16, 0x78
	v_or_b32_e32 v20, 0x800000, v60
	v_cndmask_b32_e32 v18, v18, v16, vcc
	v_cndmask_b32_e32 v60, v20, v60, vcc
	v_add_u32_e32 v16, 20, v18
	v_lshlrev_b64 v[16:17], v16, -1
	v_add_u32_e32 v20, 19, v18
	v_lshrrev_b64 v[32:33], v18, v[60:61]
	v_not_b32_e32 v17, v17
	v_not_b32_e32 v16, v16
	v_lshlrev_b64 v[30:31], v20, 1
	v_lshrrev_b32_e32 v20, 23, v32
	v_and_b32_e32 v17, 0, v17
	v_and_b32_e32 v16, v60, v16
	v_add3_u32 v23, v18, v22, v20
	v_bfe_u32 v18, v32, 20, 1
	v_add_u32_e32 v18, -1, v18
	v_cmp_eq_u64_e32 vcc, v[16:17], v[30:31]
	v_cndmask_b32_e32 v16, 0, v18, vcc
	v_add_u32_e32 v16, v16, v32
	v_and_b32_e32 v16, 0xfffff, v16
	v_add_co_u32_e32 v16, vcc, v16, v32
	v_add_u32_e32 v22, 6, v23
	v_addc_co_u32_e32 v17, vcc, 0, v33, vcc
	v_cmp_ne_u32_e32 vcc, 0, v22
                                        ; implicit-def: $vgpr18
	s_and_saveexec_b64 s[28:29], vcc
	s_xor_b64 s[28:29], exec, s[28:29]
; %bb.2272:                             ;   in Loop: Header=BB2_1872 Depth=3
	v_cmp_lt_u64_e32 vcc, s[58:59], v[16:17]
	v_add_u32_e32 v18, 7, v23
	v_cndmask_b32_e64 v20, 0, 1, vcc
	v_cndmask_b32_e32 v18, v22, v18, vcc
	v_lshrrev_b64 v[16:17], v20, v[16:17]
; %bb.2273:                             ;   in Loop: Header=BB2_1872 Depth=3
	s_andn2_saveexec_b64 s[28:29], s[28:29]
; %bb.2274:                             ;   in Loop: Header=BB2_1872 Depth=3
	v_bfe_u32 v18, v16, 23, 1
; %bb.2275:                             ;   in Loop: Header=BB2_1872 Depth=3
	s_or_b64 exec, exec, s[28:29]
	v_lshrrev_b64 v[16:17], 20, v[16:17]
	v_cmp_gt_i32_e32 vcc, 16, v18
	v_cndmask_b32_e32 v17, 0, v17, vcc
	v_cndmask_b32_e32 v16, 7, v16, vcc
	v_cmp_eq_u64_e64 s[28:29], 0, v[16:17]
	v_min_i32_e32 v17, 15, v18
	v_cmp_eq_u32_e32 vcc, 0, v18
	v_lshlrev_b32_e32 v17, 3, v17
	v_and_or_b32 v16, v16, 7, v17
	s_and_b64 s[28:29], vcc, s[28:29]
	v_cndmask_b32_e64 v16, v16, 0, s[28:29]
	v_or_b32_e32 v56, v16, v1
.LBB2_2276:                             ;   in Loop: Header=BB2_1872 Depth=3
	s_or_b64 exec, exec, s[68:69]
.LBB2_2277:                             ;   in Loop: Header=BB2_1872 Depth=3
	s_or_b64 exec, exec, s[66:67]
                                        ; implicit-def: $vgpr16
.LBB2_2278:                             ;   in Loop: Header=BB2_1872 Depth=3
	s_andn2_saveexec_b64 s[28:29], s[36:37]
; %bb.2279:                             ;   in Loop: Header=BB2_1872 Depth=3
	v_or_b32_sdwa v1, v16, s92 dst_sel:DWORD dst_unused:UNUSED_PAD src0_sel:BYTE_3 src1_sel:DWORD
	v_cmp_eq_u64_e32 vcc, 0, v[60:61]
	v_cndmask_b32_e32 v56, v1, v56, vcc
; %bb.2280:                             ;   in Loop: Header=BB2_1872 Depth=3
	s_or_b64 exec, exec, s[28:29]
	v_lshrrev_b16_e32 v16, 8, v12
	v_cmp_ne_u16_e32 vcc, 0, v16
	v_mov_b32_e32 v1, 0
	v_mov_b32_e32 v17, 0
	s_and_saveexec_b64 s[28:29], vcc
	s_cbranch_execz .LBB2_2286
; %bb.2281:                             ;   in Loop: Header=BB2_1872 Depth=3
	v_cmp_ne_u16_e32 vcc, s91, v16
	v_bfrev_b32_e32 v17, 1
	s_and_saveexec_b64 s[36:37], vcc
	s_cbranch_execz .LBB2_2285
; %bb.2282:                             ;   in Loop: Header=BB2_1872 Depth=3
	v_and_b32_e32 v18, 0x7f, v16
	v_cmp_ne_u32_e32 vcc, s92, v18
	v_mov_b32_e32 v17, 0x7f800001
	s_and_saveexec_b64 s[66:67], vcc
	s_cbranch_execz .LBB2_2284
; %bb.2283:                             ;   in Loop: Header=BB2_1872 Depth=3
	v_and_b32_e32 v20, 7, v16
	v_ffbh_u32_e32 v17, v20
	v_min_u32_e32 v23, 32, v17
	v_subrev_u32_e32 v17, 28, v23
	v_lshlrev_b64 v[16:17], v17, v[16:17]
	v_lshrrev_b32_e32 v22, 3, v18
	v_sub_u32_e32 v17, 29, v23
	v_and_b32_e32 v16, 7, v16
	v_cmp_gt_u32_e32 vcc, 8, v18
	v_cndmask_b32_e32 v17, v22, v17, vcc
	v_cndmask_b32_e32 v16, v20, v16, vcc
	v_lshlrev_b32_e32 v18, 16, v12
	v_lshlrev_b32_e32 v16, 20, v16
	v_and_b32_e32 v18, 0x80000000, v18
	v_lshl_add_u32 v17, v17, 23, v0
	v_or3_b32 v17, v18, v17, v16
.LBB2_2284:                             ;   in Loop: Header=BB2_1872 Depth=3
	s_or_b64 exec, exec, s[66:67]
.LBB2_2285:                             ;   in Loop: Header=BB2_1872 Depth=3
	s_or_b64 exec, exec, s[36:37]
.LBB2_2286:                             ;   in Loop: Header=BB2_1872 Depth=3
	s_or_b64 exec, exec, s[28:29]
	v_lshrrev_b16_e32 v16, 8, v8
	v_cmp_ne_u16_e32 vcc, 0, v16
	s_and_saveexec_b64 s[28:29], vcc
	s_cbranch_execz .LBB2_2292
; %bb.2287:                             ;   in Loop: Header=BB2_1872 Depth=3
	v_cmp_ne_u16_e32 vcc, s91, v16
	v_bfrev_b32_e32 v1, 1
	s_and_saveexec_b64 s[36:37], vcc
	s_cbranch_execz .LBB2_2291
; %bb.2288:                             ;   in Loop: Header=BB2_1872 Depth=3
	v_and_b32_e32 v18, 0x7f, v16
	v_cmp_ne_u32_e32 vcc, s92, v18
	v_mov_b32_e32 v1, 0x7f800001
	s_and_saveexec_b64 s[66:67], vcc
	s_cbranch_execz .LBB2_2290
; %bb.2289:                             ;   in Loop: Header=BB2_1872 Depth=3
	v_and_b32_e32 v1, 7, v16
	v_ffbh_u32_e32 v22, v1
	v_min_u32_e32 v27, 32, v22
	v_subrev_u32_e32 v22, 28, v27
	v_lshlrev_b64 v[22:23], v22, v[16:17]
	v_lshrrev_b32_e32 v20, 3, v18
	v_sub_u32_e32 v16, 29, v27
	v_and_b32_e32 v22, 7, v22
	v_cmp_gt_u32_e32 vcc, 8, v18
	v_cndmask_b32_e32 v16, v20, v16, vcc
	v_cndmask_b32_e32 v1, v1, v22, vcc
	v_lshlrev_b32_e32 v18, 16, v8
	v_lshlrev_b32_e32 v1, 20, v1
	v_and_b32_e32 v18, 0x80000000, v18
	v_lshl_add_u32 v16, v16, 23, v0
	v_or3_b32 v1, v18, v16, v1
.LBB2_2290:                             ;   in Loop: Header=BB2_1872 Depth=3
	s_or_b64 exec, exec, s[66:67]
.LBB2_2291:                             ;   in Loop: Header=BB2_1872 Depth=3
	s_or_b64 exec, exec, s[36:37]
.LBB2_2292:                             ;   in Loop: Header=BB2_1872 Depth=3
	s_or_b64 exec, exec, s[28:29]
	v_add_f32_e32 v16, v17, v1
	v_and_b32_sdwa v1, v16, s91 dst_sel:DWORD dst_unused:UNUSED_PAD src0_sel:BYTE_3 src1_sel:DWORD
	v_and_b32_e32 v22, 0x7f800000, v16
	v_mov_b32_e32 v23, v61
	v_and_b32_e32 v60, 0x7fffff, v16
	v_or_b32_e32 v46, 0x7e, v1
	v_cmp_ne_u64_e32 vcc, s[54:55], v[22:23]
	s_and_saveexec_b64 s[28:29], vcc
	s_xor_b64 s[36:37], exec, s[28:29]
	s_cbranch_execz .LBB2_2302
; %bb.2293:                             ;   in Loop: Header=BB2_1872 Depth=3
	v_and_b32_e32 v22, 0x7fffffff, v16
	v_mov_b32_e32 v23, v61
	v_cmp_gt_u64_e32 vcc, s[56:57], v[22:23]
	s_and_saveexec_b64 s[66:67], vcc
	s_cbranch_execz .LBB2_2301
; %bb.2294:                             ;   in Loop: Header=BB2_1872 Depth=3
	v_cmp_ne_u32_e32 vcc, 0, v16
	v_mov_b32_e32 v46, 0
	s_and_saveexec_b64 s[68:69], vcc
	s_cbranch_execz .LBB2_2300
; %bb.2295:                             ;   in Loop: Header=BB2_1872 Depth=3
	v_bfe_u32 v16, v16, 23, 8
	v_sub_u32_e32 v18, 0x79, v16
	v_cmp_gt_u32_e32 vcc, s93, v16
	v_add_u32_e32 v17, 0xffffff81, v16
	v_cndmask_b32_e32 v18, 0, v18, vcc
	v_cmp_eq_u32_e32 vcc, 0, v16
	v_mov_b32_e32 v16, 0xffffff82
	v_cndmask_b32_e32 v22, v17, v16, vcc
	v_mov_b32_e32 v16, 0x78
	v_or_b32_e32 v20, 0x800000, v60
	v_cndmask_b32_e32 v18, v18, v16, vcc
	v_cndmask_b32_e32 v60, v20, v60, vcc
	v_add_u32_e32 v16, 20, v18
	v_lshlrev_b64 v[16:17], v16, -1
	v_add_u32_e32 v20, 19, v18
	v_lshrrev_b64 v[32:33], v18, v[60:61]
	v_not_b32_e32 v17, v17
	v_not_b32_e32 v16, v16
	v_lshlrev_b64 v[30:31], v20, 1
	v_lshrrev_b32_e32 v20, 23, v32
	v_and_b32_e32 v17, 0, v17
	v_and_b32_e32 v16, v60, v16
	v_add3_u32 v27, v18, v22, v20
	v_bfe_u32 v18, v32, 20, 1
	v_add_u32_e32 v18, -1, v18
	v_cmp_eq_u64_e32 vcc, v[16:17], v[30:31]
	v_cndmask_b32_e32 v16, 0, v18, vcc
	v_add_u32_e32 v16, v16, v32
	v_and_b32_e32 v16, 0xfffff, v16
	v_add_co_u32_e32 v16, vcc, v16, v32
	v_add_u32_e32 v23, 6, v27
	v_addc_co_u32_e32 v17, vcc, 0, v33, vcc
	v_cmp_ne_u32_e32 vcc, 0, v23
                                        ; implicit-def: $vgpr18
	s_and_saveexec_b64 s[28:29], vcc
	s_xor_b64 s[28:29], exec, s[28:29]
; %bb.2296:                             ;   in Loop: Header=BB2_1872 Depth=3
	v_cmp_lt_u64_e32 vcc, s[58:59], v[16:17]
	v_add_u32_e32 v18, 7, v27
	v_cndmask_b32_e64 v20, 0, 1, vcc
	v_cndmask_b32_e32 v18, v23, v18, vcc
	v_lshrrev_b64 v[16:17], v20, v[16:17]
; %bb.2297:                             ;   in Loop: Header=BB2_1872 Depth=3
	s_andn2_saveexec_b64 s[28:29], s[28:29]
; %bb.2298:                             ;   in Loop: Header=BB2_1872 Depth=3
	v_bfe_u32 v18, v16, 23, 1
; %bb.2299:                             ;   in Loop: Header=BB2_1872 Depth=3
	s_or_b64 exec, exec, s[28:29]
	v_lshrrev_b64 v[16:17], 20, v[16:17]
	v_cmp_gt_i32_e32 vcc, 16, v18
	v_cndmask_b32_e32 v17, 0, v17, vcc
	v_cndmask_b32_e32 v16, 7, v16, vcc
	v_cmp_eq_u64_e64 s[28:29], 0, v[16:17]
	v_min_i32_e32 v17, 15, v18
	v_cmp_eq_u32_e32 vcc, 0, v18
	v_lshlrev_b32_e32 v17, 3, v17
	v_and_or_b32 v16, v16, 7, v17
	s_and_b64 s[28:29], vcc, s[28:29]
	v_cndmask_b32_e64 v16, v16, 0, s[28:29]
	v_or_b32_e32 v46, v16, v1
.LBB2_2300:                             ;   in Loop: Header=BB2_1872 Depth=3
	s_or_b64 exec, exec, s[68:69]
.LBB2_2301:                             ;   in Loop: Header=BB2_1872 Depth=3
	s_or_b64 exec, exec, s[66:67]
                                        ; implicit-def: $vgpr16
.LBB2_2302:                             ;   in Loop: Header=BB2_1872 Depth=3
	s_andn2_saveexec_b64 s[28:29], s[36:37]
; %bb.2303:                             ;   in Loop: Header=BB2_1872 Depth=3
	v_or_b32_sdwa v1, v16, s92 dst_sel:DWORD dst_unused:UNUSED_PAD src0_sel:BYTE_3 src1_sel:DWORD
	v_cmp_eq_u64_e32 vcc, 0, v[60:61]
	v_cndmask_b32_e32 v46, v1, v46, vcc
; %bb.2304:                             ;   in Loop: Header=BB2_1872 Depth=3
	s_or_b64 exec, exec, s[28:29]
	v_lshrrev_b32_e32 v16, 16, v12
	v_cmp_ne_u16_sdwa vcc, v16, v61 src0_sel:BYTE_0 src1_sel:DWORD
	v_mov_b32_e32 v1, 0
	v_mov_b32_e32 v17, 0
	s_and_saveexec_b64 s[28:29], vcc
	s_cbranch_execz .LBB2_2310
; %bb.2305:                             ;   in Loop: Header=BB2_1872 Depth=3
	v_cmp_ne_u16_sdwa vcc, v16, s91 src0_sel:BYTE_0 src1_sel:DWORD
	v_bfrev_b32_e32 v17, 1
	s_and_saveexec_b64 s[36:37], vcc
	s_cbranch_execz .LBB2_2309
; %bb.2306:                             ;   in Loop: Header=BB2_1872 Depth=3
	v_bfe_u32 v18, v12, 16, 7
	v_cmp_ne_u32_e32 vcc, s92, v18
	v_mov_b32_e32 v17, 0x7f800001
	s_and_saveexec_b64 s[66:67], vcc
	s_cbranch_execz .LBB2_2308
; %bb.2307:                             ;   in Loop: Header=BB2_1872 Depth=3
	v_and_b32_e32 v17, 7, v16
	v_ffbh_u32_e32 v22, v17
	v_min_u32_e32 v27, 32, v22
	v_subrev_u32_e32 v22, 28, v27
	v_lshlrev_b64 v[22:23], v22, v[16:17]
	v_lshrrev_b32_e32 v20, 3, v18
	v_sub_u32_e32 v23, 29, v27
	v_and_b32_e32 v22, 7, v22
	v_cmp_gt_u32_e32 vcc, 8, v18
	v_cndmask_b32_e32 v18, v20, v23, vcc
	v_cndmask_b32_e32 v17, v17, v22, vcc
	v_lshlrev_b32_e32 v16, 24, v16
	v_lshlrev_b32_e32 v17, 20, v17
	v_and_b32_e32 v16, 0x80000000, v16
	v_lshl_add_u32 v18, v18, 23, v0
	v_or3_b32 v17, v16, v18, v17
.LBB2_2308:                             ;   in Loop: Header=BB2_1872 Depth=3
	s_or_b64 exec, exec, s[66:67]
.LBB2_2309:                             ;   in Loop: Header=BB2_1872 Depth=3
	s_or_b64 exec, exec, s[36:37]
.LBB2_2310:                             ;   in Loop: Header=BB2_1872 Depth=3
	s_or_b64 exec, exec, s[28:29]
	v_lshrrev_b32_e32 v16, 16, v8
	v_cmp_ne_u16_sdwa vcc, v16, v61 src0_sel:BYTE_0 src1_sel:DWORD
	s_and_saveexec_b64 s[28:29], vcc
	s_cbranch_execz .LBB2_2316
; %bb.2311:                             ;   in Loop: Header=BB2_1872 Depth=3
	v_cmp_ne_u16_sdwa vcc, v16, s91 src0_sel:BYTE_0 src1_sel:DWORD
	v_bfrev_b32_e32 v1, 1
	s_and_saveexec_b64 s[36:37], vcc
	s_cbranch_execz .LBB2_2315
; %bb.2312:                             ;   in Loop: Header=BB2_1872 Depth=3
	v_bfe_u32 v18, v8, 16, 7
	v_cmp_ne_u32_e32 vcc, s92, v18
	v_mov_b32_e32 v1, 0x7f800001
	s_and_saveexec_b64 s[66:67], vcc
	s_cbranch_execz .LBB2_2314
; %bb.2313:                             ;   in Loop: Header=BB2_1872 Depth=3
	v_and_b32_e32 v1, 7, v16
	v_ffbh_u32_e32 v22, v1
	v_min_u32_e32 v27, 32, v22
	v_subrev_u32_e32 v22, 28, v27
	v_lshlrev_b64 v[22:23], v22, v[16:17]
	v_lshrrev_b32_e32 v20, 3, v18
	v_sub_u32_e32 v16, 29, v27
	v_and_b32_e32 v22, 7, v22
	v_cmp_gt_u32_e32 vcc, 8, v18
	v_cndmask_b32_e32 v16, v20, v16, vcc
	v_cndmask_b32_e32 v1, v1, v22, vcc
	v_lshlrev_b32_e32 v18, 8, v8
	v_lshlrev_b32_e32 v1, 20, v1
	v_and_b32_e32 v18, 0x80000000, v18
	v_lshl_add_u32 v16, v16, 23, v0
	v_or3_b32 v1, v18, v16, v1
.LBB2_2314:                             ;   in Loop: Header=BB2_1872 Depth=3
	s_or_b64 exec, exec, s[66:67]
.LBB2_2315:                             ;   in Loop: Header=BB2_1872 Depth=3
	s_or_b64 exec, exec, s[36:37]
.LBB2_2316:                             ;   in Loop: Header=BB2_1872 Depth=3
	s_or_b64 exec, exec, s[28:29]
	v_add_f32_e32 v16, v17, v1
	v_and_b32_sdwa v1, v16, s91 dst_sel:DWORD dst_unused:UNUSED_PAD src0_sel:BYTE_3 src1_sel:DWORD
	v_and_b32_e32 v22, 0x7f800000, v16
	v_mov_b32_e32 v23, v61
	v_and_b32_e32 v60, 0x7fffff, v16
	v_or_b32_e32 v27, 0x7e, v1
	v_cmp_ne_u64_e32 vcc, s[54:55], v[22:23]
	s_and_saveexec_b64 s[28:29], vcc
	s_xor_b64 s[36:37], exec, s[28:29]
	s_cbranch_execz .LBB2_2326
; %bb.2317:                             ;   in Loop: Header=BB2_1872 Depth=3
	v_and_b32_e32 v22, 0x7fffffff, v16
	v_mov_b32_e32 v23, v61
	v_cmp_gt_u64_e32 vcc, s[56:57], v[22:23]
	s_and_saveexec_b64 s[66:67], vcc
	s_cbranch_execz .LBB2_2325
; %bb.2318:                             ;   in Loop: Header=BB2_1872 Depth=3
	v_cmp_ne_u32_e32 vcc, 0, v16
	v_mov_b32_e32 v27, 0
	s_and_saveexec_b64 s[68:69], vcc
	s_cbranch_execz .LBB2_2324
; %bb.2319:                             ;   in Loop: Header=BB2_1872 Depth=3
	v_bfe_u32 v16, v16, 23, 8
	v_sub_u32_e32 v18, 0x79, v16
	v_cmp_gt_u32_e32 vcc, s93, v16
	v_add_u32_e32 v17, 0xffffff81, v16
	v_cndmask_b32_e32 v18, 0, v18, vcc
	v_cmp_eq_u32_e32 vcc, 0, v16
	v_mov_b32_e32 v16, 0xffffff82
	v_cndmask_b32_e32 v27, v17, v16, vcc
	v_mov_b32_e32 v16, 0x78
	v_or_b32_e32 v20, 0x800000, v60
	v_cndmask_b32_e32 v18, v18, v16, vcc
	v_cndmask_b32_e32 v60, v20, v60, vcc
	v_add_u32_e32 v16, 20, v18
	v_lshlrev_b64 v[16:17], v16, -1
	v_add_u32_e32 v20, 19, v18
	v_lshrrev_b64 v[32:33], v18, v[60:61]
	v_not_b32_e32 v17, v17
	v_not_b32_e32 v16, v16
	v_lshlrev_b64 v[22:23], v20, 1
	v_lshrrev_b32_e32 v20, 23, v32
	v_and_b32_e32 v17, 0, v17
	v_and_b32_e32 v16, v60, v16
	v_add3_u32 v30, v18, v27, v20
	v_bfe_u32 v18, v32, 20, 1
	v_add_u32_e32 v18, -1, v18
	v_cmp_eq_u64_e32 vcc, v[16:17], v[22:23]
	v_cndmask_b32_e32 v16, 0, v18, vcc
	v_add_u32_e32 v16, v16, v32
	v_and_b32_e32 v16, 0xfffff, v16
	v_add_co_u32_e32 v16, vcc, v16, v32
	v_add_u32_e32 v27, 6, v30
	v_addc_co_u32_e32 v17, vcc, 0, v33, vcc
	v_cmp_ne_u32_e32 vcc, 0, v27
                                        ; implicit-def: $vgpr18
	s_and_saveexec_b64 s[28:29], vcc
	s_xor_b64 s[28:29], exec, s[28:29]
; %bb.2320:                             ;   in Loop: Header=BB2_1872 Depth=3
	v_cmp_lt_u64_e32 vcc, s[58:59], v[16:17]
	v_add_u32_e32 v18, 7, v30
	v_cndmask_b32_e64 v20, 0, 1, vcc
	v_cndmask_b32_e32 v18, v27, v18, vcc
	v_lshrrev_b64 v[16:17], v20, v[16:17]
; %bb.2321:                             ;   in Loop: Header=BB2_1872 Depth=3
	s_andn2_saveexec_b64 s[28:29], s[28:29]
; %bb.2322:                             ;   in Loop: Header=BB2_1872 Depth=3
	v_bfe_u32 v18, v16, 23, 1
; %bb.2323:                             ;   in Loop: Header=BB2_1872 Depth=3
	s_or_b64 exec, exec, s[28:29]
	v_lshrrev_b64 v[16:17], 20, v[16:17]
	v_cmp_gt_i32_e32 vcc, 16, v18
	v_cndmask_b32_e32 v17, 0, v17, vcc
	v_cndmask_b32_e32 v16, 7, v16, vcc
	v_cmp_eq_u64_e64 s[28:29], 0, v[16:17]
	v_min_i32_e32 v17, 15, v18
	v_cmp_eq_u32_e32 vcc, 0, v18
	v_lshlrev_b32_e32 v17, 3, v17
	v_and_or_b32 v16, v16, 7, v17
	s_and_b64 s[28:29], vcc, s[28:29]
	v_cndmask_b32_e64 v16, v16, 0, s[28:29]
	v_or_b32_e32 v27, v16, v1
.LBB2_2324:                             ;   in Loop: Header=BB2_1872 Depth=3
	s_or_b64 exec, exec, s[68:69]
.LBB2_2325:                             ;   in Loop: Header=BB2_1872 Depth=3
	s_or_b64 exec, exec, s[66:67]
                                        ; implicit-def: $vgpr16
.LBB2_2326:                             ;   in Loop: Header=BB2_1872 Depth=3
	s_andn2_saveexec_b64 s[28:29], s[36:37]
; %bb.2327:                             ;   in Loop: Header=BB2_1872 Depth=3
	v_or_b32_sdwa v1, v16, s92 dst_sel:DWORD dst_unused:UNUSED_PAD src0_sel:BYTE_3 src1_sel:DWORD
	v_cmp_eq_u64_e32 vcc, 0, v[60:61]
	v_cndmask_b32_e32 v27, v1, v27, vcc
; %bb.2328:                             ;   in Loop: Header=BB2_1872 Depth=3
	s_or_b64 exec, exec, s[28:29]
	v_cmp_lt_u32_e32 vcc, s45, v12
	v_mov_b32_e32 v1, 0
	v_mov_b32_e32 v17, 0
	s_and_saveexec_b64 s[28:29], vcc
	s_cbranch_execz .LBB2_2334
; %bb.2329:                             ;   in Loop: Header=BB2_1872 Depth=3
	v_lshrrev_b32_e32 v16, 24, v12
	v_cmp_ne_u32_e32 vcc, s91, v16
	v_bfrev_b32_e32 v17, 1
	s_and_saveexec_b64 s[36:37], vcc
	s_cbranch_execz .LBB2_2333
; %bb.2330:                             ;   in Loop: Header=BB2_1872 Depth=3
	v_bfe_u32 v18, v12, 24, 7
	v_cmp_ne_u32_e32 vcc, s92, v18
	v_mov_b32_e32 v17, 0x7f800001
	s_and_saveexec_b64 s[66:67], vcc
	s_cbranch_execz .LBB2_2332
; %bb.2331:                             ;   in Loop: Header=BB2_1872 Depth=3
	v_and_b32_e32 v17, 7, v16
	v_ffbh_u32_e32 v22, v17
	v_min_u32_e32 v30, 32, v22
	v_subrev_u32_e32 v22, 28, v30
	v_lshlrev_b64 v[22:23], v22, v[16:17]
	v_lshrrev_b32_e32 v20, 3, v18
	v_sub_u32_e32 v23, 29, v30
	v_and_b32_e32 v22, 7, v22
	v_cmp_gt_u32_e32 vcc, 8, v18
	v_cndmask_b32_e32 v18, v20, v23, vcc
	v_cndmask_b32_e32 v17, v17, v22, vcc
	v_lshlrev_b32_e32 v16, 24, v16
	v_lshlrev_b32_e32 v17, 20, v17
	v_and_b32_e32 v16, 0x80000000, v16
	v_lshl_add_u32 v18, v18, 23, v0
	v_or3_b32 v17, v16, v18, v17
.LBB2_2332:                             ;   in Loop: Header=BB2_1872 Depth=3
	s_or_b64 exec, exec, s[66:67]
.LBB2_2333:                             ;   in Loop: Header=BB2_1872 Depth=3
	s_or_b64 exec, exec, s[36:37]
.LBB2_2334:                             ;   in Loop: Header=BB2_1872 Depth=3
	s_or_b64 exec, exec, s[28:29]
	v_cmp_lt_u32_e32 vcc, s45, v8
	s_and_saveexec_b64 s[28:29], vcc
	s_cbranch_execz .LBB2_2340
; %bb.2335:                             ;   in Loop: Header=BB2_1872 Depth=3
	v_lshrrev_b32_e32 v16, 24, v8
	v_cmp_ne_u32_e32 vcc, s91, v16
	v_bfrev_b32_e32 v1, 1
	s_and_saveexec_b64 s[36:37], vcc
	s_cbranch_execz .LBB2_2339
; %bb.2336:                             ;   in Loop: Header=BB2_1872 Depth=3
	v_bfe_u32 v18, v8, 24, 7
	v_cmp_ne_u32_e32 vcc, s92, v18
	v_mov_b32_e32 v1, 0x7f800001
	s_and_saveexec_b64 s[66:67], vcc
	s_cbranch_execz .LBB2_2338
; %bb.2337:                             ;   in Loop: Header=BB2_1872 Depth=3
	v_and_b32_e32 v1, 7, v16
	v_ffbh_u32_e32 v22, v1
	v_min_u32_e32 v30, 32, v22
	v_subrev_u32_e32 v22, 28, v30
	v_lshlrev_b64 v[22:23], v22, v[16:17]
	v_lshrrev_b32_e32 v20, 3, v18
	v_sub_u32_e32 v23, 29, v30
	v_and_b32_e32 v22, 7, v22
	v_cmp_gt_u32_e32 vcc, 8, v18
	v_cndmask_b32_e32 v18, v20, v23, vcc
	v_cndmask_b32_e32 v1, v1, v22, vcc
	v_lshlrev_b32_e32 v16, 24, v16
	v_lshlrev_b32_e32 v1, 20, v1
	v_and_b32_e32 v16, 0x80000000, v16
	v_lshl_add_u32 v18, v18, 23, v0
	v_or3_b32 v1, v16, v18, v1
.LBB2_2338:                             ;   in Loop: Header=BB2_1872 Depth=3
	s_or_b64 exec, exec, s[66:67]
.LBB2_2339:                             ;   in Loop: Header=BB2_1872 Depth=3
	s_or_b64 exec, exec, s[36:37]
.LBB2_2340:                             ;   in Loop: Header=BB2_1872 Depth=3
	s_or_b64 exec, exec, s[28:29]
	v_add_f32_e32 v16, v17, v1
	v_and_b32_sdwa v1, v16, s91 dst_sel:DWORD dst_unused:UNUSED_PAD src0_sel:BYTE_3 src1_sel:DWORD
	v_and_b32_e32 v22, 0x7f800000, v16
	v_mov_b32_e32 v23, v61
	v_and_b32_e32 v60, 0x7fffff, v16
	v_or_b32_e32 v38, 0x7e, v1
	v_cmp_ne_u64_e32 vcc, s[54:55], v[22:23]
	s_and_saveexec_b64 s[28:29], vcc
	s_xor_b64 s[36:37], exec, s[28:29]
	s_cbranch_execz .LBB2_2350
; %bb.2341:                             ;   in Loop: Header=BB2_1872 Depth=3
	v_and_b32_e32 v22, 0x7fffffff, v16
	v_mov_b32_e32 v23, v61
	v_cmp_gt_u64_e32 vcc, s[56:57], v[22:23]
	s_and_saveexec_b64 s[66:67], vcc
	s_cbranch_execz .LBB2_2349
; %bb.2342:                             ;   in Loop: Header=BB2_1872 Depth=3
	v_cmp_ne_u32_e32 vcc, 0, v16
	v_mov_b32_e32 v38, 0
	s_and_saveexec_b64 s[68:69], vcc
	s_cbranch_execz .LBB2_2348
; %bb.2343:                             ;   in Loop: Header=BB2_1872 Depth=3
	v_bfe_u32 v16, v16, 23, 8
	v_sub_u32_e32 v18, 0x79, v16
	v_cmp_gt_u32_e32 vcc, s93, v16
	v_add_u32_e32 v17, 0xffffff81, v16
	v_cndmask_b32_e32 v18, 0, v18, vcc
	v_cmp_eq_u32_e32 vcc, 0, v16
	v_mov_b32_e32 v16, 0xffffff82
	v_cndmask_b32_e32 v30, v17, v16, vcc
	v_mov_b32_e32 v16, 0x78
	v_or_b32_e32 v20, 0x800000, v60
	v_cndmask_b32_e32 v18, v18, v16, vcc
	v_cndmask_b32_e32 v60, v20, v60, vcc
	v_add_u32_e32 v16, 20, v18
	v_lshlrev_b64 v[16:17], v16, -1
	v_add_u32_e32 v20, 19, v18
	v_lshrrev_b64 v[32:33], v18, v[60:61]
	v_not_b32_e32 v17, v17
	v_not_b32_e32 v16, v16
	v_lshlrev_b64 v[22:23], v20, 1
	v_lshrrev_b32_e32 v20, 23, v32
	v_and_b32_e32 v17, 0, v17
	v_and_b32_e32 v16, v60, v16
	v_add3_u32 v31, v18, v30, v20
	v_bfe_u32 v18, v32, 20, 1
	v_add_u32_e32 v18, -1, v18
	v_cmp_eq_u64_e32 vcc, v[16:17], v[22:23]
	v_cndmask_b32_e32 v16, 0, v18, vcc
	v_add_u32_e32 v16, v16, v32
	v_and_b32_e32 v16, 0xfffff, v16
	v_add_co_u32_e32 v16, vcc, v16, v32
	v_add_u32_e32 v30, 6, v31
	v_addc_co_u32_e32 v17, vcc, 0, v33, vcc
	v_cmp_ne_u32_e32 vcc, 0, v30
                                        ; implicit-def: $vgpr18
	s_and_saveexec_b64 s[28:29], vcc
	s_xor_b64 s[28:29], exec, s[28:29]
; %bb.2344:                             ;   in Loop: Header=BB2_1872 Depth=3
	v_cmp_lt_u64_e32 vcc, s[58:59], v[16:17]
	v_add_u32_e32 v18, 7, v31
	v_cndmask_b32_e64 v20, 0, 1, vcc
	v_cndmask_b32_e32 v18, v30, v18, vcc
	v_lshrrev_b64 v[16:17], v20, v[16:17]
; %bb.2345:                             ;   in Loop: Header=BB2_1872 Depth=3
	s_andn2_saveexec_b64 s[28:29], s[28:29]
; %bb.2346:                             ;   in Loop: Header=BB2_1872 Depth=3
	v_bfe_u32 v18, v16, 23, 1
; %bb.2347:                             ;   in Loop: Header=BB2_1872 Depth=3
	s_or_b64 exec, exec, s[28:29]
	v_lshrrev_b64 v[16:17], 20, v[16:17]
	v_cmp_gt_i32_e32 vcc, 16, v18
	v_cndmask_b32_e32 v17, 0, v17, vcc
	v_cndmask_b32_e32 v16, 7, v16, vcc
	v_cmp_eq_u64_e64 s[28:29], 0, v[16:17]
	v_min_i32_e32 v17, 15, v18
	v_cmp_eq_u32_e32 vcc, 0, v18
	v_lshlrev_b32_e32 v17, 3, v17
	v_and_or_b32 v16, v16, 7, v17
	s_and_b64 s[28:29], vcc, s[28:29]
	v_cndmask_b32_e64 v16, v16, 0, s[28:29]
	v_or_b32_e32 v38, v16, v1
.LBB2_2348:                             ;   in Loop: Header=BB2_1872 Depth=3
	s_or_b64 exec, exec, s[68:69]
.LBB2_2349:                             ;   in Loop: Header=BB2_1872 Depth=3
	s_or_b64 exec, exec, s[66:67]
                                        ; implicit-def: $vgpr16
.LBB2_2350:                             ;   in Loop: Header=BB2_1872 Depth=3
	s_andn2_saveexec_b64 s[28:29], s[36:37]
; %bb.2351:                             ;   in Loop: Header=BB2_1872 Depth=3
	v_or_b32_sdwa v1, v16, s92 dst_sel:DWORD dst_unused:UNUSED_PAD src0_sel:BYTE_3 src1_sel:DWORD
	v_cmp_eq_u64_e32 vcc, 0, v[60:61]
	v_cndmask_b32_e32 v38, v1, v38, vcc
; %bb.2352:                             ;   in Loop: Header=BB2_1872 Depth=3
	s_or_b64 exec, exec, s[28:29]
	v_mov_b32_e32 v60, v13
	v_cmp_ne_u16_sdwa vcc, v13, v61 src0_sel:BYTE_0 src1_sel:DWORD
	v_mov_b32_e32 v16, 0
	v_mov_b32_e32 v1, 0
	s_and_saveexec_b64 s[28:29], vcc
	s_cbranch_execz .LBB2_2358
; %bb.2353:                             ;   in Loop: Header=BB2_1872 Depth=3
	v_cmp_ne_u16_sdwa vcc, v13, s91 src0_sel:BYTE_0 src1_sel:DWORD
	v_bfrev_b32_e32 v1, 1
	s_and_saveexec_b64 s[36:37], vcc
	s_cbranch_execz .LBB2_2357
; %bb.2354:                             ;   in Loop: Header=BB2_1872 Depth=3
	v_and_b32_e32 v17, 0x7f, v13
	v_cmp_ne_u32_e32 vcc, s92, v17
	v_mov_b32_e32 v1, 0x7f800001
	s_and_saveexec_b64 s[66:67], vcc
	s_cbranch_execz .LBB2_2356
; %bb.2355:                             ;   in Loop: Header=BB2_1872 Depth=3
	v_and_b32_e32 v1, 7, v13
	v_ffbh_u32_e32 v1, v1
	v_min_u32_e32 v1, 32, v1
	v_subrev_u32_e32 v20, 28, v1
	v_cmp_gt_u32_e32 vcc, 8, v17
	v_lshrrev_b32_e32 v18, 3, v17
	v_cndmask_b32_e32 v17, 0, v20, vcc
	v_sub_u32_e32 v1, 29, v1
	v_lshlrev_b64 v[22:23], v17, v[60:61]
	v_cndmask_b32_e32 v1, v18, v1, vcc
	v_lshlrev_b32_e32 v17, 20, v22
	v_lshlrev_b32_e32 v18, 24, v60
	v_and_b32_e32 v17, 0x700000, v17
	v_and_b32_e32 v18, 0x80000000, v18
	v_lshl_add_u32 v1, v1, 23, v0
	v_or3_b32 v1, v18, v1, v17
.LBB2_2356:                             ;   in Loop: Header=BB2_1872 Depth=3
	s_or_b64 exec, exec, s[66:67]
.LBB2_2357:                             ;   in Loop: Header=BB2_1872 Depth=3
	s_or_b64 exec, exec, s[36:37]
.LBB2_2358:                             ;   in Loop: Header=BB2_1872 Depth=3
	s_or_b64 exec, exec, s[28:29]
	v_cmp_ne_u16_sdwa vcc, v9, v61 src0_sel:BYTE_0 src1_sel:DWORD
	s_and_saveexec_b64 s[28:29], vcc
	s_cbranch_execz .LBB2_2364
; %bb.2359:                             ;   in Loop: Header=BB2_1872 Depth=3
	v_cmp_ne_u16_sdwa vcc, v9, s91 src0_sel:BYTE_0 src1_sel:DWORD
	v_bfrev_b32_e32 v16, 1
	s_and_saveexec_b64 s[36:37], vcc
	s_cbranch_execz .LBB2_2363
; %bb.2360:                             ;   in Loop: Header=BB2_1872 Depth=3
	v_and_b32_e32 v17, 0x7f, v9
	v_cmp_ne_u32_e32 vcc, s92, v17
	v_mov_b32_e32 v16, 0x7f800001
	s_and_saveexec_b64 s[66:67], vcc
	s_cbranch_execz .LBB2_2362
; %bb.2361:                             ;   in Loop: Header=BB2_1872 Depth=3
	v_and_b32_e32 v16, 7, v9
	v_ffbh_u32_e32 v16, v16
	v_min_u32_e32 v16, 32, v16
	v_lshrrev_b32_e32 v18, 3, v17
	v_subrev_u32_e32 v20, 28, v16
	v_sub_u32_e32 v16, 29, v16
	v_cmp_gt_u32_e32 vcc, 8, v17
	v_mov_b32_e32 v22, v9
	v_mov_b32_e32 v23, v61
	v_cndmask_b32_e32 v18, v18, v16, vcc
	v_cndmask_b32_e32 v16, 0, v20, vcc
	v_lshlrev_b64 v[16:17], v16, v[22:23]
	v_lshlrev_b32_e32 v16, 20, v16
	v_lshlrev_b32_e32 v17, 24, v22
	v_and_b32_e32 v16, 0x700000, v16
	v_and_b32_e32 v17, 0x80000000, v17
	v_lshl_add_u32 v18, v18, 23, v0
	v_or3_b32 v16, v17, v18, v16
.LBB2_2362:                             ;   in Loop: Header=BB2_1872 Depth=3
	s_or_b64 exec, exec, s[66:67]
.LBB2_2363:                             ;   in Loop: Header=BB2_1872 Depth=3
	s_or_b64 exec, exec, s[36:37]
.LBB2_2364:                             ;   in Loop: Header=BB2_1872 Depth=3
	s_or_b64 exec, exec, s[28:29]
	v_add_f32_e32 v18, v1, v16
	v_and_b32_sdwa v1, v18, s91 dst_sel:DWORD dst_unused:UNUSED_PAD src0_sel:BYTE_3 src1_sel:DWORD
	v_and_b32_e32 v22, 0x7f800000, v18
	v_mov_b32_e32 v23, v61
	v_and_b32_e32 v16, 0x7fffff, v18
	v_mov_b32_e32 v17, v61
	v_or_b32_e32 v39, 0x7e, v1
	v_cmp_ne_u64_e32 vcc, s[54:55], v[22:23]
	s_and_saveexec_b64 s[28:29], vcc
	s_xor_b64 s[36:37], exec, s[28:29]
	s_cbranch_execz .LBB2_2374
; %bb.2365:                             ;   in Loop: Header=BB2_1872 Depth=3
	v_and_b32_e32 v22, 0x7fffffff, v18
	v_mov_b32_e32 v23, v61
	v_cmp_gt_u64_e32 vcc, s[56:57], v[22:23]
	s_and_saveexec_b64 s[66:67], vcc
	s_cbranch_execz .LBB2_2373
; %bb.2366:                             ;   in Loop: Header=BB2_1872 Depth=3
	v_cmp_ne_u32_e32 vcc, 0, v18
	v_mov_b32_e32 v39, 0
	s_and_saveexec_b64 s[68:69], vcc
	s_cbranch_execz .LBB2_2372
; %bb.2367:                             ;   in Loop: Header=BB2_1872 Depth=3
	v_bfe_u32 v18, v18, 23, 8
	v_sub_u32_e32 v22, 0x79, v18
	v_cmp_gt_u32_e32 vcc, s93, v18
	v_add_u32_e32 v20, 0xffffff81, v18
	v_cndmask_b32_e32 v22, 0, v22, vcc
	v_cmp_eq_u32_e32 vcc, 0, v18
	v_mov_b32_e32 v18, 0xffffff82
	v_cndmask_b32_e32 v18, v20, v18, vcc
	v_mov_b32_e32 v20, 0x78
	v_cndmask_b32_e32 v20, v22, v20, vcc
	v_or_b32_e32 v23, 0x800000, v16
	v_add_u32_e32 v22, 20, v20
	v_cndmask_b32_e32 v16, v23, v16, vcc
	v_lshlrev_b64 v[22:23], v22, -1
	v_not_b32_e32 v22, v22
	v_and_b32_e32 v22, v16, v22
	v_add_u32_e32 v30, 19, v20
	v_lshrrev_b64 v[16:17], v20, v[16:17]
	v_not_b32_e32 v23, v23
	v_lshlrev_b64 v[32:33], v30, 1
	v_lshrrev_b32_e32 v30, 23, v16
	v_and_b32_e32 v23, 0, v23
	v_add3_u32 v31, v20, v18, v30
	v_bfe_u32 v18, v16, 20, 1
	v_add_u32_e32 v18, -1, v18
	v_cmp_eq_u64_e32 vcc, v[22:23], v[32:33]
	v_cndmask_b32_e32 v18, 0, v18, vcc
	v_add_u32_e32 v18, v18, v16
	v_and_b32_e32 v18, 0xfffff, v18
	v_add_co_u32_e32 v16, vcc, v18, v16
	v_add_u32_e32 v30, 6, v31
	v_addc_co_u32_e32 v17, vcc, 0, v17, vcc
	v_cmp_ne_u32_e32 vcc, 0, v30
                                        ; implicit-def: $vgpr18
	s_and_saveexec_b64 s[28:29], vcc
	s_xor_b64 s[28:29], exec, s[28:29]
; %bb.2368:                             ;   in Loop: Header=BB2_1872 Depth=3
	v_cmp_lt_u64_e32 vcc, s[58:59], v[16:17]
	v_add_u32_e32 v18, 7, v31
	v_cndmask_b32_e64 v20, 0, 1, vcc
	v_cndmask_b32_e32 v18, v30, v18, vcc
	v_lshrrev_b64 v[16:17], v20, v[16:17]
; %bb.2369:                             ;   in Loop: Header=BB2_1872 Depth=3
	s_andn2_saveexec_b64 s[28:29], s[28:29]
; %bb.2370:                             ;   in Loop: Header=BB2_1872 Depth=3
	v_bfe_u32 v18, v16, 23, 1
; %bb.2371:                             ;   in Loop: Header=BB2_1872 Depth=3
	s_or_b64 exec, exec, s[28:29]
	v_lshrrev_b64 v[16:17], 20, v[16:17]
	v_cmp_gt_i32_e32 vcc, 16, v18
	v_cndmask_b32_e32 v17, 0, v17, vcc
	v_cndmask_b32_e32 v16, 7, v16, vcc
	v_cmp_eq_u64_e64 s[28:29], 0, v[16:17]
	v_min_i32_e32 v17, 15, v18
	v_cmp_eq_u32_e32 vcc, 0, v18
	v_lshlrev_b32_e32 v17, 3, v17
	v_and_or_b32 v16, v16, 7, v17
	s_and_b64 s[28:29], vcc, s[28:29]
	v_cndmask_b32_e64 v16, v16, 0, s[28:29]
	v_or_b32_e32 v39, v16, v1
.LBB2_2372:                             ;   in Loop: Header=BB2_1872 Depth=3
	s_or_b64 exec, exec, s[68:69]
.LBB2_2373:                             ;   in Loop: Header=BB2_1872 Depth=3
	s_or_b64 exec, exec, s[66:67]
                                        ; implicit-def: $vgpr18
                                        ; implicit-def: $vgpr16_vgpr17
.LBB2_2374:                             ;   in Loop: Header=BB2_1872 Depth=3
	s_andn2_saveexec_b64 s[28:29], s[36:37]
; %bb.2375:                             ;   in Loop: Header=BB2_1872 Depth=3
	v_or_b32_sdwa v1, v18, s92 dst_sel:DWORD dst_unused:UNUSED_PAD src0_sel:BYTE_3 src1_sel:DWORD
	v_cmp_eq_u64_e32 vcc, 0, v[16:17]
	v_cndmask_b32_e32 v39, v1, v39, vcc
; %bb.2376:                             ;   in Loop: Header=BB2_1872 Depth=3
	s_or_b64 exec, exec, s[28:29]
	v_lshrrev_b16_e32 v16, 8, v60
	v_cmp_ne_u16_e32 vcc, 0, v16
	v_mov_b32_e32 v1, 0
	v_mov_b32_e32 v17, 0
	s_and_saveexec_b64 s[28:29], vcc
	s_cbranch_execz .LBB2_2382
; %bb.2377:                             ;   in Loop: Header=BB2_1872 Depth=3
	v_cmp_ne_u16_e32 vcc, s91, v16
	v_bfrev_b32_e32 v17, 1
	s_and_saveexec_b64 s[36:37], vcc
	s_cbranch_execz .LBB2_2381
; %bb.2378:                             ;   in Loop: Header=BB2_1872 Depth=3
	v_and_b32_e32 v18, 0x7f, v16
	v_cmp_ne_u32_e32 vcc, s92, v18
	v_mov_b32_e32 v17, 0x7f800001
	s_and_saveexec_b64 s[66:67], vcc
	s_cbranch_execz .LBB2_2380
; %bb.2379:                             ;   in Loop: Header=BB2_1872 Depth=3
	v_and_b32_e32 v20, 7, v16
	v_ffbh_u32_e32 v17, v20
	v_min_u32_e32 v23, 32, v17
	v_subrev_u32_e32 v17, 28, v23
	v_lshlrev_b64 v[16:17], v17, v[16:17]
	v_lshrrev_b32_e32 v22, 3, v18
	v_sub_u32_e32 v17, 29, v23
	v_and_b32_e32 v16, 7, v16
	v_cmp_gt_u32_e32 vcc, 8, v18
	v_cndmask_b32_e32 v17, v22, v17, vcc
	v_cndmask_b32_e32 v16, v20, v16, vcc
	v_lshlrev_b32_e32 v18, 16, v60
	v_lshlrev_b32_e32 v16, 20, v16
	v_and_b32_e32 v18, 0x80000000, v18
	v_lshl_add_u32 v17, v17, 23, v0
	v_or3_b32 v17, v18, v17, v16
.LBB2_2380:                             ;   in Loop: Header=BB2_1872 Depth=3
	s_or_b64 exec, exec, s[66:67]
.LBB2_2381:                             ;   in Loop: Header=BB2_1872 Depth=3
	s_or_b64 exec, exec, s[36:37]
.LBB2_2382:                             ;   in Loop: Header=BB2_1872 Depth=3
	s_or_b64 exec, exec, s[28:29]
	v_mov_b32_e32 v16, v9
	v_lshrrev_b16_e32 v18, 8, v16
	v_cmp_ne_u16_e32 vcc, 0, v18
	s_and_saveexec_b64 s[28:29], vcc
	s_cbranch_execz .LBB2_2388
; %bb.2383:                             ;   in Loop: Header=BB2_1872 Depth=3
	v_cmp_ne_u16_e32 vcc, s91, v18
	v_bfrev_b32_e32 v1, 1
	s_and_saveexec_b64 s[36:37], vcc
	s_cbranch_execz .LBB2_2387
; %bb.2384:                             ;   in Loop: Header=BB2_1872 Depth=3
	v_and_b32_e32 v30, 0x7f, v18
	v_cmp_ne_u32_e32 vcc, s92, v30
	v_mov_b32_e32 v1, 0x7f800001
	s_and_saveexec_b64 s[66:67], vcc
	s_cbranch_execz .LBB2_2386
; %bb.2385:                             ;   in Loop: Header=BB2_1872 Depth=3
	v_and_b32_e32 v1, 7, v18
	v_ffbh_u32_e32 v22, v1
	v_min_u32_e32 v31, 32, v22
	v_subrev_u32_e32 v22, 28, v31
	v_lshlrev_b64 v[22:23], v22, v[18:19]
	v_lshrrev_b32_e32 v20, 3, v30
	v_sub_u32_e32 v18, 29, v31
	v_and_b32_e32 v22, 7, v22
	v_cmp_gt_u32_e32 vcc, 8, v30
	v_cndmask_b32_e32 v18, v20, v18, vcc
	v_cndmask_b32_e32 v1, v1, v22, vcc
	v_lshlrev_b32_e32 v16, 16, v16
	v_lshlrev_b32_e32 v1, 20, v1
	v_and_b32_e32 v16, 0x80000000, v16
	v_lshl_add_u32 v18, v18, 23, v0
	v_or3_b32 v1, v16, v18, v1
.LBB2_2386:                             ;   in Loop: Header=BB2_1872 Depth=3
	s_or_b64 exec, exec, s[66:67]
.LBB2_2387:                             ;   in Loop: Header=BB2_1872 Depth=3
	s_or_b64 exec, exec, s[36:37]
.LBB2_2388:                             ;   in Loop: Header=BB2_1872 Depth=3
	s_or_b64 exec, exec, s[28:29]
	v_add_f32_e32 v16, v17, v1
	v_and_b32_sdwa v1, v16, s91 dst_sel:DWORD dst_unused:UNUSED_PAD src0_sel:BYTE_3 src1_sel:DWORD
	v_and_b32_e32 v22, 0x7f800000, v16
	v_mov_b32_e32 v23, v61
	v_and_b32_e32 v60, 0x7fffff, v16
	v_or_b32_e32 v18, 0x7e, v1
	v_cmp_ne_u64_e32 vcc, s[54:55], v[22:23]
	s_and_saveexec_b64 s[28:29], vcc
	s_xor_b64 s[36:37], exec, s[28:29]
	s_cbranch_execz .LBB2_2398
; %bb.2389:                             ;   in Loop: Header=BB2_1872 Depth=3
	v_and_b32_e32 v22, 0x7fffffff, v16
	v_mov_b32_e32 v23, v61
	v_cmp_gt_u64_e32 vcc, s[56:57], v[22:23]
	s_and_saveexec_b64 s[66:67], vcc
	s_cbranch_execz .LBB2_2397
; %bb.2390:                             ;   in Loop: Header=BB2_1872 Depth=3
	v_cmp_ne_u32_e32 vcc, 0, v16
	v_mov_b32_e32 v18, 0
	s_and_saveexec_b64 s[68:69], vcc
	s_cbranch_execz .LBB2_2396
; %bb.2391:                             ;   in Loop: Header=BB2_1872 Depth=3
	v_bfe_u32 v16, v16, 23, 8
	v_sub_u32_e32 v18, 0x79, v16
	v_cmp_gt_u32_e32 vcc, s93, v16
	v_add_u32_e32 v17, 0xffffff81, v16
	v_cndmask_b32_e32 v18, 0, v18, vcc
	v_cmp_eq_u32_e32 vcc, 0, v16
	v_mov_b32_e32 v16, 0xffffff82
	v_cndmask_b32_e32 v30, v17, v16, vcc
	v_mov_b32_e32 v16, 0x78
	v_or_b32_e32 v20, 0x800000, v60
	v_cndmask_b32_e32 v18, v18, v16, vcc
	v_cndmask_b32_e32 v60, v20, v60, vcc
	v_add_u32_e32 v16, 20, v18
	v_lshlrev_b64 v[16:17], v16, -1
	v_add_u32_e32 v20, 19, v18
	v_lshrrev_b64 v[32:33], v18, v[60:61]
	v_not_b32_e32 v17, v17
	v_not_b32_e32 v16, v16
	v_lshlrev_b64 v[22:23], v20, 1
	v_lshrrev_b32_e32 v20, 23, v32
	v_and_b32_e32 v17, 0, v17
	v_and_b32_e32 v16, v60, v16
	v_add3_u32 v31, v18, v30, v20
	v_bfe_u32 v18, v32, 20, 1
	v_add_u32_e32 v18, -1, v18
	v_cmp_eq_u64_e32 vcc, v[16:17], v[22:23]
	v_cndmask_b32_e32 v16, 0, v18, vcc
	v_add_u32_e32 v16, v16, v32
	v_and_b32_e32 v16, 0xfffff, v16
	v_add_co_u32_e32 v16, vcc, v16, v32
	v_add_u32_e32 v30, 6, v31
	v_addc_co_u32_e32 v17, vcc, 0, v33, vcc
	v_cmp_ne_u32_e32 vcc, 0, v30
                                        ; implicit-def: $vgpr18
	s_and_saveexec_b64 s[28:29], vcc
	s_xor_b64 s[28:29], exec, s[28:29]
; %bb.2392:                             ;   in Loop: Header=BB2_1872 Depth=3
	v_cmp_lt_u64_e32 vcc, s[58:59], v[16:17]
	v_add_u32_e32 v18, 7, v31
	v_cndmask_b32_e64 v20, 0, 1, vcc
	v_cndmask_b32_e32 v18, v30, v18, vcc
	v_lshrrev_b64 v[16:17], v20, v[16:17]
; %bb.2393:                             ;   in Loop: Header=BB2_1872 Depth=3
	s_andn2_saveexec_b64 s[28:29], s[28:29]
; %bb.2394:                             ;   in Loop: Header=BB2_1872 Depth=3
	v_bfe_u32 v18, v16, 23, 1
; %bb.2395:                             ;   in Loop: Header=BB2_1872 Depth=3
	s_or_b64 exec, exec, s[28:29]
	v_lshrrev_b64 v[16:17], 20, v[16:17]
	v_cmp_gt_i32_e32 vcc, 16, v18
	v_cndmask_b32_e32 v17, 0, v17, vcc
	v_cndmask_b32_e32 v16, 7, v16, vcc
	v_cmp_eq_u64_e64 s[28:29], 0, v[16:17]
	v_min_i32_e32 v17, 15, v18
	v_cmp_eq_u32_e32 vcc, 0, v18
	v_lshlrev_b32_e32 v17, 3, v17
	v_and_or_b32 v16, v16, 7, v17
	s_and_b64 s[28:29], vcc, s[28:29]
	v_cndmask_b32_e64 v16, v16, 0, s[28:29]
	v_or_b32_e32 v18, v16, v1
.LBB2_2396:                             ;   in Loop: Header=BB2_1872 Depth=3
	s_or_b64 exec, exec, s[68:69]
.LBB2_2397:                             ;   in Loop: Header=BB2_1872 Depth=3
	s_or_b64 exec, exec, s[66:67]
                                        ; implicit-def: $vgpr16
.LBB2_2398:                             ;   in Loop: Header=BB2_1872 Depth=3
	s_andn2_saveexec_b64 s[28:29], s[36:37]
; %bb.2399:                             ;   in Loop: Header=BB2_1872 Depth=3
	v_or_b32_sdwa v1, v16, s92 dst_sel:DWORD dst_unused:UNUSED_PAD src0_sel:BYTE_3 src1_sel:DWORD
	v_cmp_eq_u64_e32 vcc, 0, v[60:61]
	v_cndmask_b32_e32 v18, v1, v18, vcc
; %bb.2400:                             ;   in Loop: Header=BB2_1872 Depth=3
	s_or_b64 exec, exec, s[28:29]
	v_lshrrev_b32_e32 v16, 16, v13
	v_cmp_ne_u16_sdwa vcc, v16, v61 src0_sel:BYTE_0 src1_sel:DWORD
	v_mov_b32_e32 v1, 0
	v_mov_b32_e32 v17, 0
	s_and_saveexec_b64 s[28:29], vcc
	s_cbranch_execz .LBB2_2406
; %bb.2401:                             ;   in Loop: Header=BB2_1872 Depth=3
	v_cmp_ne_u16_sdwa vcc, v16, s91 src0_sel:BYTE_0 src1_sel:DWORD
	v_bfrev_b32_e32 v17, 1
	s_and_saveexec_b64 s[36:37], vcc
	s_cbranch_execz .LBB2_2405
; %bb.2402:                             ;   in Loop: Header=BB2_1872 Depth=3
	v_bfe_u32 v30, v13, 16, 7
	v_cmp_ne_u32_e32 vcc, s92, v30
	v_mov_b32_e32 v17, 0x7f800001
	s_and_saveexec_b64 s[66:67], vcc
	s_cbranch_execz .LBB2_2404
; %bb.2403:                             ;   in Loop: Header=BB2_1872 Depth=3
	v_and_b32_e32 v17, 7, v16
	v_ffbh_u32_e32 v22, v17
	v_min_u32_e32 v31, 32, v22
	v_subrev_u32_e32 v22, 28, v31
	v_lshlrev_b64 v[22:23], v22, v[16:17]
	v_lshrrev_b32_e32 v20, 3, v30
	v_sub_u32_e32 v23, 29, v31
	v_and_b32_e32 v22, 7, v22
	v_cmp_gt_u32_e32 vcc, 8, v30
	v_cndmask_b32_e32 v20, v20, v23, vcc
	v_cndmask_b32_e32 v17, v17, v22, vcc
	v_lshlrev_b32_e32 v16, 24, v16
	v_lshlrev_b32_e32 v17, 20, v17
	v_and_b32_e32 v16, 0x80000000, v16
	v_lshl_add_u32 v20, v20, 23, v0
	v_or3_b32 v17, v16, v20, v17
.LBB2_2404:                             ;   in Loop: Header=BB2_1872 Depth=3
	s_or_b64 exec, exec, s[66:67]
.LBB2_2405:                             ;   in Loop: Header=BB2_1872 Depth=3
	s_or_b64 exec, exec, s[36:37]
.LBB2_2406:                             ;   in Loop: Header=BB2_1872 Depth=3
	s_or_b64 exec, exec, s[28:29]
	v_lshrrev_b32_e32 v16, 16, v9
	v_cmp_ne_u16_sdwa vcc, v16, v61 src0_sel:BYTE_0 src1_sel:DWORD
	s_and_saveexec_b64 s[28:29], vcc
	s_cbranch_execz .LBB2_2412
; %bb.2407:                             ;   in Loop: Header=BB2_1872 Depth=3
	v_cmp_ne_u16_sdwa vcc, v16, s91 src0_sel:BYTE_0 src1_sel:DWORD
	v_bfrev_b32_e32 v1, 1
	s_and_saveexec_b64 s[36:37], vcc
	s_cbranch_execz .LBB2_2411
; %bb.2408:                             ;   in Loop: Header=BB2_1872 Depth=3
	v_bfe_u32 v30, v9, 16, 7
	v_cmp_ne_u32_e32 vcc, s92, v30
	v_mov_b32_e32 v1, 0x7f800001
	s_and_saveexec_b64 s[66:67], vcc
	s_cbranch_execz .LBB2_2410
; %bb.2409:                             ;   in Loop: Header=BB2_1872 Depth=3
	v_and_b32_e32 v1, 7, v16
	v_ffbh_u32_e32 v22, v1
	v_min_u32_e32 v31, 32, v22
	v_subrev_u32_e32 v22, 28, v31
	v_lshlrev_b64 v[22:23], v22, v[16:17]
	v_lshrrev_b32_e32 v20, 3, v30
	v_sub_u32_e32 v16, 29, v31
	v_and_b32_e32 v22, 7, v22
	v_cmp_gt_u32_e32 vcc, 8, v30
	v_cndmask_b32_e32 v16, v20, v16, vcc
	v_cndmask_b32_e32 v1, v1, v22, vcc
	v_lshlrev_b32_e32 v20, 8, v9
	v_lshlrev_b32_e32 v1, 20, v1
	v_and_b32_e32 v20, 0x80000000, v20
	v_lshl_add_u32 v16, v16, 23, v0
	v_or3_b32 v1, v20, v16, v1
.LBB2_2410:                             ;   in Loop: Header=BB2_1872 Depth=3
	s_or_b64 exec, exec, s[66:67]
.LBB2_2411:                             ;   in Loop: Header=BB2_1872 Depth=3
	s_or_b64 exec, exec, s[36:37]
.LBB2_2412:                             ;   in Loop: Header=BB2_1872 Depth=3
	s_or_b64 exec, exec, s[28:29]
	v_add_f32_e32 v17, v17, v1
	v_and_b32_sdwa v1, v17, s91 dst_sel:DWORD dst_unused:UNUSED_PAD src0_sel:BYTE_3 src1_sel:DWORD
	v_and_b32_e32 v22, 0x7f800000, v17
	v_mov_b32_e32 v23, v61
	v_and_b32_e32 v60, 0x7fffff, v17
	v_or_b32_e32 v16, 0x7e, v1
	v_cmp_ne_u64_e32 vcc, s[54:55], v[22:23]
	s_and_saveexec_b64 s[28:29], vcc
	s_xor_b64 s[36:37], exec, s[28:29]
	s_cbranch_execz .LBB2_2422
; %bb.2413:                             ;   in Loop: Header=BB2_1872 Depth=3
	v_and_b32_e32 v22, 0x7fffffff, v17
	v_mov_b32_e32 v23, v61
	v_cmp_gt_u64_e32 vcc, s[56:57], v[22:23]
	s_and_saveexec_b64 s[66:67], vcc
	s_cbranch_execz .LBB2_2421
; %bb.2414:                             ;   in Loop: Header=BB2_1872 Depth=3
	v_cmp_ne_u32_e32 vcc, 0, v17
	v_mov_b32_e32 v16, 0
	s_and_saveexec_b64 s[68:69], vcc
	s_cbranch_execz .LBB2_2420
; %bb.2415:                             ;   in Loop: Header=BB2_1872 Depth=3
	v_bfe_u32 v16, v17, 23, 8
	v_sub_u32_e32 v20, 0x79, v16
	v_cmp_gt_u32_e32 vcc, s93, v16
	v_add_u32_e32 v17, 0xffffff81, v16
	v_cndmask_b32_e32 v20, 0, v20, vcc
	v_cmp_eq_u32_e32 vcc, 0, v16
	v_mov_b32_e32 v16, 0xffffff82
	v_cndmask_b32_e32 v30, v17, v16, vcc
	v_mov_b32_e32 v16, 0x78
	v_or_b32_e32 v22, 0x800000, v60
	v_cndmask_b32_e32 v20, v20, v16, vcc
	v_cndmask_b32_e32 v60, v22, v60, vcc
	v_add_u32_e32 v16, 20, v20
	v_lshlrev_b64 v[16:17], v16, -1
	v_lshrrev_b64 v[32:33], v20, v[60:61]
	v_not_b32_e32 v17, v17
	v_not_b32_e32 v16, v16
	v_add_u32_e32 v22, 19, v20
	v_lshrrev_b32_e32 v31, 23, v32
	v_and_b32_e32 v17, 0, v17
	v_and_b32_e32 v16, v60, v16
	v_lshlrev_b64 v[22:23], v22, 1
	v_add3_u32 v54, v20, v30, v31
	v_bfe_u32 v20, v32, 20, 1
	v_add_u32_e32 v20, -1, v20
	v_cmp_eq_u64_e32 vcc, v[16:17], v[22:23]
	v_cndmask_b32_e32 v16, 0, v20, vcc
	v_add_u32_e32 v16, v16, v32
	v_and_b32_e32 v16, 0xfffff, v16
	v_add_co_u32_e32 v16, vcc, v16, v32
	v_add_u32_e32 v31, 6, v54
	v_addc_co_u32_e32 v17, vcc, 0, v33, vcc
	v_cmp_ne_u32_e32 vcc, 0, v31
                                        ; implicit-def: $vgpr30
	s_and_saveexec_b64 s[28:29], vcc
	s_xor_b64 s[28:29], exec, s[28:29]
; %bb.2416:                             ;   in Loop: Header=BB2_1872 Depth=3
	v_add_u32_e32 v20, 7, v54
	v_cmp_lt_u64_e32 vcc, s[58:59], v[16:17]
	v_cndmask_b32_e32 v30, v31, v20, vcc
	v_cndmask_b32_e64 v20, 0, 1, vcc
	v_lshrrev_b64 v[16:17], v20, v[16:17]
; %bb.2417:                             ;   in Loop: Header=BB2_1872 Depth=3
	s_andn2_saveexec_b64 s[28:29], s[28:29]
; %bb.2418:                             ;   in Loop: Header=BB2_1872 Depth=3
	v_bfe_u32 v30, v16, 23, 1
; %bb.2419:                             ;   in Loop: Header=BB2_1872 Depth=3
	s_or_b64 exec, exec, s[28:29]
	v_lshrrev_b64 v[16:17], 20, v[16:17]
	v_cmp_gt_i32_e32 vcc, 16, v30
	v_cndmask_b32_e32 v17, 0, v17, vcc
	v_cndmask_b32_e32 v16, 7, v16, vcc
	v_cmp_eq_u64_e64 s[28:29], 0, v[16:17]
	v_min_i32_e32 v17, 15, v30
	v_lshlrev_b32_e32 v17, 3, v17
	v_cmp_eq_u32_e32 vcc, 0, v30
	v_and_b32_e32 v17, 0xf8, v17
	v_and_or_b32 v16, v16, 7, v17
	s_and_b64 s[28:29], vcc, s[28:29]
	v_cndmask_b32_e64 v16, v16, 0, s[28:29]
	v_or_b32_e32 v16, v16, v1
.LBB2_2420:                             ;   in Loop: Header=BB2_1872 Depth=3
	s_or_b64 exec, exec, s[68:69]
.LBB2_2421:                             ;   in Loop: Header=BB2_1872 Depth=3
	s_or_b64 exec, exec, s[66:67]
                                        ; implicit-def: $vgpr17
.LBB2_2422:                             ;   in Loop: Header=BB2_1872 Depth=3
	s_andn2_saveexec_b64 s[28:29], s[36:37]
; %bb.2423:                             ;   in Loop: Header=BB2_1872 Depth=3
	v_or_b32_sdwa v1, v17, s92 dst_sel:DWORD dst_unused:UNUSED_PAD src0_sel:BYTE_3 src1_sel:DWORD
	v_cmp_eq_u64_e32 vcc, 0, v[60:61]
	v_cndmask_b32_e32 v16, v1, v16, vcc
; %bb.2424:                             ;   in Loop: Header=BB2_1872 Depth=3
	s_or_b64 exec, exec, s[28:29]
	v_cmp_lt_u64_e32 vcc, s[44:45], v[12:13]
	v_mov_b32_e32 v1, 0
	v_mov_b32_e32 v17, 0
	s_and_saveexec_b64 s[28:29], vcc
	s_cbranch_execz .LBB2_2430
; %bb.2425:                             ;   in Loop: Header=BB2_1872 Depth=3
	v_lshrrev_b32_e32 v12, 24, v13
	v_cmp_ne_u32_e32 vcc, s91, v12
	v_bfrev_b32_e32 v17, 1
	s_and_saveexec_b64 s[36:37], vcc
	s_cbranch_execz .LBB2_2429
; %bb.2426:                             ;   in Loop: Header=BB2_1872 Depth=3
	v_bfe_u32 v13, v13, 24, 7
	v_cmp_ne_u32_e32 vcc, s92, v13
	v_mov_b32_e32 v17, 0x7f800001
	s_and_saveexec_b64 s[66:67], vcc
	s_cbranch_execz .LBB2_2428
; %bb.2427:                             ;   in Loop: Header=BB2_1872 Depth=3
	v_and_b32_e32 v17, 7, v12
	v_ffbh_u32_e32 v22, v17
	v_min_u32_e32 v30, 32, v22
	v_subrev_u32_e32 v22, 28, v30
	v_lshlrev_b64 v[22:23], v22, v[12:13]
	v_lshrrev_b32_e32 v20, 3, v13
	v_sub_u32_e32 v23, 29, v30
	v_and_b32_e32 v22, 7, v22
	v_cmp_gt_u32_e32 vcc, 8, v13
	v_cndmask_b32_e32 v13, v20, v23, vcc
	v_cndmask_b32_e32 v17, v17, v22, vcc
	v_lshlrev_b32_e32 v12, 24, v12
	v_lshlrev_b32_e32 v17, 20, v17
	v_and_b32_e32 v12, 0x80000000, v12
	v_lshl_add_u32 v13, v13, 23, v0
	v_or3_b32 v17, v12, v13, v17
.LBB2_2428:                             ;   in Loop: Header=BB2_1872 Depth=3
	s_or_b64 exec, exec, s[66:67]
.LBB2_2429:                             ;   in Loop: Header=BB2_1872 Depth=3
	s_or_b64 exec, exec, s[36:37]
.LBB2_2430:                             ;   in Loop: Header=BB2_1872 Depth=3
	s_or_b64 exec, exec, s[28:29]
	v_cmp_lt_u64_e32 vcc, s[44:45], v[8:9]
	s_and_saveexec_b64 s[28:29], vcc
	s_cbranch_execz .LBB2_2436
; %bb.2431:                             ;   in Loop: Header=BB2_1872 Depth=3
	v_lshrrev_b32_e32 v8, 24, v9
	v_cmp_ne_u32_e32 vcc, s91, v8
	v_bfrev_b32_e32 v1, 1
	s_and_saveexec_b64 s[36:37], vcc
	s_cbranch_execz .LBB2_2435
; %bb.2432:                             ;   in Loop: Header=BB2_1872 Depth=3
	v_bfe_u32 v9, v9, 24, 7
	v_cmp_ne_u32_e32 vcc, s92, v9
	v_mov_b32_e32 v1, 0x7f800001
	s_and_saveexec_b64 s[66:67], vcc
	s_cbranch_execz .LBB2_2434
; %bb.2433:                             ;   in Loop: Header=BB2_1872 Depth=3
	v_and_b32_e32 v1, 7, v8
	v_ffbh_u32_e32 v12, v1
	v_min_u32_e32 v22, 32, v12
	v_subrev_u32_e32 v12, 28, v22
	v_lshlrev_b64 v[12:13], v12, v[8:9]
	v_lshrrev_b32_e32 v20, 3, v9
	v_sub_u32_e32 v13, 29, v22
	v_and_b32_e32 v12, 7, v12
	v_cmp_gt_u32_e32 vcc, 8, v9
	v_cndmask_b32_e32 v9, v20, v13, vcc
	v_cndmask_b32_e32 v1, v1, v12, vcc
	v_lshlrev_b32_e32 v8, 24, v8
	v_lshlrev_b32_e32 v1, 20, v1
	v_and_b32_e32 v8, 0x80000000, v8
	v_lshl_add_u32 v9, v9, 23, v0
	v_or3_b32 v1, v8, v9, v1
.LBB2_2434:                             ;   in Loop: Header=BB2_1872 Depth=3
	s_or_b64 exec, exec, s[66:67]
.LBB2_2435:                             ;   in Loop: Header=BB2_1872 Depth=3
	s_or_b64 exec, exec, s[36:37]
.LBB2_2436:                             ;   in Loop: Header=BB2_1872 Depth=3
	s_or_b64 exec, exec, s[28:29]
	v_add_f32_e32 v8, v17, v1
	v_and_b32_sdwa v1, v8, s91 dst_sel:DWORD dst_unused:UNUSED_PAD src0_sel:BYTE_3 src1_sel:DWORD
	v_and_b32_e32 v22, 0x7f800000, v8
	v_mov_b32_e32 v23, v61
	v_and_b32_e32 v60, 0x7fffff, v8
	v_or_b32_e32 v13, 0x7e, v1
	v_cmp_ne_u64_e32 vcc, s[54:55], v[22:23]
	s_and_saveexec_b64 s[28:29], vcc
	s_xor_b64 s[36:37], exec, s[28:29]
	s_cbranch_execz .LBB2_2446
; %bb.2437:                             ;   in Loop: Header=BB2_1872 Depth=3
	v_and_b32_e32 v22, 0x7fffffff, v8
	v_mov_b32_e32 v23, v61
	v_cmp_gt_u64_e32 vcc, s[56:57], v[22:23]
	s_and_saveexec_b64 s[66:67], vcc
	s_cbranch_execz .LBB2_2445
; %bb.2438:                             ;   in Loop: Header=BB2_1872 Depth=3
	v_cmp_ne_u32_e32 vcc, 0, v8
	v_mov_b32_e32 v13, 0
	s_and_saveexec_b64 s[68:69], vcc
	s_cbranch_execz .LBB2_2444
; %bb.2439:                             ;   in Loop: Header=BB2_1872 Depth=3
	v_bfe_u32 v8, v8, 23, 8
	v_sub_u32_e32 v12, 0x79, v8
	v_cmp_gt_u32_e32 vcc, s93, v8
	v_add_u32_e32 v9, 0xffffff81, v8
	v_cndmask_b32_e32 v12, 0, v12, vcc
	v_cmp_eq_u32_e32 vcc, 0, v8
	v_mov_b32_e32 v8, 0xffffff82
	v_cndmask_b32_e32 v17, v9, v8, vcc
	v_mov_b32_e32 v8, 0x78
	v_or_b32_e32 v13, 0x800000, v60
	v_cndmask_b32_e32 v12, v12, v8, vcc
	v_cndmask_b32_e32 v60, v13, v60, vcc
	v_add_u32_e32 v8, 20, v12
	v_lshlrev_b64 v[8:9], v8, -1
	v_add_u32_e32 v13, 19, v12
	v_lshrrev_b64 v[30:31], v12, v[60:61]
	v_not_b32_e32 v9, v9
	v_not_b32_e32 v8, v8
	v_lshlrev_b64 v[22:23], v13, 1
	v_lshrrev_b32_e32 v13, 23, v30
	v_and_b32_e32 v9, 0, v9
	v_and_b32_e32 v8, v60, v8
	v_add3_u32 v17, v12, v17, v13
	v_bfe_u32 v12, v30, 20, 1
	v_add_u32_e32 v12, -1, v12
	v_cmp_eq_u64_e32 vcc, v[8:9], v[22:23]
	v_cndmask_b32_e32 v8, 0, v12, vcc
	v_add_u32_e32 v8, v8, v30
	v_and_b32_e32 v8, 0xfffff, v8
	v_add_co_u32_e32 v8, vcc, v8, v30
	v_add_u32_e32 v13, 6, v17
	v_addc_co_u32_e32 v9, vcc, 0, v31, vcc
	v_cmp_ne_u32_e32 vcc, 0, v13
                                        ; implicit-def: $vgpr12
	s_and_saveexec_b64 s[28:29], vcc
	s_xor_b64 s[28:29], exec, s[28:29]
; %bb.2440:                             ;   in Loop: Header=BB2_1872 Depth=3
	v_add_u32_e32 v12, 7, v17
	v_cmp_lt_u64_e32 vcc, s[58:59], v[8:9]
	v_cndmask_b32_e32 v12, v13, v12, vcc
	v_cndmask_b32_e64 v13, 0, 1, vcc
	v_lshrrev_b64 v[8:9], v13, v[8:9]
; %bb.2441:                             ;   in Loop: Header=BB2_1872 Depth=3
	s_andn2_saveexec_b64 s[28:29], s[28:29]
; %bb.2442:                             ;   in Loop: Header=BB2_1872 Depth=3
	v_bfe_u32 v12, v8, 23, 1
; %bb.2443:                             ;   in Loop: Header=BB2_1872 Depth=3
	s_or_b64 exec, exec, s[28:29]
	v_lshrrev_b64 v[8:9], 20, v[8:9]
	v_cmp_gt_i32_e32 vcc, 16, v12
	v_cndmask_b32_e32 v9, 0, v9, vcc
	v_cndmask_b32_e32 v8, 7, v8, vcc
	v_cmp_eq_u64_e64 s[28:29], 0, v[8:9]
	v_min_i32_e32 v9, 15, v12
	v_lshlrev_b32_e32 v9, 3, v9
	v_cmp_eq_u32_e32 vcc, 0, v12
	v_and_b32_e32 v9, 0xf8, v9
	v_and_or_b32 v8, v8, 7, v9
	s_and_b64 s[28:29], vcc, s[28:29]
	v_cndmask_b32_e64 v8, v8, 0, s[28:29]
	v_or_b32_e32 v13, v8, v1
.LBB2_2444:                             ;   in Loop: Header=BB2_1872 Depth=3
	s_or_b64 exec, exec, s[68:69]
.LBB2_2445:                             ;   in Loop: Header=BB2_1872 Depth=3
	s_or_b64 exec, exec, s[66:67]
                                        ; implicit-def: $vgpr8
.LBB2_2446:                             ;   in Loop: Header=BB2_1872 Depth=3
	s_andn2_saveexec_b64 s[28:29], s[36:37]
; %bb.2447:                             ;   in Loop: Header=BB2_1872 Depth=3
	v_or_b32_sdwa v1, v8, s92 dst_sel:DWORD dst_unused:UNUSED_PAD src0_sel:BYTE_3 src1_sel:DWORD
	v_cmp_eq_u64_e32 vcc, 0, v[60:61]
	v_cndmask_b32_e32 v13, v1, v13, vcc
; %bb.2448:                             ;   in Loop: Header=BB2_1872 Depth=3
	s_or_b64 exec, exec, s[28:29]
	v_cmp_ne_u16_sdwa vcc, v14, v61 src0_sel:BYTE_0 src1_sel:DWORD
	v_mov_b32_e32 v1, 0
	v_mov_b32_e32 v8, 0
	s_and_saveexec_b64 s[28:29], vcc
	s_cbranch_execz .LBB2_2454
; %bb.2449:                             ;   in Loop: Header=BB2_1872 Depth=3
	v_cmp_ne_u16_sdwa vcc, v14, s91 src0_sel:BYTE_0 src1_sel:DWORD
	v_bfrev_b32_e32 v8, 1
	s_and_saveexec_b64 s[36:37], vcc
	s_cbranch_execz .LBB2_2453
; %bb.2450:                             ;   in Loop: Header=BB2_1872 Depth=3
	v_and_b32_e32 v9, 0x7f, v14
	v_cmp_ne_u32_e32 vcc, s92, v9
	v_mov_b32_e32 v8, 0x7f800001
	s_and_saveexec_b64 s[66:67], vcc
	s_cbranch_execz .LBB2_2452
; %bb.2451:                             ;   in Loop: Header=BB2_1872 Depth=3
	v_and_b32_e32 v8, 7, v14
	v_ffbh_u32_e32 v8, v8
	v_min_u32_e32 v8, 32, v8
	v_lshrrev_b32_e32 v12, 3, v9
	v_subrev_u32_e32 v17, 28, v8
	v_sub_u32_e32 v8, 29, v8
	v_cmp_gt_u32_e32 vcc, 8, v9
	v_cndmask_b32_e32 v12, v12, v8, vcc
	v_cndmask_b32_e32 v8, 0, v17, vcc
	v_lshlrev_b64 v[8:9], v8, v[14:15]
	v_lshlrev_b32_e32 v8, 20, v8
	v_lshlrev_b32_e32 v9, 24, v14
	v_and_b32_e32 v8, 0x700000, v8
	v_and_b32_e32 v9, 0x80000000, v9
	v_lshl_add_u32 v12, v12, 23, v0
	v_or3_b32 v8, v9, v12, v8
.LBB2_2452:                             ;   in Loop: Header=BB2_1872 Depth=3
	s_or_b64 exec, exec, s[66:67]
.LBB2_2453:                             ;   in Loop: Header=BB2_1872 Depth=3
	s_or_b64 exec, exec, s[36:37]
.LBB2_2454:                             ;   in Loop: Header=BB2_1872 Depth=3
	s_or_b64 exec, exec, s[28:29]
	v_cmp_ne_u16_sdwa vcc, v10, v61 src0_sel:BYTE_0 src1_sel:DWORD
	s_and_saveexec_b64 s[28:29], vcc
	s_cbranch_execz .LBB2_2460
; %bb.2455:                             ;   in Loop: Header=BB2_1872 Depth=3
	v_cmp_ne_u16_sdwa vcc, v10, s91 src0_sel:BYTE_0 src1_sel:DWORD
	v_bfrev_b32_e32 v1, 1
	s_and_saveexec_b64 s[36:37], vcc
	s_cbranch_execz .LBB2_2459
; %bb.2456:                             ;   in Loop: Header=BB2_1872 Depth=3
	v_and_b32_e32 v9, 0x7f, v10
	v_cmp_ne_u32_e32 vcc, s92, v9
	v_mov_b32_e32 v1, 0x7f800001
	s_and_saveexec_b64 s[66:67], vcc
	s_cbranch_execz .LBB2_2458
; %bb.2457:                             ;   in Loop: Header=BB2_1872 Depth=3
	v_and_b32_e32 v1, 7, v10
	v_ffbh_u32_e32 v1, v1
	v_min_u32_e32 v1, 32, v1
	v_subrev_u32_e32 v17, 28, v1
	v_cmp_gt_u32_e32 vcc, 8, v9
	v_lshrrev_b32_e32 v12, 3, v9
	v_cndmask_b32_e32 v9, 0, v17, vcc
	v_sub_u32_e32 v1, 29, v1
	v_lshlrev_b64 v[22:23], v9, v[10:11]
	v_cndmask_b32_e32 v1, v12, v1, vcc
	v_lshlrev_b32_e32 v9, 20, v22
	v_lshlrev_b32_e32 v12, 24, v10
	v_and_b32_e32 v9, 0x700000, v9
	v_and_b32_e32 v12, 0x80000000, v12
	v_lshl_add_u32 v1, v1, 23, v0
	v_or3_b32 v1, v12, v1, v9
.LBB2_2458:                             ;   in Loop: Header=BB2_1872 Depth=3
	s_or_b64 exec, exec, s[66:67]
.LBB2_2459:                             ;   in Loop: Header=BB2_1872 Depth=3
	s_or_b64 exec, exec, s[36:37]
.LBB2_2460:                             ;   in Loop: Header=BB2_1872 Depth=3
	s_or_b64 exec, exec, s[28:29]
	v_add_f32_e32 v8, v8, v1
	v_and_b32_sdwa v1, v8, s91 dst_sel:DWORD dst_unused:UNUSED_PAD src0_sel:BYTE_3 src1_sel:DWORD
	v_and_b32_e32 v22, 0x7f800000, v8
	v_mov_b32_e32 v23, v61
	v_and_b32_e32 v60, 0x7fffff, v8
	v_or_b32_e32 v17, 0x7e, v1
	v_cmp_ne_u64_e32 vcc, s[54:55], v[22:23]
	s_and_saveexec_b64 s[28:29], vcc
	s_xor_b64 s[36:37], exec, s[28:29]
	s_cbranch_execz .LBB2_2470
; %bb.2461:                             ;   in Loop: Header=BB2_1872 Depth=3
	v_and_b32_e32 v22, 0x7fffffff, v8
	v_mov_b32_e32 v23, v61
	v_cmp_gt_u64_e32 vcc, s[56:57], v[22:23]
	s_and_saveexec_b64 s[66:67], vcc
	s_cbranch_execz .LBB2_2469
; %bb.2462:                             ;   in Loop: Header=BB2_1872 Depth=3
	v_cmp_ne_u32_e32 vcc, 0, v8
	v_mov_b32_e32 v17, 0
	s_and_saveexec_b64 s[68:69], vcc
	s_cbranch_execz .LBB2_2468
; %bb.2463:                             ;   in Loop: Header=BB2_1872 Depth=3
	v_bfe_u32 v8, v8, 23, 8
	v_sub_u32_e32 v12, 0x79, v8
	v_cmp_gt_u32_e32 vcc, s93, v8
	v_add_u32_e32 v9, 0xffffff81, v8
	v_cndmask_b32_e32 v12, 0, v12, vcc
	v_cmp_eq_u32_e32 vcc, 0, v8
	v_mov_b32_e32 v8, 0xffffff82
	v_cndmask_b32_e32 v20, v9, v8, vcc
	v_mov_b32_e32 v8, 0x78
	v_or_b32_e32 v17, 0x800000, v60
	v_cndmask_b32_e32 v12, v12, v8, vcc
	v_cndmask_b32_e32 v60, v17, v60, vcc
	v_add_u32_e32 v8, 20, v12
	v_lshlrev_b64 v[8:9], v8, -1
	v_add_u32_e32 v17, 19, v12
	v_lshrrev_b64 v[32:33], v12, v[60:61]
	v_not_b32_e32 v9, v9
	v_not_b32_e32 v8, v8
	v_lshlrev_b64 v[22:23], v17, 1
	v_lshrrev_b32_e32 v17, 23, v32
	v_and_b32_e32 v9, 0, v9
	v_and_b32_e32 v8, v60, v8
	v_add3_u32 v30, v12, v20, v17
	v_bfe_u32 v12, v32, 20, 1
	v_add_u32_e32 v12, -1, v12
	v_cmp_eq_u64_e32 vcc, v[8:9], v[22:23]
	v_cndmask_b32_e32 v8, 0, v12, vcc
	v_add_u32_e32 v8, v8, v32
	v_and_b32_e32 v8, 0xfffff, v8
	v_add_co_u32_e32 v8, vcc, v8, v32
	v_add_u32_e32 v17, 6, v30
	v_addc_co_u32_e32 v9, vcc, 0, v33, vcc
	v_cmp_ne_u32_e32 vcc, 0, v17
                                        ; implicit-def: $vgpr12
	s_and_saveexec_b64 s[28:29], vcc
	s_xor_b64 s[28:29], exec, s[28:29]
; %bb.2464:                             ;   in Loop: Header=BB2_1872 Depth=3
	v_add_u32_e32 v12, 7, v30
	v_cmp_lt_u64_e32 vcc, s[58:59], v[8:9]
	v_cndmask_b32_e32 v12, v17, v12, vcc
	v_cndmask_b32_e64 v17, 0, 1, vcc
	v_lshrrev_b64 v[8:9], v17, v[8:9]
; %bb.2465:                             ;   in Loop: Header=BB2_1872 Depth=3
	s_andn2_saveexec_b64 s[28:29], s[28:29]
; %bb.2466:                             ;   in Loop: Header=BB2_1872 Depth=3
	v_bfe_u32 v12, v8, 23, 1
; %bb.2467:                             ;   in Loop: Header=BB2_1872 Depth=3
	s_or_b64 exec, exec, s[28:29]
	v_lshrrev_b64 v[8:9], 20, v[8:9]
	v_cmp_gt_i32_e32 vcc, 16, v12
	v_cndmask_b32_e32 v9, 0, v9, vcc
	v_cndmask_b32_e32 v8, 7, v8, vcc
	v_cmp_eq_u64_e64 s[28:29], 0, v[8:9]
	v_min_i32_e32 v9, 15, v12
	v_cmp_eq_u32_e32 vcc, 0, v12
	v_lshlrev_b32_e32 v9, 3, v9
	v_and_or_b32 v8, v8, 7, v9
	s_and_b64 s[28:29], vcc, s[28:29]
	v_cndmask_b32_e64 v8, v8, 0, s[28:29]
	v_or_b32_e32 v17, v8, v1
.LBB2_2468:                             ;   in Loop: Header=BB2_1872 Depth=3
	s_or_b64 exec, exec, s[68:69]
.LBB2_2469:                             ;   in Loop: Header=BB2_1872 Depth=3
	s_or_b64 exec, exec, s[66:67]
                                        ; implicit-def: $vgpr8
.LBB2_2470:                             ;   in Loop: Header=BB2_1872 Depth=3
	s_andn2_saveexec_b64 s[28:29], s[36:37]
; %bb.2471:                             ;   in Loop: Header=BB2_1872 Depth=3
	v_or_b32_sdwa v1, v8, s92 dst_sel:DWORD dst_unused:UNUSED_PAD src0_sel:BYTE_3 src1_sel:DWORD
	v_cmp_eq_u64_e32 vcc, 0, v[60:61]
	v_cndmask_b32_e32 v17, v1, v17, vcc
; %bb.2472:                             ;   in Loop: Header=BB2_1872 Depth=3
	s_or_b64 exec, exec, s[28:29]
	v_lshrrev_b16_e32 v8, 8, v14
	v_cmp_ne_u16_e32 vcc, 0, v8
	v_mov_b32_e32 v1, 0
	v_mov_b32_e32 v9, 0
	s_and_saveexec_b64 s[28:29], vcc
	s_cbranch_execz .LBB2_2478
; %bb.2473:                             ;   in Loop: Header=BB2_1872 Depth=3
	v_cmp_ne_u16_e32 vcc, s91, v8
	v_bfrev_b32_e32 v9, 1
	s_and_saveexec_b64 s[36:37], vcc
	s_cbranch_execz .LBB2_2477
; %bb.2474:                             ;   in Loop: Header=BB2_1872 Depth=3
	v_and_b32_e32 v12, 0x7f, v8
	v_cmp_ne_u32_e32 vcc, s92, v12
	v_mov_b32_e32 v9, 0x7f800001
	s_and_saveexec_b64 s[66:67], vcc
	s_cbranch_execz .LBB2_2476
; %bb.2475:                             ;   in Loop: Header=BB2_1872 Depth=3
	v_and_b32_e32 v20, 7, v8
	v_ffbh_u32_e32 v9, v20
	v_min_u32_e32 v23, 32, v9
	v_subrev_u32_e32 v9, 28, v23
	v_lshlrev_b64 v[8:9], v9, v[8:9]
	v_lshrrev_b32_e32 v22, 3, v12
	v_sub_u32_e32 v9, 29, v23
	v_and_b32_e32 v8, 7, v8
	v_cmp_gt_u32_e32 vcc, 8, v12
	v_cndmask_b32_e32 v9, v22, v9, vcc
	v_cndmask_b32_e32 v8, v20, v8, vcc
	v_lshlrev_b32_e32 v12, 16, v14
	v_lshlrev_b32_e32 v8, 20, v8
	v_and_b32_e32 v12, 0x80000000, v12
	v_lshl_add_u32 v9, v9, 23, v0
	v_or3_b32 v9, v12, v9, v8
.LBB2_2476:                             ;   in Loop: Header=BB2_1872 Depth=3
	s_or_b64 exec, exec, s[66:67]
.LBB2_2477:                             ;   in Loop: Header=BB2_1872 Depth=3
	s_or_b64 exec, exec, s[36:37]
.LBB2_2478:                             ;   in Loop: Header=BB2_1872 Depth=3
	s_or_b64 exec, exec, s[28:29]
	v_lshrrev_b16_e32 v8, 8, v10
	v_cmp_ne_u16_e32 vcc, 0, v8
	s_and_saveexec_b64 s[28:29], vcc
	s_cbranch_execz .LBB2_2484
; %bb.2479:                             ;   in Loop: Header=BB2_1872 Depth=3
	v_cmp_ne_u16_e32 vcc, s91, v8
	v_bfrev_b32_e32 v1, 1
	s_and_saveexec_b64 s[36:37], vcc
	s_cbranch_execz .LBB2_2483
; %bb.2480:                             ;   in Loop: Header=BB2_1872 Depth=3
	v_and_b32_e32 v12, 0x7f, v8
	v_cmp_ne_u32_e32 vcc, s92, v12
	v_mov_b32_e32 v1, 0x7f800001
	s_and_saveexec_b64 s[66:67], vcc
	s_cbranch_execz .LBB2_2482
; %bb.2481:                             ;   in Loop: Header=BB2_1872 Depth=3
	v_and_b32_e32 v1, 7, v8
	v_ffbh_u32_e32 v22, v1
	v_min_u32_e32 v30, 32, v22
	v_subrev_u32_e32 v22, 28, v30
	v_lshlrev_b64 v[22:23], v22, v[8:9]
	v_lshrrev_b32_e32 v20, 3, v12
	v_sub_u32_e32 v8, 29, v30
	v_and_b32_e32 v22, 7, v22
	v_cmp_gt_u32_e32 vcc, 8, v12
	v_cndmask_b32_e32 v8, v20, v8, vcc
	v_cndmask_b32_e32 v1, v1, v22, vcc
	v_lshlrev_b32_e32 v12, 16, v10
	v_lshlrev_b32_e32 v1, 20, v1
	v_and_b32_e32 v12, 0x80000000, v12
	v_lshl_add_u32 v8, v8, 23, v0
	v_or3_b32 v1, v12, v8, v1
.LBB2_2482:                             ;   in Loop: Header=BB2_1872 Depth=3
	s_or_b64 exec, exec, s[66:67]
.LBB2_2483:                             ;   in Loop: Header=BB2_1872 Depth=3
	s_or_b64 exec, exec, s[36:37]
.LBB2_2484:                             ;   in Loop: Header=BB2_1872 Depth=3
	s_or_b64 exec, exec, s[28:29]
	v_add_f32_e32 v8, v9, v1
	v_and_b32_sdwa v1, v8, s91 dst_sel:DWORD dst_unused:UNUSED_PAD src0_sel:BYTE_3 src1_sel:DWORD
	v_and_b32_e32 v22, 0x7f800000, v8
	v_mov_b32_e32 v23, v61
	v_and_b32_e32 v60, 0x7fffff, v8
	v_or_b32_e32 v31, 0x7e, v1
	v_cmp_ne_u64_e32 vcc, s[54:55], v[22:23]
	s_and_saveexec_b64 s[28:29], vcc
	s_xor_b64 s[36:37], exec, s[28:29]
	s_cbranch_execz .LBB2_2494
; %bb.2485:                             ;   in Loop: Header=BB2_1872 Depth=3
	v_and_b32_e32 v22, 0x7fffffff, v8
	v_mov_b32_e32 v23, v61
	v_cmp_gt_u64_e32 vcc, s[56:57], v[22:23]
	s_and_saveexec_b64 s[66:67], vcc
	s_cbranch_execz .LBB2_2493
; %bb.2486:                             ;   in Loop: Header=BB2_1872 Depth=3
	v_cmp_ne_u32_e32 vcc, 0, v8
	v_mov_b32_e32 v31, 0
	s_and_saveexec_b64 s[68:69], vcc
	s_cbranch_execz .LBB2_2492
; %bb.2487:                             ;   in Loop: Header=BB2_1872 Depth=3
	v_bfe_u32 v8, v8, 23, 8
	v_sub_u32_e32 v12, 0x79, v8
	v_cmp_gt_u32_e32 vcc, s93, v8
	v_add_u32_e32 v9, 0xffffff81, v8
	v_cndmask_b32_e32 v12, 0, v12, vcc
	v_cmp_eq_u32_e32 vcc, 0, v8
	v_mov_b32_e32 v8, 0xffffff82
	v_cndmask_b32_e32 v30, v9, v8, vcc
	v_mov_b32_e32 v8, 0x78
	v_or_b32_e32 v20, 0x800000, v60
	v_cndmask_b32_e32 v12, v12, v8, vcc
	v_cndmask_b32_e32 v60, v20, v60, vcc
	v_add_u32_e32 v8, 20, v12
	v_lshlrev_b64 v[8:9], v8, -1
	v_add_u32_e32 v20, 19, v12
	v_lshrrev_b64 v[32:33], v12, v[60:61]
	v_not_b32_e32 v9, v9
	v_not_b32_e32 v8, v8
	v_lshlrev_b64 v[22:23], v20, 1
	v_lshrrev_b32_e32 v20, 23, v32
	v_and_b32_e32 v9, 0, v9
	v_and_b32_e32 v8, v60, v8
	v_add3_u32 v31, v12, v30, v20
	v_bfe_u32 v12, v32, 20, 1
	v_add_u32_e32 v12, -1, v12
	v_cmp_eq_u64_e32 vcc, v[8:9], v[22:23]
	v_cndmask_b32_e32 v8, 0, v12, vcc
	v_add_u32_e32 v8, v8, v32
	v_and_b32_e32 v8, 0xfffff, v8
	v_add_co_u32_e32 v8, vcc, v8, v32
	v_add_u32_e32 v30, 6, v31
	v_addc_co_u32_e32 v9, vcc, 0, v33, vcc
	v_cmp_ne_u32_e32 vcc, 0, v30
                                        ; implicit-def: $vgpr12
	s_and_saveexec_b64 s[28:29], vcc
	s_xor_b64 s[28:29], exec, s[28:29]
; %bb.2488:                             ;   in Loop: Header=BB2_1872 Depth=3
	v_cmp_lt_u64_e32 vcc, s[58:59], v[8:9]
	v_add_u32_e32 v12, 7, v31
	v_cndmask_b32_e64 v20, 0, 1, vcc
	v_cndmask_b32_e32 v12, v30, v12, vcc
	v_lshrrev_b64 v[8:9], v20, v[8:9]
; %bb.2489:                             ;   in Loop: Header=BB2_1872 Depth=3
	s_andn2_saveexec_b64 s[28:29], s[28:29]
; %bb.2490:                             ;   in Loop: Header=BB2_1872 Depth=3
	v_bfe_u32 v12, v8, 23, 1
; %bb.2491:                             ;   in Loop: Header=BB2_1872 Depth=3
	s_or_b64 exec, exec, s[28:29]
	v_lshrrev_b64 v[8:9], 20, v[8:9]
	v_cmp_gt_i32_e32 vcc, 16, v12
	v_cndmask_b32_e32 v9, 0, v9, vcc
	v_cndmask_b32_e32 v8, 7, v8, vcc
	v_cmp_eq_u64_e64 s[28:29], 0, v[8:9]
	v_min_i32_e32 v9, 15, v12
	v_cmp_eq_u32_e32 vcc, 0, v12
	v_lshlrev_b32_e32 v9, 3, v9
	v_and_or_b32 v8, v8, 7, v9
	s_and_b64 s[28:29], vcc, s[28:29]
	v_cndmask_b32_e64 v8, v8, 0, s[28:29]
	v_or_b32_e32 v31, v8, v1
.LBB2_2492:                             ;   in Loop: Header=BB2_1872 Depth=3
	s_or_b64 exec, exec, s[68:69]
.LBB2_2493:                             ;   in Loop: Header=BB2_1872 Depth=3
	s_or_b64 exec, exec, s[66:67]
                                        ; implicit-def: $vgpr8
.LBB2_2494:                             ;   in Loop: Header=BB2_1872 Depth=3
	s_andn2_saveexec_b64 s[28:29], s[36:37]
; %bb.2495:                             ;   in Loop: Header=BB2_1872 Depth=3
	v_or_b32_sdwa v1, v8, s92 dst_sel:DWORD dst_unused:UNUSED_PAD src0_sel:BYTE_3 src1_sel:DWORD
	v_cmp_eq_u64_e32 vcc, 0, v[60:61]
	v_cndmask_b32_e32 v31, v1, v31, vcc
; %bb.2496:                             ;   in Loop: Header=BB2_1872 Depth=3
	s_or_b64 exec, exec, s[28:29]
	v_lshrrev_b32_e32 v8, 16, v14
	v_cmp_ne_u16_sdwa vcc, v8, v61 src0_sel:BYTE_0 src1_sel:DWORD
	v_mov_b32_e32 v1, 0
	v_mov_b32_e32 v9, 0
	s_and_saveexec_b64 s[28:29], vcc
	s_cbranch_execz .LBB2_2502
; %bb.2497:                             ;   in Loop: Header=BB2_1872 Depth=3
	v_cmp_ne_u16_sdwa vcc, v8, s91 src0_sel:BYTE_0 src1_sel:DWORD
	v_bfrev_b32_e32 v9, 1
	s_and_saveexec_b64 s[36:37], vcc
	s_cbranch_execz .LBB2_2501
; %bb.2498:                             ;   in Loop: Header=BB2_1872 Depth=3
	v_bfe_u32 v12, v14, 16, 7
	v_cmp_ne_u32_e32 vcc, s92, v12
	v_mov_b32_e32 v9, 0x7f800001
	s_and_saveexec_b64 s[66:67], vcc
	s_cbranch_execz .LBB2_2500
; %bb.2499:                             ;   in Loop: Header=BB2_1872 Depth=3
	v_and_b32_e32 v9, 7, v8
	v_ffbh_u32_e32 v22, v9
	v_min_u32_e32 v30, 32, v22
	v_subrev_u32_e32 v22, 28, v30
	v_lshlrev_b64 v[22:23], v22, v[8:9]
	v_lshrrev_b32_e32 v20, 3, v12
	v_sub_u32_e32 v23, 29, v30
	v_and_b32_e32 v22, 7, v22
	v_cmp_gt_u32_e32 vcc, 8, v12
	v_cndmask_b32_e32 v12, v20, v23, vcc
	v_cndmask_b32_e32 v9, v9, v22, vcc
	v_lshlrev_b32_e32 v8, 24, v8
	v_lshlrev_b32_e32 v9, 20, v9
	v_and_b32_e32 v8, 0x80000000, v8
	v_lshl_add_u32 v12, v12, 23, v0
	v_or3_b32 v9, v8, v12, v9
.LBB2_2500:                             ;   in Loop: Header=BB2_1872 Depth=3
	s_or_b64 exec, exec, s[66:67]
.LBB2_2501:                             ;   in Loop: Header=BB2_1872 Depth=3
	s_or_b64 exec, exec, s[36:37]
.LBB2_2502:                             ;   in Loop: Header=BB2_1872 Depth=3
	s_or_b64 exec, exec, s[28:29]
	v_lshrrev_b32_e32 v8, 16, v10
	v_cmp_ne_u16_sdwa vcc, v8, v61 src0_sel:BYTE_0 src1_sel:DWORD
	s_and_saveexec_b64 s[28:29], vcc
	s_cbranch_execz .LBB2_2508
; %bb.2503:                             ;   in Loop: Header=BB2_1872 Depth=3
	v_cmp_ne_u16_sdwa vcc, v8, s91 src0_sel:BYTE_0 src1_sel:DWORD
	v_bfrev_b32_e32 v1, 1
	s_and_saveexec_b64 s[36:37], vcc
	s_cbranch_execz .LBB2_2507
; %bb.2504:                             ;   in Loop: Header=BB2_1872 Depth=3
	v_bfe_u32 v12, v10, 16, 7
	v_cmp_ne_u32_e32 vcc, s92, v12
	v_mov_b32_e32 v1, 0x7f800001
	s_and_saveexec_b64 s[66:67], vcc
	s_cbranch_execz .LBB2_2506
; %bb.2505:                             ;   in Loop: Header=BB2_1872 Depth=3
	v_and_b32_e32 v1, 7, v8
	v_ffbh_u32_e32 v22, v1
	v_min_u32_e32 v30, 32, v22
	v_subrev_u32_e32 v22, 28, v30
	v_lshlrev_b64 v[22:23], v22, v[8:9]
	v_lshrrev_b32_e32 v20, 3, v12
	v_sub_u32_e32 v8, 29, v30
	v_and_b32_e32 v22, 7, v22
	v_cmp_gt_u32_e32 vcc, 8, v12
	v_cndmask_b32_e32 v8, v20, v8, vcc
	v_cndmask_b32_e32 v1, v1, v22, vcc
	v_lshlrev_b32_e32 v12, 8, v10
	v_lshlrev_b32_e32 v1, 20, v1
	v_and_b32_e32 v12, 0x80000000, v12
	v_lshl_add_u32 v8, v8, 23, v0
	v_or3_b32 v1, v12, v8, v1
.LBB2_2506:                             ;   in Loop: Header=BB2_1872 Depth=3
	s_or_b64 exec, exec, s[66:67]
.LBB2_2507:                             ;   in Loop: Header=BB2_1872 Depth=3
	s_or_b64 exec, exec, s[36:37]
.LBB2_2508:                             ;   in Loop: Header=BB2_1872 Depth=3
	s_or_b64 exec, exec, s[28:29]
	v_add_f32_e32 v8, v9, v1
	v_and_b32_sdwa v12, v8, s91 dst_sel:DWORD dst_unused:UNUSED_PAD src0_sel:BYTE_3 src1_sel:DWORD
	v_and_b32_e32 v22, 0x7f800000, v8
	v_mov_b32_e32 v23, v61
	v_and_b32_e32 v60, 0x7fffff, v8
	v_or_b32_e32 v1, 0x7e, v12
	v_cmp_ne_u64_e32 vcc, s[54:55], v[22:23]
	s_and_saveexec_b64 s[28:29], vcc
	s_xor_b64 s[36:37], exec, s[28:29]
	s_cbranch_execz .LBB2_2518
; %bb.2509:                             ;   in Loop: Header=BB2_1872 Depth=3
	v_and_b32_e32 v22, 0x7fffffff, v8
	v_mov_b32_e32 v23, v61
	v_cmp_gt_u64_e32 vcc, s[56:57], v[22:23]
	s_and_saveexec_b64 s[66:67], vcc
	s_cbranch_execz .LBB2_2517
; %bb.2510:                             ;   in Loop: Header=BB2_1872 Depth=3
	v_cmp_ne_u32_e32 vcc, 0, v8
	v_mov_b32_e32 v1, 0
	s_and_saveexec_b64 s[68:69], vcc
	s_cbranch_execz .LBB2_2516
; %bb.2511:                             ;   in Loop: Header=BB2_1872 Depth=3
	v_bfe_u32 v1, v8, 23, 8
	v_sub_u32_e32 v9, 0x79, v1
	v_cmp_gt_u32_e32 vcc, s93, v1
	v_add_u32_e32 v8, 0xffffff81, v1
	v_cndmask_b32_e32 v9, 0, v9, vcc
	v_cmp_eq_u32_e32 vcc, 0, v1
	v_mov_b32_e32 v1, 0xffffff82
	v_cndmask_b32_e32 v1, v8, v1, vcc
	v_mov_b32_e32 v8, 0x78
	v_or_b32_e32 v20, 0x800000, v60
	v_cndmask_b32_e32 v30, v9, v8, vcc
	v_cndmask_b32_e32 v60, v20, v60, vcc
	v_add_u32_e32 v8, 20, v30
	v_lshlrev_b64 v[8:9], v8, -1
	v_add_u32_e32 v20, 19, v30
	v_lshrrev_b64 v[32:33], v30, v[60:61]
	v_not_b32_e32 v9, v9
	v_not_b32_e32 v8, v8
	v_lshlrev_b64 v[22:23], v20, 1
	v_lshrrev_b32_e32 v20, 23, v32
	v_and_b32_e32 v9, 0, v9
	v_and_b32_e32 v8, v60, v8
	v_add3_u32 v54, v30, v1, v20
	v_bfe_u32 v1, v32, 20, 1
	v_add_u32_e32 v1, -1, v1
	v_cmp_eq_u64_e32 vcc, v[8:9], v[22:23]
	v_cndmask_b32_e32 v1, 0, v1, vcc
	v_add_u32_e32 v1, v1, v32
	v_and_b32_e32 v1, 0xfffff, v1
	v_add_co_u32_e32 v8, vcc, v1, v32
	v_add_u32_e32 v30, 6, v54
	v_addc_co_u32_e32 v9, vcc, 0, v33, vcc
	v_cmp_ne_u32_e32 vcc, 0, v30
                                        ; implicit-def: $vgpr1
	s_and_saveexec_b64 s[28:29], vcc
	s_xor_b64 s[28:29], exec, s[28:29]
; %bb.2512:                             ;   in Loop: Header=BB2_1872 Depth=3
	v_cmp_lt_u64_e32 vcc, s[58:59], v[8:9]
	v_add_u32_e32 v1, 7, v54
	v_cndmask_b32_e64 v20, 0, 1, vcc
	v_cndmask_b32_e32 v1, v30, v1, vcc
	v_lshrrev_b64 v[8:9], v20, v[8:9]
; %bb.2513:                             ;   in Loop: Header=BB2_1872 Depth=3
	s_andn2_saveexec_b64 s[28:29], s[28:29]
; %bb.2514:                             ;   in Loop: Header=BB2_1872 Depth=3
	v_bfe_u32 v1, v8, 23, 1
; %bb.2515:                             ;   in Loop: Header=BB2_1872 Depth=3
	s_or_b64 exec, exec, s[28:29]
	v_lshrrev_b64 v[8:9], 20, v[8:9]
	v_cmp_gt_i32_e32 vcc, 16, v1
	v_cndmask_b32_e32 v9, 0, v9, vcc
	v_cndmask_b32_e32 v8, 7, v8, vcc
	v_cmp_eq_u32_e32 vcc, 0, v1
	v_min_i32_e32 v1, 15, v1
	v_cmp_eq_u64_e64 s[28:29], 0, v[8:9]
	v_lshlrev_b32_e32 v1, 3, v1
	v_and_or_b32 v1, v8, 7, v1
	s_and_b64 s[28:29], vcc, s[28:29]
	v_cndmask_b32_e64 v1, v1, 0, s[28:29]
	v_or_b32_e32 v1, v1, v12
.LBB2_2516:                             ;   in Loop: Header=BB2_1872 Depth=3
	s_or_b64 exec, exec, s[68:69]
.LBB2_2517:                             ;   in Loop: Header=BB2_1872 Depth=3
	s_or_b64 exec, exec, s[66:67]
                                        ; implicit-def: $vgpr8
.LBB2_2518:                             ;   in Loop: Header=BB2_1872 Depth=3
	s_andn2_saveexec_b64 s[28:29], s[36:37]
; %bb.2519:                             ;   in Loop: Header=BB2_1872 Depth=3
	v_or_b32_sdwa v8, v8, s92 dst_sel:DWORD dst_unused:UNUSED_PAD src0_sel:BYTE_3 src1_sel:DWORD
	v_cmp_eq_u64_e32 vcc, 0, v[60:61]
	v_cndmask_b32_e32 v1, v8, v1, vcc
; %bb.2520:                             ;   in Loop: Header=BB2_1872 Depth=3
	s_or_b64 exec, exec, s[28:29]
	v_cmp_lt_u32_e32 vcc, s45, v14
	v_mov_b32_e32 v9, 0
	v_mov_b32_e32 v12, 0
	s_and_saveexec_b64 s[28:29], vcc
	s_cbranch_execz .LBB2_2526
; %bb.2521:                             ;   in Loop: Header=BB2_1872 Depth=3
	v_lshrrev_b32_e32 v8, 24, v14
	v_cmp_ne_u32_e32 vcc, s91, v8
	v_bfrev_b32_e32 v12, 1
	s_and_saveexec_b64 s[36:37], vcc
	s_cbranch_execz .LBB2_2525
; %bb.2522:                             ;   in Loop: Header=BB2_1872 Depth=3
	v_bfe_u32 v30, v14, 24, 7
	v_cmp_ne_u32_e32 vcc, s92, v30
	v_mov_b32_e32 v12, 0x7f800001
	s_and_saveexec_b64 s[66:67], vcc
	s_cbranch_execz .LBB2_2524
; %bb.2523:                             ;   in Loop: Header=BB2_1872 Depth=3
	v_and_b32_e32 v12, 7, v8
	v_ffbh_u32_e32 v22, v12
	v_min_u32_e32 v32, 32, v22
	v_subrev_u32_e32 v22, 28, v32
	v_lshlrev_b64 v[22:23], v22, v[8:9]
	v_lshrrev_b32_e32 v20, 3, v30
	v_sub_u32_e32 v23, 29, v32
	v_and_b32_e32 v22, 7, v22
	v_cmp_gt_u32_e32 vcc, 8, v30
	v_cndmask_b32_e32 v20, v20, v23, vcc
	v_cndmask_b32_e32 v12, v12, v22, vcc
	v_lshlrev_b32_e32 v8, 24, v8
	v_lshlrev_b32_e32 v12, 20, v12
	v_and_b32_e32 v8, 0x80000000, v8
	v_lshl_add_u32 v20, v20, 23, v0
	v_or3_b32 v12, v8, v20, v12
.LBB2_2524:                             ;   in Loop: Header=BB2_1872 Depth=3
	s_or_b64 exec, exec, s[66:67]
.LBB2_2525:                             ;   in Loop: Header=BB2_1872 Depth=3
	s_or_b64 exec, exec, s[36:37]
.LBB2_2526:                             ;   in Loop: Header=BB2_1872 Depth=3
	s_or_b64 exec, exec, s[28:29]
	v_cmp_lt_u32_e32 vcc, s45, v10
	s_and_saveexec_b64 s[28:29], vcc
	s_cbranch_execz .LBB2_2532
; %bb.2527:                             ;   in Loop: Header=BB2_1872 Depth=3
	v_lshrrev_b32_e32 v8, 24, v10
	v_cmp_ne_u32_e32 vcc, s91, v8
	v_bfrev_b32_e32 v9, 1
	s_and_saveexec_b64 s[36:37], vcc
	s_cbranch_execz .LBB2_2531
; %bb.2528:                             ;   in Loop: Header=BB2_1872 Depth=3
	v_bfe_u32 v30, v10, 24, 7
	v_cmp_ne_u32_e32 vcc, s92, v30
	v_mov_b32_e32 v9, 0x7f800001
	s_and_saveexec_b64 s[66:67], vcc
	s_cbranch_execz .LBB2_2530
; %bb.2529:                             ;   in Loop: Header=BB2_1872 Depth=3
	v_and_b32_e32 v9, 7, v8
	v_ffbh_u32_e32 v22, v9
	v_min_u32_e32 v32, 32, v22
	v_subrev_u32_e32 v22, 28, v32
	v_lshlrev_b64 v[22:23], v22, v[8:9]
	v_lshrrev_b32_e32 v20, 3, v30
	v_sub_u32_e32 v23, 29, v32
	v_and_b32_e32 v22, 7, v22
	v_cmp_gt_u32_e32 vcc, 8, v30
	v_cndmask_b32_e32 v20, v20, v23, vcc
	v_cndmask_b32_e32 v9, v9, v22, vcc
	v_lshlrev_b32_e32 v8, 24, v8
	v_lshlrev_b32_e32 v9, 20, v9
	v_and_b32_e32 v8, 0x80000000, v8
	v_lshl_add_u32 v20, v20, 23, v0
	v_or3_b32 v9, v8, v20, v9
.LBB2_2530:                             ;   in Loop: Header=BB2_1872 Depth=3
	s_or_b64 exec, exec, s[66:67]
.LBB2_2531:                             ;   in Loop: Header=BB2_1872 Depth=3
	s_or_b64 exec, exec, s[36:37]
.LBB2_2532:                             ;   in Loop: Header=BB2_1872 Depth=3
	s_or_b64 exec, exec, s[28:29]
	v_add_f32_e32 v8, v12, v9
	v_and_b32_sdwa v12, v8, s91 dst_sel:DWORD dst_unused:UNUSED_PAD src0_sel:BYTE_3 src1_sel:DWORD
	v_and_b32_e32 v22, 0x7f800000, v8
	v_mov_b32_e32 v23, v61
	v_and_b32_e32 v60, 0x7fffff, v8
	v_or_b32_e32 v58, 0x7e, v12
	v_cmp_ne_u64_e32 vcc, s[54:55], v[22:23]
	s_and_saveexec_b64 s[28:29], vcc
	s_xor_b64 s[36:37], exec, s[28:29]
	s_cbranch_execz .LBB2_2542
; %bb.2533:                             ;   in Loop: Header=BB2_1872 Depth=3
	v_and_b32_e32 v22, 0x7fffffff, v8
	v_mov_b32_e32 v23, v61
	v_cmp_gt_u64_e32 vcc, s[56:57], v[22:23]
	s_and_saveexec_b64 s[66:67], vcc
	s_cbranch_execz .LBB2_2541
; %bb.2534:                             ;   in Loop: Header=BB2_1872 Depth=3
	v_cmp_ne_u32_e32 vcc, 0, v8
	v_mov_b32_e32 v58, 0
	s_and_saveexec_b64 s[68:69], vcc
	s_cbranch_execz .LBB2_2540
; %bb.2535:                             ;   in Loop: Header=BB2_1872 Depth=3
	v_bfe_u32 v8, v8, 23, 8
	v_sub_u32_e32 v20, 0x79, v8
	v_cmp_gt_u32_e32 vcc, s93, v8
	v_add_u32_e32 v9, 0xffffff81, v8
	v_cndmask_b32_e32 v20, 0, v20, vcc
	v_cmp_eq_u32_e32 vcc, 0, v8
	v_mov_b32_e32 v8, 0xffffff82
	v_cndmask_b32_e32 v30, v9, v8, vcc
	v_mov_b32_e32 v8, 0x78
	v_or_b32_e32 v22, 0x800000, v60
	v_cndmask_b32_e32 v20, v20, v8, vcc
	v_cndmask_b32_e32 v60, v22, v60, vcc
	v_add_u32_e32 v8, 20, v20
	v_lshlrev_b64 v[8:9], v8, -1
	v_lshrrev_b64 v[32:33], v20, v[60:61]
	v_not_b32_e32 v9, v9
	v_not_b32_e32 v8, v8
	v_add_u32_e32 v22, 19, v20
	v_lshrrev_b32_e32 v34, 23, v32
	v_mov_b32_e32 v59, v40
	v_and_b32_e32 v9, 0, v9
	v_and_b32_e32 v8, v60, v8
	v_lshlrev_b64 v[22:23], v22, 1
	v_add3_u32 v40, v20, v30, v34
	v_bfe_u32 v20, v32, 20, 1
	v_add_u32_e32 v20, -1, v20
	v_cmp_eq_u64_e32 vcc, v[8:9], v[22:23]
	v_cndmask_b32_e32 v8, 0, v20, vcc
	v_add_u32_e32 v8, v8, v32
	v_and_b32_e32 v8, 0xfffff, v8
	v_add_co_u32_e32 v8, vcc, v8, v32
	v_add_u32_e32 v54, 6, v40
	v_addc_co_u32_e32 v9, vcc, 0, v33, vcc
	v_cmp_ne_u32_e32 vcc, 0, v54
                                        ; implicit-def: $vgpr30
	s_and_saveexec_b64 s[28:29], vcc
	s_xor_b64 s[28:29], exec, s[28:29]
; %bb.2536:                             ;   in Loop: Header=BB2_1872 Depth=3
	v_add_u32_e32 v20, 7, v40
	v_cmp_lt_u64_e32 vcc, s[58:59], v[8:9]
	v_cndmask_b32_e32 v30, v54, v20, vcc
	v_cndmask_b32_e64 v20, 0, 1, vcc
	v_lshrrev_b64 v[8:9], v20, v[8:9]
; %bb.2537:                             ;   in Loop: Header=BB2_1872 Depth=3
	s_andn2_saveexec_b64 s[28:29], s[28:29]
; %bb.2538:                             ;   in Loop: Header=BB2_1872 Depth=3
	v_bfe_u32 v30, v8, 23, 1
; %bb.2539:                             ;   in Loop: Header=BB2_1872 Depth=3
	s_or_b64 exec, exec, s[28:29]
	v_lshrrev_b64 v[8:9], 20, v[8:9]
	v_cmp_gt_i32_e32 vcc, 16, v30
	v_cndmask_b32_e32 v9, 0, v9, vcc
	v_cndmask_b32_e32 v8, 7, v8, vcc
	v_cmp_eq_u64_e64 s[28:29], 0, v[8:9]
	v_min_i32_e32 v9, 15, v30
	v_cmp_eq_u32_e32 vcc, 0, v30
	v_lshlrev_b32_e32 v9, 3, v9
	v_and_or_b32 v8, v8, 7, v9
	s_and_b64 s[28:29], vcc, s[28:29]
	v_cndmask_b32_e64 v8, v8, 0, s[28:29]
	v_or_b32_e32 v58, v8, v12
	v_mov_b32_e32 v40, v59
.LBB2_2540:                             ;   in Loop: Header=BB2_1872 Depth=3
	s_or_b64 exec, exec, s[68:69]
.LBB2_2541:                             ;   in Loop: Header=BB2_1872 Depth=3
	s_or_b64 exec, exec, s[66:67]
                                        ; implicit-def: $vgpr8
.LBB2_2542:                             ;   in Loop: Header=BB2_1872 Depth=3
	s_andn2_saveexec_b64 s[28:29], s[36:37]
; %bb.2543:                             ;   in Loop: Header=BB2_1872 Depth=3
	v_or_b32_sdwa v8, v8, s92 dst_sel:DWORD dst_unused:UNUSED_PAD src0_sel:BYTE_3 src1_sel:DWORD
	v_cmp_eq_u64_e32 vcc, 0, v[60:61]
	v_cndmask_b32_e32 v58, v8, v58, vcc
; %bb.2544:                             ;   in Loop: Header=BB2_1872 Depth=3
	s_or_b64 exec, exec, s[28:29]
	v_mov_b32_e32 v60, v15
	v_cmp_ne_u16_sdwa vcc, v15, v61 src0_sel:BYTE_0 src1_sel:DWORD
	v_mov_b32_e32 v9, 0
	v_mov_b32_e32 v8, 0
	s_and_saveexec_b64 s[28:29], vcc
	s_cbranch_execz .LBB2_2550
; %bb.2545:                             ;   in Loop: Header=BB2_1872 Depth=3
	v_cmp_ne_u16_sdwa vcc, v15, s91 src0_sel:BYTE_0 src1_sel:DWORD
	v_bfrev_b32_e32 v8, 1
	s_and_saveexec_b64 s[36:37], vcc
	s_cbranch_execz .LBB2_2549
; %bb.2546:                             ;   in Loop: Header=BB2_1872 Depth=3
	v_and_b32_e32 v12, 0x7f, v15
	v_cmp_ne_u32_e32 vcc, s92, v12
	v_mov_b32_e32 v8, 0x7f800001
	s_and_saveexec_b64 s[66:67], vcc
	s_cbranch_execz .LBB2_2548
; %bb.2547:                             ;   in Loop: Header=BB2_1872 Depth=3
	v_and_b32_e32 v8, 7, v15
	v_ffbh_u32_e32 v8, v8
	v_min_u32_e32 v8, 32, v8
	v_subrev_u32_e32 v22, 28, v8
	v_cmp_gt_u32_e32 vcc, 8, v12
	v_lshrrev_b32_e32 v20, 3, v12
	v_cndmask_b32_e32 v12, 0, v22, vcc
	v_sub_u32_e32 v8, 29, v8
	v_lshlrev_b64 v[22:23], v12, v[60:61]
	v_cndmask_b32_e32 v8, v20, v8, vcc
	v_lshlrev_b32_e32 v12, 20, v22
	v_lshlrev_b32_e32 v20, 24, v60
	v_and_b32_e32 v12, 0x700000, v12
	v_and_b32_e32 v20, 0x80000000, v20
	v_lshl_add_u32 v8, v8, 23, v0
	v_or3_b32 v8, v20, v8, v12
.LBB2_2548:                             ;   in Loop: Header=BB2_1872 Depth=3
	s_or_b64 exec, exec, s[66:67]
.LBB2_2549:                             ;   in Loop: Header=BB2_1872 Depth=3
	s_or_b64 exec, exec, s[36:37]
.LBB2_2550:                             ;   in Loop: Header=BB2_1872 Depth=3
	s_or_b64 exec, exec, s[28:29]
	v_cmp_ne_u16_sdwa vcc, v11, v61 src0_sel:BYTE_0 src1_sel:DWORD
	s_and_saveexec_b64 s[28:29], vcc
	s_cbranch_execz .LBB2_2556
; %bb.2551:                             ;   in Loop: Header=BB2_1872 Depth=3
	v_cmp_ne_u16_sdwa vcc, v11, s91 src0_sel:BYTE_0 src1_sel:DWORD
	v_bfrev_b32_e32 v9, 1
	s_and_saveexec_b64 s[36:37], vcc
	s_cbranch_execz .LBB2_2555
; %bb.2552:                             ;   in Loop: Header=BB2_1872 Depth=3
	v_and_b32_e32 v12, 0x7f, v11
	v_cmp_ne_u32_e32 vcc, s92, v12
	v_mov_b32_e32 v9, 0x7f800001
	s_and_saveexec_b64 s[66:67], vcc
	s_cbranch_execz .LBB2_2554
; %bb.2553:                             ;   in Loop: Header=BB2_1872 Depth=3
	v_and_b32_e32 v9, 7, v11
	v_ffbh_u32_e32 v9, v9
	v_min_u32_e32 v9, 32, v9
	v_subrev_u32_e32 v30, 28, v9
	v_cmp_gt_u32_e32 vcc, 8, v12
	v_mov_b32_e32 v22, v11
	v_mov_b32_e32 v23, v61
	v_lshrrev_b32_e32 v20, 3, v12
	v_cndmask_b32_e32 v12, 0, v30, vcc
	v_sub_u32_e32 v9, 29, v9
	v_lshlrev_b64 v[32:33], v12, v[22:23]
	v_cndmask_b32_e32 v9, v20, v9, vcc
	v_lshlrev_b32_e32 v12, 20, v32
	v_lshlrev_b32_e32 v20, 24, v22
	v_and_b32_e32 v12, 0x700000, v12
	v_and_b32_e32 v20, 0x80000000, v20
	v_lshl_add_u32 v9, v9, 23, v0
	v_or3_b32 v9, v20, v9, v12
.LBB2_2554:                             ;   in Loop: Header=BB2_1872 Depth=3
	s_or_b64 exec, exec, s[66:67]
.LBB2_2555:                             ;   in Loop: Header=BB2_1872 Depth=3
	s_or_b64 exec, exec, s[36:37]
.LBB2_2556:                             ;   in Loop: Header=BB2_1872 Depth=3
	s_or_b64 exec, exec, s[28:29]
	v_add_f32_e32 v30, v8, v9
	v_and_b32_sdwa v12, v30, s91 dst_sel:DWORD dst_unused:UNUSED_PAD src0_sel:BYTE_3 src1_sel:DWORD
	v_and_b32_e32 v22, 0x7f800000, v30
	v_mov_b32_e32 v23, v61
	v_and_b32_e32 v8, 0x7fffff, v30
	v_mov_b32_e32 v9, v61
	v_or_b32_e32 v59, 0x7e, v12
	v_cmp_ne_u64_e32 vcc, s[54:55], v[22:23]
	s_and_saveexec_b64 s[28:29], vcc
	s_xor_b64 s[36:37], exec, s[28:29]
	s_cbranch_execz .LBB2_2566
; %bb.2557:                             ;   in Loop: Header=BB2_1872 Depth=3
	v_and_b32_e32 v22, 0x7fffffff, v30
	v_mov_b32_e32 v23, v61
	v_cmp_gt_u64_e32 vcc, s[56:57], v[22:23]
	s_and_saveexec_b64 s[66:67], vcc
	s_cbranch_execz .LBB2_2565
; %bb.2558:                             ;   in Loop: Header=BB2_1872 Depth=3
	v_cmp_ne_u32_e32 vcc, 0, v30
	v_mov_b32_e32 v59, 0
	s_and_saveexec_b64 s[68:69], vcc
	s_cbranch_execz .LBB2_2564
; %bb.2559:                             ;   in Loop: Header=BB2_1872 Depth=3
	v_bfe_u32 v20, v30, 23, 8
	v_sub_u32_e32 v23, 0x79, v20
	v_cmp_gt_u32_e32 vcc, s93, v20
	v_add_u32_e32 v22, 0xffffff81, v20
	v_cndmask_b32_e32 v23, 0, v23, vcc
	v_cmp_eq_u32_e32 vcc, 0, v20
	v_mov_b32_e32 v20, 0xffffff82
	v_cndmask_b32_e32 v20, v22, v20, vcc
	v_mov_b32_e32 v22, 0x78
	v_cndmask_b32_e32 v34, v23, v22, vcc
	v_add_u32_e32 v22, 20, v34
	v_or_b32_e32 v30, 0x800000, v8
	v_lshlrev_b64 v[22:23], v22, -1
	v_cndmask_b32_e32 v8, v30, v8, vcc
	v_not_b32_e32 v22, v22
	v_and_b32_e32 v22, v8, v22
	v_add_u32_e32 v30, 19, v34
	v_lshrrev_b64 v[8:9], v34, v[8:9]
	v_not_b32_e32 v23, v23
	v_lshlrev_b64 v[32:33], v30, 1
	v_lshrrev_b32_e32 v30, 23, v8
	v_accvgpr_write_b32 a61, v40
	v_and_b32_e32 v23, 0, v23
	v_add3_u32 v40, v34, v20, v30
	v_bfe_u32 v20, v8, 20, 1
	v_add_u32_e32 v20, -1, v20
	v_cmp_eq_u64_e32 vcc, v[22:23], v[32:33]
	v_cndmask_b32_e32 v20, 0, v20, vcc
	v_add_u32_e32 v20, v20, v8
	v_and_b32_e32 v20, 0xfffff, v20
	v_add_co_u32_e32 v8, vcc, v20, v8
	v_add_u32_e32 v54, 6, v40
	v_addc_co_u32_e32 v9, vcc, 0, v9, vcc
	v_cmp_ne_u32_e32 vcc, 0, v54
                                        ; implicit-def: $vgpr30
	s_and_saveexec_b64 s[28:29], vcc
	s_xor_b64 s[28:29], exec, s[28:29]
; %bb.2560:                             ;   in Loop: Header=BB2_1872 Depth=3
	v_add_u32_e32 v20, 7, v40
	v_cmp_lt_u64_e32 vcc, s[58:59], v[8:9]
	v_cndmask_b32_e32 v30, v54, v20, vcc
	v_cndmask_b32_e64 v20, 0, 1, vcc
	v_lshrrev_b64 v[8:9], v20, v[8:9]
; %bb.2561:                             ;   in Loop: Header=BB2_1872 Depth=3
	s_andn2_saveexec_b64 s[28:29], s[28:29]
; %bb.2562:                             ;   in Loop: Header=BB2_1872 Depth=3
	v_bfe_u32 v30, v8, 23, 1
; %bb.2563:                             ;   in Loop: Header=BB2_1872 Depth=3
	s_or_b64 exec, exec, s[28:29]
	v_lshrrev_b64 v[8:9], 20, v[8:9]
	v_cmp_gt_i32_e32 vcc, 16, v30
	v_cndmask_b32_e32 v9, 0, v9, vcc
	v_cndmask_b32_e32 v8, 7, v8, vcc
	v_cmp_eq_u64_e64 s[28:29], 0, v[8:9]
	v_min_i32_e32 v9, 15, v30
	v_cmp_eq_u32_e32 vcc, 0, v30
	v_lshlrev_b32_e32 v9, 3, v9
	v_and_or_b32 v8, v8, 7, v9
	s_and_b64 s[28:29], vcc, s[28:29]
	v_cndmask_b32_e64 v8, v8, 0, s[28:29]
	v_or_b32_e32 v59, v8, v12
	v_accvgpr_read_b32 v40, a61
.LBB2_2564:                             ;   in Loop: Header=BB2_1872 Depth=3
	s_or_b64 exec, exec, s[68:69]
.LBB2_2565:                             ;   in Loop: Header=BB2_1872 Depth=3
	s_or_b64 exec, exec, s[66:67]
                                        ; implicit-def: $vgpr30
                                        ; implicit-def: $vgpr8_vgpr9
.LBB2_2566:                             ;   in Loop: Header=BB2_1872 Depth=3
	s_andn2_saveexec_b64 s[28:29], s[36:37]
; %bb.2567:                             ;   in Loop: Header=BB2_1872 Depth=3
	v_or_b32_sdwa v12, v30, s92 dst_sel:DWORD dst_unused:UNUSED_PAD src0_sel:BYTE_3 src1_sel:DWORD
	v_cmp_eq_u64_e32 vcc, 0, v[8:9]
	v_cndmask_b32_e32 v59, v12, v59, vcc
; %bb.2568:                             ;   in Loop: Header=BB2_1872 Depth=3
	s_or_b64 exec, exec, s[28:29]
	v_lshrrev_b16_e32 v8, 8, v60
	v_cmp_ne_u16_e32 vcc, 0, v8
	v_mov_b32_e32 v9, 0
	v_mov_b32_e32 v30, 0
	s_and_saveexec_b64 s[28:29], vcc
	s_cbranch_execz .LBB2_2574
; %bb.2569:                             ;   in Loop: Header=BB2_1872 Depth=3
	v_cmp_ne_u16_e32 vcc, s91, v8
	v_bfrev_b32_e32 v30, 1
	s_and_saveexec_b64 s[36:37], vcc
	s_cbranch_execz .LBB2_2573
; %bb.2570:                             ;   in Loop: Header=BB2_1872 Depth=3
	v_and_b32_e32 v12, 0x7f, v8
	v_cmp_ne_u32_e32 vcc, s92, v12
	v_mov_b32_e32 v30, 0x7f800001
	s_and_saveexec_b64 s[66:67], vcc
	s_cbranch_execz .LBB2_2572
; %bb.2571:                             ;   in Loop: Header=BB2_1872 Depth=3
	v_and_b32_e32 v20, 7, v8
	v_ffbh_u32_e32 v22, v20
	v_min_u32_e32 v32, 32, v22
	v_subrev_u32_e32 v22, 28, v32
	v_lshlrev_b64 v[22:23], v22, v[8:9]
	v_lshrrev_b32_e32 v30, 3, v12
	v_sub_u32_e32 v8, 29, v32
	v_and_b32_e32 v22, 7, v22
	v_cmp_gt_u32_e32 vcc, 8, v12
	v_cndmask_b32_e32 v8, v30, v8, vcc
	v_cndmask_b32_e32 v12, v20, v22, vcc
	v_lshlrev_b32_e32 v20, 16, v60
	v_lshlrev_b32_e32 v12, 20, v12
	v_and_b32_e32 v20, 0x80000000, v20
	v_lshl_add_u32 v8, v8, 23, v0
	v_or3_b32 v30, v20, v8, v12
.LBB2_2572:                             ;   in Loop: Header=BB2_1872 Depth=3
	s_or_b64 exec, exec, s[66:67]
.LBB2_2573:                             ;   in Loop: Header=BB2_1872 Depth=3
	s_or_b64 exec, exec, s[36:37]
.LBB2_2574:                             ;   in Loop: Header=BB2_1872 Depth=3
	s_or_b64 exec, exec, s[28:29]
	v_mov_b32_e32 v8, v11
	v_lshrrev_b16_e32 v12, 8, v8
	v_cmp_ne_u16_e32 vcc, 0, v12
	s_and_saveexec_b64 s[28:29], vcc
	s_cbranch_execz .LBB2_2580
; %bb.2575:                             ;   in Loop: Header=BB2_1872 Depth=3
	v_cmp_ne_u16_e32 vcc, s91, v12
	v_bfrev_b32_e32 v9, 1
	s_and_saveexec_b64 s[36:37], vcc
	s_cbranch_execz .LBB2_2579
; %bb.2576:                             ;   in Loop: Header=BB2_1872 Depth=3
	v_and_b32_e32 v54, 0x7f, v12
	v_cmp_ne_u32_e32 vcc, s92, v54
	v_mov_b32_e32 v9, 0x7f800001
	s_and_saveexec_b64 s[66:67], vcc
	s_cbranch_execz .LBB2_2578
; %bb.2577:                             ;   in Loop: Header=BB2_1872 Depth=3
	v_and_b32_e32 v9, 7, v12
	v_ffbh_u32_e32 v22, v9
	v_min_u32_e32 v32, 32, v22
	v_subrev_u32_e32 v22, 28, v32
	v_lshlrev_b64 v[22:23], v22, v[12:13]
	v_lshrrev_b32_e32 v20, 3, v54
	v_sub_u32_e32 v12, 29, v32
	v_and_b32_e32 v22, 7, v22
	v_cmp_gt_u32_e32 vcc, 8, v54
	v_cndmask_b32_e32 v12, v20, v12, vcc
	v_cndmask_b32_e32 v9, v9, v22, vcc
	v_lshlrev_b32_e32 v8, 16, v8
	v_lshlrev_b32_e32 v9, 20, v9
	v_and_b32_e32 v8, 0x80000000, v8
	v_lshl_add_u32 v12, v12, 23, v0
	v_or3_b32 v9, v8, v12, v9
.LBB2_2578:                             ;   in Loop: Header=BB2_1872 Depth=3
	s_or_b64 exec, exec, s[66:67]
.LBB2_2579:                             ;   in Loop: Header=BB2_1872 Depth=3
	s_or_b64 exec, exec, s[36:37]
.LBB2_2580:                             ;   in Loop: Header=BB2_1872 Depth=3
	s_or_b64 exec, exec, s[28:29]
	v_add_f32_e32 v8, v30, v9
	v_and_b32_sdwa v30, v8, s91 dst_sel:DWORD dst_unused:UNUSED_PAD src0_sel:BYTE_3 src1_sel:DWORD
	v_and_b32_e32 v22, 0x7f800000, v8
	v_mov_b32_e32 v23, v61
	v_and_b32_e32 v60, 0x7fffff, v8
	v_or_b32_e32 v12, 0x7e, v30
	v_cmp_ne_u64_e32 vcc, s[54:55], v[22:23]
	s_and_saveexec_b64 s[28:29], vcc
	s_xor_b64 s[36:37], exec, s[28:29]
	s_cbranch_execz .LBB2_2590
; %bb.2581:                             ;   in Loop: Header=BB2_1872 Depth=3
	v_and_b32_e32 v22, 0x7fffffff, v8
	v_mov_b32_e32 v23, v61
	v_cmp_gt_u64_e32 vcc, s[56:57], v[22:23]
	s_and_saveexec_b64 s[66:67], vcc
	s_cbranch_execz .LBB2_2589
; %bb.2582:                             ;   in Loop: Header=BB2_1872 Depth=3
	v_cmp_ne_u32_e32 vcc, 0, v8
	v_mov_b32_e32 v12, 0
	s_and_saveexec_b64 s[68:69], vcc
	s_cbranch_execz .LBB2_2588
; %bb.2583:                             ;   in Loop: Header=BB2_1872 Depth=3
	v_bfe_u32 v8, v8, 23, 8
	v_sub_u32_e32 v12, 0x79, v8
	v_cmp_gt_u32_e32 vcc, s93, v8
	v_add_u32_e32 v9, 0xffffff81, v8
	v_cndmask_b32_e32 v12, 0, v12, vcc
	v_cmp_eq_u32_e32 vcc, 0, v8
	v_mov_b32_e32 v8, 0xffffff82
	v_cndmask_b32_e32 v34, v9, v8, vcc
	v_mov_b32_e32 v8, 0x78
	v_or_b32_e32 v20, 0x800000, v60
	v_cndmask_b32_e32 v12, v12, v8, vcc
	v_cndmask_b32_e32 v60, v20, v60, vcc
	v_add_u32_e32 v8, 20, v12
	v_lshlrev_b64 v[8:9], v8, -1
	v_add_u32_e32 v20, 19, v12
	v_lshrrev_b64 v[32:33], v12, v[60:61]
	v_not_b32_e32 v9, v9
	v_not_b32_e32 v8, v8
	v_lshlrev_b64 v[22:23], v20, 1
	v_lshrrev_b32_e32 v20, 23, v32
	v_accvgpr_write_b32 a61, v40
	v_and_b32_e32 v9, 0, v9
	v_and_b32_e32 v8, v60, v8
	v_add3_u32 v40, v12, v34, v20
	v_bfe_u32 v12, v32, 20, 1
	v_add_u32_e32 v12, -1, v12
	v_cmp_eq_u64_e32 vcc, v[8:9], v[22:23]
	v_cndmask_b32_e32 v8, 0, v12, vcc
	v_add_u32_e32 v8, v8, v32
	v_and_b32_e32 v8, 0xfffff, v8
	v_add_co_u32_e32 v8, vcc, v8, v32
	v_add_u32_e32 v54, 6, v40
	v_addc_co_u32_e32 v9, vcc, 0, v33, vcc
	v_cmp_ne_u32_e32 vcc, 0, v54
                                        ; implicit-def: $vgpr12
	s_and_saveexec_b64 s[28:29], vcc
	s_xor_b64 s[28:29], exec, s[28:29]
; %bb.2584:                             ;   in Loop: Header=BB2_1872 Depth=3
	v_cmp_lt_u64_e32 vcc, s[58:59], v[8:9]
	v_add_u32_e32 v12, 7, v40
	v_cndmask_b32_e64 v20, 0, 1, vcc
	v_cndmask_b32_e32 v12, v54, v12, vcc
	v_lshrrev_b64 v[8:9], v20, v[8:9]
; %bb.2585:                             ;   in Loop: Header=BB2_1872 Depth=3
	s_andn2_saveexec_b64 s[28:29], s[28:29]
; %bb.2586:                             ;   in Loop: Header=BB2_1872 Depth=3
	v_bfe_u32 v12, v8, 23, 1
; %bb.2587:                             ;   in Loop: Header=BB2_1872 Depth=3
	s_or_b64 exec, exec, s[28:29]
	v_lshrrev_b64 v[8:9], 20, v[8:9]
	v_cmp_gt_i32_e32 vcc, 16, v12
	v_cndmask_b32_e32 v9, 0, v9, vcc
	v_cndmask_b32_e32 v8, 7, v8, vcc
	v_cmp_eq_u64_e64 s[28:29], 0, v[8:9]
	v_min_i32_e32 v9, 15, v12
	v_cmp_eq_u32_e32 vcc, 0, v12
	v_lshlrev_b32_e32 v9, 3, v9
	v_and_or_b32 v8, v8, 7, v9
	s_and_b64 s[28:29], vcc, s[28:29]
	v_cndmask_b32_e64 v8, v8, 0, s[28:29]
	v_or_b32_e32 v12, v8, v30
	v_accvgpr_read_b32 v40, a61
.LBB2_2588:                             ;   in Loop: Header=BB2_1872 Depth=3
	s_or_b64 exec, exec, s[68:69]
.LBB2_2589:                             ;   in Loop: Header=BB2_1872 Depth=3
	s_or_b64 exec, exec, s[66:67]
                                        ; implicit-def: $vgpr8
.LBB2_2590:                             ;   in Loop: Header=BB2_1872 Depth=3
	s_andn2_saveexec_b64 s[28:29], s[36:37]
; %bb.2591:                             ;   in Loop: Header=BB2_1872 Depth=3
	v_or_b32_sdwa v8, v8, s92 dst_sel:DWORD dst_unused:UNUSED_PAD src0_sel:BYTE_3 src1_sel:DWORD
	v_cmp_eq_u64_e32 vcc, 0, v[60:61]
	v_cndmask_b32_e32 v12, v8, v12, vcc
; %bb.2592:                             ;   in Loop: Header=BB2_1872 Depth=3
	s_or_b64 exec, exec, s[28:29]
	v_lshrrev_b32_e32 v8, 16, v15
	v_cmp_ne_u16_sdwa vcc, v8, v61 src0_sel:BYTE_0 src1_sel:DWORD
	v_mov_b32_e32 v9, 0
	v_mov_b32_e32 v30, 0
	s_and_saveexec_b64 s[28:29], vcc
	s_cbranch_execz .LBB2_2598
; %bb.2593:                             ;   in Loop: Header=BB2_1872 Depth=3
	v_cmp_ne_u16_sdwa vcc, v8, s91 src0_sel:BYTE_0 src1_sel:DWORD
	v_bfrev_b32_e32 v30, 1
	s_and_saveexec_b64 s[36:37], vcc
	s_cbranch_execz .LBB2_2597
; %bb.2594:                             ;   in Loop: Header=BB2_1872 Depth=3
	v_bfe_u32 v54, v15, 16, 7
	v_cmp_ne_u32_e32 vcc, s92, v54
	v_mov_b32_e32 v30, 0x7f800001
	s_and_saveexec_b64 s[66:67], vcc
	s_cbranch_execz .LBB2_2596
; %bb.2595:                             ;   in Loop: Header=BB2_1872 Depth=3
	v_and_b32_e32 v20, 7, v8
	v_ffbh_u32_e32 v22, v20
	v_min_u32_e32 v32, 32, v22
	v_subrev_u32_e32 v22, 28, v32
	v_lshlrev_b64 v[22:23], v22, v[8:9]
	v_lshrrev_b32_e32 v30, 3, v54
	v_sub_u32_e32 v23, 29, v32
	v_and_b32_e32 v22, 7, v22
	v_cmp_gt_u32_e32 vcc, 8, v54
	v_cndmask_b32_e32 v23, v30, v23, vcc
	v_cndmask_b32_e32 v20, v20, v22, vcc
	v_lshlrev_b32_e32 v8, 24, v8
	v_lshlrev_b32_e32 v20, 20, v20
	v_and_b32_e32 v8, 0x80000000, v8
	v_lshl_add_u32 v22, v23, 23, v0
	v_or3_b32 v30, v8, v22, v20
.LBB2_2596:                             ;   in Loop: Header=BB2_1872 Depth=3
	s_or_b64 exec, exec, s[66:67]
.LBB2_2597:                             ;   in Loop: Header=BB2_1872 Depth=3
	s_or_b64 exec, exec, s[36:37]
.LBB2_2598:                             ;   in Loop: Header=BB2_1872 Depth=3
	s_or_b64 exec, exec, s[28:29]
	v_lshrrev_b32_e32 v8, 16, v11
	v_cmp_ne_u16_sdwa vcc, v8, v61 src0_sel:BYTE_0 src1_sel:DWORD
	s_and_saveexec_b64 s[28:29], vcc
	s_cbranch_execz .LBB2_2604
; %bb.2599:                             ;   in Loop: Header=BB2_1872 Depth=3
	v_cmp_ne_u16_sdwa vcc, v8, s91 src0_sel:BYTE_0 src1_sel:DWORD
	v_bfrev_b32_e32 v9, 1
	s_and_saveexec_b64 s[36:37], vcc
	s_cbranch_execz .LBB2_2603
; %bb.2600:                             ;   in Loop: Header=BB2_1872 Depth=3
	v_bfe_u32 v54, v11, 16, 7
	v_cmp_ne_u32_e32 vcc, s92, v54
	v_mov_b32_e32 v9, 0x7f800001
	s_and_saveexec_b64 s[66:67], vcc
	s_cbranch_execz .LBB2_2602
; %bb.2601:                             ;   in Loop: Header=BB2_1872 Depth=3
	v_and_b32_e32 v20, 7, v8
	v_ffbh_u32_e32 v9, v20
	v_min_u32_e32 v23, 32, v9
	v_subrev_u32_e32 v9, 28, v23
	v_lshlrev_b64 v[8:9], v9, v[8:9]
	v_lshrrev_b32_e32 v22, 3, v54
	v_sub_u32_e32 v9, 29, v23
	v_and_b32_e32 v8, 7, v8
	v_cmp_gt_u32_e32 vcc, 8, v54
	v_cndmask_b32_e32 v9, v22, v9, vcc
	v_cndmask_b32_e32 v8, v20, v8, vcc
	v_lshlrev_b32_e32 v20, 8, v11
	v_lshlrev_b32_e32 v8, 20, v8
	v_and_b32_e32 v20, 0x80000000, v20
	v_lshl_add_u32 v9, v9, 23, v0
	v_or3_b32 v9, v20, v9, v8
.LBB2_2602:                             ;   in Loop: Header=BB2_1872 Depth=3
	s_or_b64 exec, exec, s[66:67]
.LBB2_2603:                             ;   in Loop: Header=BB2_1872 Depth=3
	s_or_b64 exec, exec, s[36:37]
.LBB2_2604:                             ;   in Loop: Header=BB2_1872 Depth=3
	s_or_b64 exec, exec, s[28:29]
	v_add_f32_e32 v8, v30, v9
	v_and_b32_sdwa v30, v8, s91 dst_sel:DWORD dst_unused:UNUSED_PAD src0_sel:BYTE_3 src1_sel:DWORD
	v_and_b32_e32 v22, 0x7f800000, v8
	v_mov_b32_e32 v23, v61
	v_and_b32_e32 v60, 0x7fffff, v8
	v_or_b32_e32 v54, 0x7e, v30
	v_cmp_ne_u64_e32 vcc, s[54:55], v[22:23]
	s_and_saveexec_b64 s[28:29], vcc
	s_xor_b64 s[36:37], exec, s[28:29]
	s_cbranch_execz .LBB2_2614
; %bb.2605:                             ;   in Loop: Header=BB2_1872 Depth=3
	v_and_b32_e32 v22, 0x7fffffff, v8
	v_mov_b32_e32 v23, v61
	v_cmp_gt_u64_e32 vcc, s[56:57], v[22:23]
	s_and_saveexec_b64 s[66:67], vcc
	s_cbranch_execz .LBB2_2613
; %bb.2606:                             ;   in Loop: Header=BB2_1872 Depth=3
	v_cmp_ne_u32_e32 vcc, 0, v8
	v_mov_b32_e32 v54, 0
	s_and_saveexec_b64 s[68:69], vcc
	s_cbranch_execz .LBB2_2612
; %bb.2607:                             ;   in Loop: Header=BB2_1872 Depth=3
	v_bfe_u32 v8, v8, 23, 8
	v_cmp_eq_u32_e32 vcc, 0, v8
	v_add_u32_e32 v9, 0xffffff81, v8
	v_cmp_gt_u32_e64 s[28:29], s93, v8
	v_sub_u32_e32 v8, 0x79, v8
	v_mov_b32_e32 v22, 0xffffff82
	v_cndmask_b32_e64 v8, 0, v8, s[28:29]
	v_cndmask_b32_e32 v32, v9, v22, vcc
	v_mov_b32_e32 v9, 0x78
	v_cndmask_b32_e32 v33, v8, v9, vcc
	v_add_u32_e32 v8, 20, v33
	v_or_b32_e32 v20, 0x800000, v60
	v_lshlrev_b64 v[8:9], v8, -1
	v_cndmask_b32_e32 v60, v20, v60, vcc
	v_not_b32_e32 v9, v9
	v_not_b32_e32 v8, v8
	v_add_u32_e32 v20, 19, v33
	v_and_b32_e32 v9, 0, v9
	v_and_b32_e32 v8, v60, v8
	v_lshlrev_b64 v[22:23], v20, 1
	v_cmp_eq_u64_e32 vcc, v[8:9], v[22:23]
	v_lshrrev_b64 v[8:9], v33, v[60:61]
	v_lshrrev_b32_e32 v20, 23, v8
	v_add3_u32 v60, v33, v32, v20
	v_bfe_u32 v20, v8, 20, 1
	v_add_u32_e32 v20, -1, v20
	v_cndmask_b32_e32 v20, 0, v20, vcc
	v_add_u32_e32 v20, v20, v8
	v_and_b32_e32 v20, 0xfffff, v20
	v_add_co_u32_e32 v8, vcc, v20, v8
	v_mov_b32_e32 v34, v40
	v_add_u32_e32 v40, 6, v60
	v_addc_co_u32_e32 v9, vcc, 0, v9, vcc
	v_cmp_ne_u32_e32 vcc, 0, v40
                                        ; implicit-def: $vgpr54
	s_and_saveexec_b64 s[28:29], vcc
	s_xor_b64 s[28:29], exec, s[28:29]
; %bb.2608:                             ;   in Loop: Header=BB2_1872 Depth=3
	v_add_u32_e32 v20, 7, v60
	v_cmp_lt_u64_e32 vcc, s[58:59], v[8:9]
	v_cndmask_b32_e32 v54, v40, v20, vcc
	v_cndmask_b32_e64 v20, 0, 1, vcc
	v_lshrrev_b64 v[8:9], v20, v[8:9]
; %bb.2609:                             ;   in Loop: Header=BB2_1872 Depth=3
	s_andn2_saveexec_b64 s[28:29], s[28:29]
; %bb.2610:                             ;   in Loop: Header=BB2_1872 Depth=3
	v_bfe_u32 v54, v8, 23, 1
; %bb.2611:                             ;   in Loop: Header=BB2_1872 Depth=3
	s_or_b64 exec, exec, s[28:29]
	v_lshrrev_b64 v[8:9], 20, v[8:9]
	v_cmp_gt_i32_e32 vcc, 16, v54
	v_cndmask_b32_e32 v9, 0, v9, vcc
	v_cndmask_b32_e32 v8, 7, v8, vcc
	v_cmp_eq_u64_e64 s[28:29], 0, v[8:9]
	v_min_i32_e32 v9, 15, v54
	v_lshlrev_b32_e32 v9, 3, v9
	v_cmp_eq_u32_e32 vcc, 0, v54
	v_and_b32_e32 v9, 0xf8, v9
	v_and_or_b32 v8, v8, 7, v9
	s_and_b64 s[28:29], vcc, s[28:29]
	v_cndmask_b32_e64 v8, v8, 0, s[28:29]
	v_or_b32_e32 v54, v8, v30
	v_mov_b32_e32 v40, v34
.LBB2_2612:                             ;   in Loop: Header=BB2_1872 Depth=3
	s_or_b64 exec, exec, s[68:69]
.LBB2_2613:                             ;   in Loop: Header=BB2_1872 Depth=3
	s_or_b64 exec, exec, s[66:67]
                                        ; implicit-def: $vgpr8
.LBB2_2614:                             ;   in Loop: Header=BB2_1872 Depth=3
	s_andn2_saveexec_b64 s[28:29], s[36:37]
; %bb.2615:                             ;   in Loop: Header=BB2_1872 Depth=3
	v_or_b32_sdwa v8, v8, s92 dst_sel:DWORD dst_unused:UNUSED_PAD src0_sel:BYTE_3 src1_sel:DWORD
	v_cmp_eq_u64_e32 vcc, 0, v[60:61]
	v_cndmask_b32_e32 v54, v8, v54, vcc
; %bb.2616:                             ;   in Loop: Header=BB2_1872 Depth=3
	s_or_b64 exec, exec, s[28:29]
	v_cmp_lt_u64_e32 vcc, s[44:45], v[14:15]
	v_mov_b32_e32 v9, 0
	v_mov_b32_e32 v14, 0
	s_and_saveexec_b64 s[28:29], vcc
	s_cbranch_execz .LBB2_2622
; %bb.2617:                             ;   in Loop: Header=BB2_1872 Depth=3
	v_lshrrev_b32_e32 v8, 24, v15
	v_cmp_ne_u32_e32 vcc, s91, v8
	v_bfrev_b32_e32 v14, 1
	s_and_saveexec_b64 s[36:37], vcc
	s_cbranch_execz .LBB2_2621
; %bb.2618:                             ;   in Loop: Header=BB2_1872 Depth=3
	v_bfe_u32 v15, v15, 24, 7
	v_cmp_ne_u32_e32 vcc, s92, v15
	v_mov_b32_e32 v14, 0x7f800001
	s_and_saveexec_b64 s[66:67], vcc
	s_cbranch_execz .LBB2_2620
; %bb.2619:                             ;   in Loop: Header=BB2_1872 Depth=3
	v_and_b32_e32 v14, 7, v8
	v_ffbh_u32_e32 v22, v14
	v_min_u32_e32 v30, 32, v22
	v_subrev_u32_e32 v22, 28, v30
	v_lshlrev_b64 v[22:23], v22, v[8:9]
	v_lshrrev_b32_e32 v20, 3, v15
	v_sub_u32_e32 v23, 29, v30
	v_and_b32_e32 v22, 7, v22
	v_cmp_gt_u32_e32 vcc, 8, v15
	v_cndmask_b32_e32 v15, v20, v23, vcc
	v_cndmask_b32_e32 v14, v14, v22, vcc
	v_lshlrev_b32_e32 v8, 24, v8
	v_lshlrev_b32_e32 v14, 20, v14
	v_and_b32_e32 v8, 0x80000000, v8
	v_lshl_add_u32 v15, v15, 23, v0
	v_or3_b32 v14, v8, v15, v14
.LBB2_2620:                             ;   in Loop: Header=BB2_1872 Depth=3
	s_or_b64 exec, exec, s[66:67]
.LBB2_2621:                             ;   in Loop: Header=BB2_1872 Depth=3
	s_or_b64 exec, exec, s[36:37]
.LBB2_2622:                             ;   in Loop: Header=BB2_1872 Depth=3
	s_or_b64 exec, exec, s[28:29]
	v_cmp_lt_u64_e32 vcc, s[44:45], v[10:11]
	s_and_saveexec_b64 s[28:29], vcc
	s_cbranch_execz .LBB2_2628
; %bb.2623:                             ;   in Loop: Header=BB2_1872 Depth=3
	v_lshrrev_b32_e32 v8, 24, v11
	v_cmp_ne_u32_e32 vcc, s91, v8
	v_bfrev_b32_e32 v9, 1
	s_and_saveexec_b64 s[36:37], vcc
	s_cbranch_execz .LBB2_2627
; %bb.2624:                             ;   in Loop: Header=BB2_1872 Depth=3
	v_bfe_u32 v10, v11, 24, 7
	v_cmp_ne_u32_e32 vcc, s92, v10
	v_mov_b32_e32 v9, 0x7f800001
	s_and_saveexec_b64 s[66:67], vcc
	s_cbranch_execz .LBB2_2626
; %bb.2625:                             ;   in Loop: Header=BB2_1872 Depth=3
	v_and_b32_e32 v9, 7, v8
	v_ffbh_u32_e32 v15, v9
	v_min_u32_e32 v15, 32, v15
	v_subrev_u32_e32 v20, 28, v15
	v_lshlrev_b64 v[22:23], v20, v[8:9]
	v_lshrrev_b32_e32 v11, 3, v10
	v_sub_u32_e32 v15, 29, v15
	v_and_b32_e32 v20, 7, v22
	v_cmp_gt_u32_e32 vcc, 8, v10
	v_cndmask_b32_e32 v10, v11, v15, vcc
	v_cndmask_b32_e32 v9, v9, v20, vcc
	v_lshlrev_b32_e32 v8, 24, v8
	v_lshlrev_b32_e32 v9, 20, v9
	v_and_b32_e32 v8, 0x80000000, v8
	v_lshl_add_u32 v10, v10, 23, v0
	v_or3_b32 v9, v8, v10, v9
.LBB2_2626:                             ;   in Loop: Header=BB2_1872 Depth=3
	s_or_b64 exec, exec, s[66:67]
.LBB2_2627:                             ;   in Loop: Header=BB2_1872 Depth=3
	s_or_b64 exec, exec, s[36:37]
.LBB2_2628:                             ;   in Loop: Header=BB2_1872 Depth=3
	s_or_b64 exec, exec, s[28:29]
	v_add_f32_e32 v9, v14, v9
	v_and_b32_sdwa v10, v9, s91 dst_sel:DWORD dst_unused:UNUSED_PAD src0_sel:BYTE_3 src1_sel:DWORD
	v_and_b32_e32 v14, 0x7f800000, v9
	v_mov_b32_e32 v15, v61
	v_and_b32_e32 v60, 0x7fffff, v9
	v_or_b32_e32 v8, 0x7e, v10
	v_cmp_ne_u64_e32 vcc, s[54:55], v[14:15]
	s_and_saveexec_b64 s[28:29], vcc
	s_xor_b64 s[36:37], exec, s[28:29]
	s_cbranch_execz .LBB2_2638
; %bb.2629:                             ;   in Loop: Header=BB2_1872 Depth=3
	v_and_b32_e32 v14, 0x7fffffff, v9
	v_mov_b32_e32 v15, v61
	v_cmp_gt_u64_e32 vcc, s[56:57], v[14:15]
	s_and_saveexec_b64 s[66:67], vcc
	s_cbranch_execz .LBB2_2637
; %bb.2630:                             ;   in Loop: Header=BB2_1872 Depth=3
	v_cmp_ne_u32_e32 vcc, 0, v9
	v_mov_b32_e32 v8, 0
	s_and_saveexec_b64 s[68:69], vcc
	s_cbranch_execz .LBB2_2636
; %bb.2631:                             ;   in Loop: Header=BB2_1872 Depth=3
	v_bfe_u32 v8, v9, 23, 8
	v_sub_u32_e32 v11, 0x79, v8
	v_cmp_gt_u32_e32 vcc, s93, v8
	v_add_u32_e32 v9, 0xffffff81, v8
	v_cndmask_b32_e32 v11, 0, v11, vcc
	v_cmp_eq_u32_e32 vcc, 0, v8
	v_mov_b32_e32 v8, 0xffffff82
	v_cndmask_b32_e32 v15, v9, v8, vcc
	v_mov_b32_e32 v8, 0x78
	v_or_b32_e32 v14, 0x800000, v60
	v_cndmask_b32_e32 v11, v11, v8, vcc
	v_cndmask_b32_e32 v60, v14, v60, vcc
	v_add_u32_e32 v8, 20, v11
	v_lshlrev_b64 v[8:9], v8, -1
	v_add_u32_e32 v14, 19, v11
	v_lshrrev_b64 v[32:33], v11, v[60:61]
	v_not_b32_e32 v9, v9
	v_not_b32_e32 v8, v8
	v_lshlrev_b64 v[22:23], v14, 1
	v_lshrrev_b32_e32 v14, 23, v32
	v_and_b32_e32 v9, 0, v9
	v_and_b32_e32 v8, v60, v8
	v_add3_u32 v15, v11, v15, v14
	v_bfe_u32 v11, v32, 20, 1
	v_add_u32_e32 v11, -1, v11
	v_cmp_eq_u64_e32 vcc, v[8:9], v[22:23]
	v_cndmask_b32_e32 v8, 0, v11, vcc
	v_add_u32_e32 v8, v8, v32
	v_and_b32_e32 v8, 0xfffff, v8
	v_add_co_u32_e32 v8, vcc, v8, v32
	v_add_u32_e32 v14, 6, v15
	v_addc_co_u32_e32 v9, vcc, 0, v33, vcc
	v_cmp_ne_u32_e32 vcc, 0, v14
                                        ; implicit-def: $vgpr11
	s_and_saveexec_b64 s[28:29], vcc
	s_xor_b64 s[28:29], exec, s[28:29]
; %bb.2632:                             ;   in Loop: Header=BB2_1872 Depth=3
	v_add_u32_e32 v11, 7, v15
	v_cmp_lt_u64_e32 vcc, s[58:59], v[8:9]
	v_cndmask_b32_e32 v11, v14, v11, vcc
	v_cndmask_b32_e64 v14, 0, 1, vcc
	v_lshrrev_b64 v[8:9], v14, v[8:9]
; %bb.2633:                             ;   in Loop: Header=BB2_1872 Depth=3
	s_andn2_saveexec_b64 s[28:29], s[28:29]
; %bb.2634:                             ;   in Loop: Header=BB2_1872 Depth=3
	v_bfe_u32 v11, v8, 23, 1
; %bb.2635:                             ;   in Loop: Header=BB2_1872 Depth=3
	s_or_b64 exec, exec, s[28:29]
	v_lshrrev_b64 v[8:9], 20, v[8:9]
	v_cmp_gt_i32_e32 vcc, 16, v11
	v_cndmask_b32_e32 v9, 0, v9, vcc
	v_cndmask_b32_e32 v8, 7, v8, vcc
	v_cmp_eq_u64_e64 s[28:29], 0, v[8:9]
	v_min_i32_e32 v9, 15, v11
	v_lshlrev_b32_e32 v9, 3, v9
	v_cmp_eq_u32_e32 vcc, 0, v11
	v_and_b32_e32 v9, 0xf8, v9
	v_and_or_b32 v8, v8, 7, v9
	s_and_b64 s[28:29], vcc, s[28:29]
	v_cndmask_b32_e64 v8, v8, 0, s[28:29]
	v_or_b32_e32 v8, v8, v10
.LBB2_2636:                             ;   in Loop: Header=BB2_1872 Depth=3
	s_or_b64 exec, exec, s[68:69]
.LBB2_2637:                             ;   in Loop: Header=BB2_1872 Depth=3
	s_or_b64 exec, exec, s[66:67]
                                        ; implicit-def: $vgpr9
.LBB2_2638:                             ;   in Loop: Header=BB2_1872 Depth=3
	s_andn2_saveexec_b64 s[28:29], s[36:37]
	s_cbranch_execz .LBB2_1871
; %bb.2639:                             ;   in Loop: Header=BB2_1872 Depth=3
	v_or_b32_sdwa v9, v9, s92 dst_sel:DWORD dst_unused:UNUSED_PAD src0_sel:BYTE_3 src1_sel:DWORD
	v_cmp_eq_u64_e32 vcc, 0, v[60:61]
	v_cndmask_b32_e32 v8, v9, v8, vcc
	s_branch .LBB2_1871
.LBB2_2640:                             ;   in Loop: Header=BB2_1783 Depth=2
	s_or_b64 exec, exec, s[66:67]
	s_and_saveexec_b64 vcc, s[68:69]
	s_xor_b64 vcc, exec, vcc
	s_cbranch_execz .LBB2_2642
; %bb.2641:                             ;   in Loop: Header=BB2_1783 Depth=2
	v_mov_b32_e32 v1, 1
	ds_write_b32 v0, v1
	s_trap 2
.LBB2_2642:                             ;   in Loop: Header=BB2_1783 Depth=2
	s_or_b64 exec, exec, s[36:37]
	;;#ASMSTART
	s_wakeup
	;;#ASMEND
.LBB2_2643:                             ;   in Loop: Header=BB2_1783 Depth=2
	s_or_b64 exec, exec, s[34:35]
.LBB2_2644:                             ;   in Loop: Header=BB2_1783 Depth=2
	s_andn2_saveexec_b64 vcc, s[30:31]
	s_cbranch_execz .LBB2_2646
; %bb.2645:                             ;   in Loop: Header=BB2_1783 Depth=2
	s_waitcnt vmcnt(0) lgkmcnt(0)
	buffer_wbinvl1_vol
	s_barrier
.LBB2_2646:                             ;   in Loop: Header=BB2_1783 Depth=2
	s_or_b64 exec, exec, vcc
.LBB2_2647:                             ;   in Loop: Header=BB2_1783 Depth=2
	s_or_b64 exec, exec, s[28:29]
                                        ; implicit-def: $vgpr1
	s_and_saveexec_b64 s[28:29], s[24:25]
	s_xor_b64 s[30:31], exec, s[28:29]
	s_cbranch_execz .LBB2_2651
; %bb.2648:                             ;   in Loop: Header=BB2_1783 Depth=2
	buffer_load_dword v1, off, s[0:3], s33 offset:184 ; 4-byte Folded Reload
	v_and_b32_e32 v2, 16, v57
	v_cmp_ne_u32_e64 s[28:29], 0, v2
	s_waitcnt vmcnt(0)
	v_cmp_lt_i32_e32 vcc, 0, v1
	v_and_b32_e32 v1, 16, v57
	s_and_b64 vcc, s[28:29], vcc
	s_and_saveexec_b64 s[28:29], vcc
	s_cbranch_execz .LBB2_2650
; %bb.2649:                             ;   in Loop: Header=BB2_1783 Depth=2
	v_mov_b32_e32 v1, 1
	s_waitcnt lgkmcnt(0)
	buffer_wbinvl1_vol
.LBB2_2650:                             ;   in Loop: Header=BB2_1783 Depth=2
	s_or_b64 exec, exec, s[28:29]
	s_andn2_saveexec_b64 s[28:29], s[30:31]
	s_cbranch_execz .LBB2_2670
	s_branch .LBB2_2652
.LBB2_2651:                             ;   in Loop: Header=BB2_1783 Depth=2
	s_andn2_saveexec_b64 s[28:29], s[30:31]
	s_cbranch_execz .LBB2_2670
.LBB2_2652:                             ;   in Loop: Header=BB2_1783 Depth=2
	s_and_saveexec_b64 vcc, s[46:47]
	s_xor_b64 s[30:31], exec, vcc
	s_cbranch_execz .LBB2_2667
; %bb.2653:                             ;   in Loop: Header=BB2_1783 Depth=2
	s_and_saveexec_b64 s[34:35], s[16:17]
	s_cbranch_execz .LBB2_2666
; %bb.2654:                             ;   in Loop: Header=BB2_1783 Depth=2
	s_mov_b64 s[66:67], exec
	v_mbcnt_lo_u32_b32 v1, s66, 0
	v_mbcnt_hi_u32_b32 v1, s67, v1
	v_cmp_eq_u32_e32 vcc, 0, v1
	;;#ASMSTART
	s_waitcnt lgkmcnt(0) vmcnt(0)
	;;#ASMEND
	s_and_saveexec_b64 s[36:37], vcc
	s_cbranch_execz .LBB2_2656
; %bb.2655:                             ;   in Loop: Header=BB2_1783 Depth=2
	s_bcnt1_i32_b64 vcc_lo, s[66:67]
	v_mov_b32_e32 v60, vcc_lo
	ds_add_u64 v0, v[60:61]
	s_trap 2
.LBB2_2656:                             ;   in Loop: Header=BB2_1783 Depth=2
	s_or_b64 exec, exec, s[36:37]
	s_trap 2
	ds_read_b64 v[2:3], v0
	v_accvgpr_read_b32 v4, a14
	v_accvgpr_read_b32 v5, a15
	v_add_co_u32_e32 v4, vcc, v4, v6
	v_addc_co_u32_e32 v5, vcc, 0, v5, vcc
	v_accvgpr_write_b32 a15, v5
	v_accvgpr_write_b32 a14, v4
	s_waitcnt lgkmcnt(0)
	v_cmp_lt_u64_e32 vcc, v[2:3], v[4:5]
	s_and_saveexec_b64 s[36:37], vcc
	s_cbranch_execz .LBB2_2665
; %bb.2657:                             ;   in Loop: Header=BB2_1783 Depth=2
	s_mov_b32 s96, 0
	s_mov_b64 s[66:67], 0
                                        ; implicit-def: $sgpr68_sgpr69
                                        ; implicit-def: $sgpr70_sgpr71
	s_branch .LBB2_2659
.LBB2_2658:                             ;   in Loop: Header=BB2_2659 Depth=3
	s_or_b64 exec, exec, s[74:75]
	s_and_b64 vcc, exec, vcc
	s_or_b64 s[66:67], vcc, s[66:67]
	s_andn2_b64 vcc, s[68:69], exec
	s_and_b64 s[68:69], s[70:71], exec
	s_or_b64 s[68:69], vcc, s[68:69]
	s_andn2_b64 exec, exec, s[66:67]
	s_cbranch_execz .LBB2_2663
.LBB2_2659:                             ;   Parent Loop BB2_47 Depth=1
                                        ;     Parent Loop BB2_1783 Depth=2
                                        ; =>    This Inner Loop Header: Depth=3
	s_add_i32 s96, s96, 1
	s_cmpk_lg_i32 s96, 0x2710
	s_cselect_b64 s[72:73], -1, 0
	s_and_b64 vcc, exec, s[72:73]
                                        ; implicit-def: $sgpr74_sgpr75
	s_cbranch_vccnz .LBB2_2661
; %bb.2660:                             ;   in Loop: Header=BB2_2659 Depth=3
	s_trap 2
	ds_read_b64 v[2:3], v0
	s_andn2_b64 s[72:73], s[72:73], exec
	s_mov_b32 s96, 0
	s_mov_b64 s[74:75], -1
	s_waitcnt vmcnt(0) lgkmcnt(0)
	flat_load_dword v1, v[2:3] glc
	s_waitcnt vmcnt(0) lgkmcnt(0)
	buffer_invl2
	buffer_wbinvl1_vol
	v_cmp_eq_u32_e32 vcc, 0, v1
	s_and_b64 vcc, vcc, exec
	s_or_b64 s[72:73], s[72:73], vcc
.LBB2_2661:                             ;   in Loop: Header=BB2_2659 Depth=3
	s_andn2_b64 s[70:71], s[70:71], exec
	s_and_b64 s[74:75], s[74:75], exec
	s_mov_b64 vcc, -1
	s_or_b64 s[70:71], s[70:71], s[74:75]
	s_and_saveexec_b64 s[74:75], s[72:73]
	s_cbranch_execz .LBB2_2658
; %bb.2662:                             ;   in Loop: Header=BB2_2659 Depth=3
	s_sleep 1
	s_trap 2
	ds_read_b64 v[2:3], v0
	v_accvgpr_read_b32 v4, a14
	v_accvgpr_read_b32 v5, a15
	s_andn2_b64 s[70:71], s[70:71], exec
	s_waitcnt lgkmcnt(0)
	v_cmp_ge_u64_e32 vcc, v[2:3], v[4:5]
	s_orn2_b64 vcc, vcc, exec
	s_branch .LBB2_2658
.LBB2_2663:                             ;   in Loop: Header=BB2_1783 Depth=2
	s_or_b64 exec, exec, s[66:67]
	s_and_saveexec_b64 vcc, s[68:69]
	s_xor_b64 vcc, exec, vcc
	s_cbranch_execz .LBB2_2665
; %bb.2664:                             ;   in Loop: Header=BB2_1783 Depth=2
	v_mov_b32_e32 v1, 1
	ds_write_b32 v0, v1
	s_trap 2
.LBB2_2665:                             ;   in Loop: Header=BB2_1783 Depth=2
	s_or_b64 exec, exec, s[36:37]
	;;#ASMSTART
	s_wakeup
	;;#ASMEND
.LBB2_2666:                             ;   in Loop: Header=BB2_1783 Depth=2
	s_or_b64 exec, exec, s[34:35]
.LBB2_2667:                             ;   in Loop: Header=BB2_1783 Depth=2
	s_andn2_saveexec_b64 vcc, s[30:31]
	s_cbranch_execz .LBB2_2669
; %bb.2668:                             ;   in Loop: Header=BB2_1783 Depth=2
	;;#ASMSTART
	s_waitcnt lgkmcnt(0) vmcnt(0)
	;;#ASMEND
	s_barrier
.LBB2_2669:                             ;   in Loop: Header=BB2_1783 Depth=2
	s_or_b64 exec, exec, vcc
	v_and_b32_e32 v1, 16, v57
.LBB2_2670:                             ;   in Loop: Header=BB2_1783 Depth=2
	s_or_b64 exec, exec, s[28:29]
	v_cmp_ne_u32_e32 vcc, 0, v1
	s_xor_b64 s[28:29], s[12:13], -1
	s_and_b64 vcc, vcc, s[28:29]
	s_and_saveexec_b64 s[28:29], vcc
	s_cbranch_execz .LBB2_2672
; %bb.2671:                             ;   in Loop: Header=BB2_1783 Depth=2
	v_accvgpr_read_b32 v2, a20
	v_accvgpr_read_b32 v3, a21
	v_mov_b32_e32 v1, 1
	flat_store_dword v[2:3], v1
.LBB2_2672:                             ;   in Loop: Header=BB2_1783 Depth=2
	s_or_b64 exec, exec, s[28:29]
	v_and_b32_e32 v1, 48, v57
	v_cmp_ne_u32_e32 vcc, 0, v1
	s_and_saveexec_b64 s[28:29], vcc
	s_cbranch_execz .LBB2_1782
; %bb.2673:                             ;   in Loop: Header=BB2_1783 Depth=2
	v_add_co_u32_e32 v44, vcc, 2, v44
	v_addc_co_u32_e32 v45, vcc, 0, v45, vcc
	flat_store_dwordx2 v[48:49], v[44:45]
	s_branch .LBB2_1782
.LBB2_2674:                             ;   in Loop: Header=BB2_1783 Depth=2
	s_or_b64 exec, exec, s[34:35]
	v_accvgpr_read_b32 v2, a60
.LBB2_2675:                             ;   in Loop: Header=BB2_1783 Depth=2
	s_or_b64 exec, exec, s[30:31]
	buffer_load_dword v1, off, s[0:3], s33 offset:184 ; 4-byte Folded Reload
	v_lshlrev_b32_e32 v2, 11, v2
	s_mov_b64 s[28:29], 0
                                        ; implicit-def: $vgpr16
                                        ; implicit-def: $vgpr17
                                        ; implicit-def: $vgpr4
	s_waitcnt vmcnt(0)
	v_cmp_ne_u32_e32 vcc, v1, v2
	v_mov_b32_e32 v1, 0
	s_and_saveexec_b64 s[66:67], vcc
	s_cbranch_execz .LBB2_3069
; %bb.2676:                             ;   in Loop: Header=BB2_1783 Depth=2
	buffer_load_dword v1, off, s[0:3], s33 offset:184 ; 4-byte Folded Reload
	v_accvgpr_read_b32 v3, a40
	s_waitcnt vmcnt(0)
	v_sub_u32_e32 v4, v1, v2
	v_lshlrev_b32_e32 v1, 6, v6
	v_sub_u32_e32 v1, v3, v1
	v_ashrrev_i32_e32 v3, 31, v1
	v_lshrrev_b32_e32 v3, 26, v3
	v_ashrrev_i32_e32 v6, 31, v4
	v_add_u32_e32 v3, v1, v3
	v_lshrrev_b32_e32 v6, 22, v6
	v_ashrrev_i32_e32 v5, 6, v3
	v_and_b32_e32 v3, 0xffffffc0, v3
	v_add_u32_e32 v6, v4, v6
	v_sub_u32_e32 v3, v1, v3
	v_ashrrev_i32_e32 v7, 10, v6
	v_and_b32_e32 v6, 0xfffffc00, v6
	v_lshlrev_b32_e32 v1, 4, v3
	v_sub_u32_e32 v25, v4, v6
	v_lshl_add_u32 v1, v5, 10, v1
	v_cmp_lt_i32_e64 s[28:29], 15, v25
	v_sub_u32_e32 v26, v4, v1
	v_addc_co_u32_e64 v4, vcc, 0, v7, s[28:29]
	v_sub_u32_e32 v7, v4, v5
	v_cmp_lt_i32_e32 vcc, 15, v26
	s_and_saveexec_b64 s[68:69], vcc
	s_cbranch_execz .LBB2_3066
; %bb.2677:                             ;   in Loop: Header=BB2_1783 Depth=2
	s_trap 2
	ds_read_b128 v[8:11], v0
	v_add_u32_e32 v1, v1, v2
	v_ashrrev_i32_e32 v12, 31, v1
	s_mov_b64 s[70:71], 0
	s_waitcnt lgkmcnt(0)
	v_add_co_u32_e32 v4, vcc, v8, v1
	v_addc_co_u32_e32 v5, vcc, v9, v12, vcc
	v_add_co_u32_e32 v16, vcc, v10, v1
	v_addc_co_u32_e32 v17, vcc, v11, v12, vcc
	v_pk_mov_b32 v[18:19], v[4:5], v[4:5] op_sel:[0,1]
	v_pk_mov_b32 v[20:21], v[16:17], v[16:17] op_sel:[0,1]
.LBB2_2678:                             ;   Parent Loop BB2_47 Depth=1
                                        ;     Parent Loop BB2_1783 Depth=2
                                        ; =>    This Loop Header: Depth=3
                                        ;         Child Loop BB2_3063 Depth 4
	global_load_dwordx4 v[12:15], v[18:19], off glc slc
	global_load_dwordx4 v[8:11], v[20:21], off glc slc
	v_mov_b32_e32 v1, 0
	v_mov_b32_e32 v22, 0
	s_waitcnt vmcnt(1)
	v_cmp_ne_u16_sdwa vcc, v12, v61 src0_sel:BYTE_0 src1_sel:DWORD
	s_and_saveexec_b64 s[30:31], vcc
	s_cbranch_execz .LBB2_2684
; %bb.2679:                             ;   in Loop: Header=BB2_2678 Depth=3
	v_cmp_ne_u16_sdwa vcc, v12, s91 src0_sel:BYTE_0 src1_sel:DWORD
	v_bfrev_b32_e32 v22, 1
	s_and_saveexec_b64 s[34:35], vcc
	s_cbranch_execz .LBB2_2683
; %bb.2680:                             ;   in Loop: Header=BB2_2678 Depth=3
	v_and_b32_e32 v23, 0x7f, v12
	v_cmp_ne_u32_e32 vcc, s92, v23
	v_mov_b32_e32 v22, 0x7f800001
	s_and_saveexec_b64 s[36:37], vcc
	s_cbranch_execz .LBB2_2682
; %bb.2681:                             ;   in Loop: Header=BB2_2678 Depth=3
	v_and_b32_e32 v22, 7, v12
	v_ffbh_u32_e32 v22, v22
	v_min_u32_e32 v22, 32, v22
	v_lshrrev_b32_e32 v24, 3, v23
	v_subrev_u32_e32 v27, 28, v22
	v_sub_u32_e32 v22, 29, v22
	v_cmp_gt_u32_e32 vcc, 8, v23
	v_cndmask_b32_e32 v24, v24, v22, vcc
	v_cndmask_b32_e32 v22, 0, v27, vcc
	v_lshlrev_b64 v[22:23], v22, v[12:13]
	v_lshlrev_b32_e32 v22, 20, v22
	v_lshlrev_b32_e32 v23, 24, v12
	v_and_b32_e32 v22, 0x700000, v22
	v_and_b32_e32 v23, 0x80000000, v23
	v_lshl_add_u32 v24, v24, 23, v0
	v_or3_b32 v22, v23, v24, v22
.LBB2_2682:                             ;   in Loop: Header=BB2_2678 Depth=3
	s_or_b64 exec, exec, s[36:37]
.LBB2_2683:                             ;   in Loop: Header=BB2_2678 Depth=3
	s_or_b64 exec, exec, s[34:35]
.LBB2_2684:                             ;   in Loop: Header=BB2_2678 Depth=3
	s_or_b64 exec, exec, s[30:31]
	s_waitcnt vmcnt(0)
	v_cmp_ne_u16_sdwa vcc, v8, v61 src0_sel:BYTE_0 src1_sel:DWORD
	s_and_saveexec_b64 s[30:31], vcc
	s_cbranch_execz .LBB2_2690
; %bb.2685:                             ;   in Loop: Header=BB2_2678 Depth=3
	v_cmp_ne_u16_sdwa vcc, v8, s91 src0_sel:BYTE_0 src1_sel:DWORD
	v_bfrev_b32_e32 v1, 1
	s_and_saveexec_b64 s[34:35], vcc
	s_cbranch_execz .LBB2_2689
; %bb.2686:                             ;   in Loop: Header=BB2_2678 Depth=3
	v_and_b32_e32 v23, 0x7f, v8
	v_cmp_ne_u32_e32 vcc, s92, v23
	v_mov_b32_e32 v1, 0x7f800001
	s_and_saveexec_b64 s[36:37], vcc
	s_cbranch_execz .LBB2_2688
; %bb.2687:                             ;   in Loop: Header=BB2_2678 Depth=3
	v_and_b32_e32 v1, 7, v8
	v_ffbh_u32_e32 v1, v1
	v_min_u32_e32 v1, 32, v1
	v_subrev_u32_e32 v27, 28, v1
	v_cmp_gt_u32_e32 vcc, 8, v23
	v_lshrrev_b32_e32 v24, 3, v23
	v_cndmask_b32_e32 v23, 0, v27, vcc
	v_sub_u32_e32 v1, 29, v1
	v_lshlrev_b64 v[28:29], v23, v[8:9]
	v_cndmask_b32_e32 v1, v24, v1, vcc
	v_lshlrev_b32_e32 v23, 20, v28
	v_lshlrev_b32_e32 v24, 24, v8
	v_and_b32_e32 v23, 0x700000, v23
	v_and_b32_e32 v24, 0x80000000, v24
	v_lshl_add_u32 v1, v1, 23, v0
	v_or3_b32 v1, v24, v1, v23
.LBB2_2688:                             ;   in Loop: Header=BB2_2678 Depth=3
	s_or_b64 exec, exec, s[36:37]
.LBB2_2689:                             ;   in Loop: Header=BB2_2678 Depth=3
	s_or_b64 exec, exec, s[34:35]
.LBB2_2690:                             ;   in Loop: Header=BB2_2678 Depth=3
	s_or_b64 exec, exec, s[30:31]
	v_add_f32_e32 v22, v22, v1
	v_and_b32_sdwa v1, v22, s91 dst_sel:DWORD dst_unused:UNUSED_PAD src0_sel:BYTE_3 src1_sel:DWORD
	v_and_b32_e32 v28, 0x7f800000, v22
	v_mov_b32_e32 v29, v61
	v_and_b32_e32 v60, 0x7fffff, v22
	v_or_b32_e32 v27, 0x7e, v1
	v_cmp_ne_u64_e32 vcc, s[54:55], v[28:29]
	s_and_saveexec_b64 s[30:31], vcc
	s_xor_b64 s[34:35], exec, s[30:31]
	s_cbranch_execz .LBB2_2700
; %bb.2691:                             ;   in Loop: Header=BB2_2678 Depth=3
	v_and_b32_e32 v28, 0x7fffffff, v22
	v_mov_b32_e32 v29, v61
	v_cmp_gt_u64_e32 vcc, s[56:57], v[28:29]
	s_and_saveexec_b64 s[36:37], vcc
	s_cbranch_execz .LBB2_2699
; %bb.2692:                             ;   in Loop: Header=BB2_2678 Depth=3
	v_cmp_ne_u32_e32 vcc, 0, v22
	v_mov_b32_e32 v27, 0
	s_and_saveexec_b64 s[72:73], vcc
	s_cbranch_execz .LBB2_2698
; %bb.2693:                             ;   in Loop: Header=BB2_2678 Depth=3
	v_bfe_u32 v22, v22, 23, 8
	v_sub_u32_e32 v24, 0x79, v22
	v_cmp_gt_u32_e32 vcc, s93, v22
	v_add_u32_e32 v23, 0xffffff81, v22
	v_cndmask_b32_e32 v24, 0, v24, vcc
	v_cmp_eq_u32_e32 vcc, 0, v22
	v_mov_b32_e32 v22, 0xffffff82
	v_cndmask_b32_e32 v28, v23, v22, vcc
	v_mov_b32_e32 v22, 0x78
	v_or_b32_e32 v27, 0x800000, v60
	v_cndmask_b32_e32 v24, v24, v22, vcc
	v_cndmask_b32_e32 v60, v27, v60, vcc
	v_add_u32_e32 v22, 20, v24
	v_lshlrev_b64 v[22:23], v22, -1
	v_add_u32_e32 v27, 19, v24
	v_lshrrev_b64 v[32:33], v24, v[60:61]
	v_not_b32_e32 v23, v23
	v_not_b32_e32 v22, v22
	v_lshlrev_b64 v[30:31], v27, 1
	v_lshrrev_b32_e32 v27, 23, v32
	v_and_b32_e32 v23, 0, v23
	v_and_b32_e32 v22, v60, v22
	v_add3_u32 v28, v24, v28, v27
	v_bfe_u32 v24, v32, 20, 1
	v_add_u32_e32 v24, -1, v24
	v_cmp_eq_u64_e32 vcc, v[22:23], v[30:31]
	v_cndmask_b32_e32 v22, 0, v24, vcc
	v_add_u32_e32 v22, v22, v32
	v_and_b32_e32 v22, 0xfffff, v22
	v_add_co_u32_e32 v22, vcc, v22, v32
	v_add_u32_e32 v27, 6, v28
	v_addc_co_u32_e32 v23, vcc, 0, v33, vcc
	v_cmp_ne_u32_e32 vcc, 0, v27
                                        ; implicit-def: $vgpr24
	s_and_saveexec_b64 s[30:31], vcc
	s_xor_b64 s[30:31], exec, s[30:31]
; %bb.2694:                             ;   in Loop: Header=BB2_2678 Depth=3
	v_add_u32_e32 v24, 7, v28
	v_cmp_lt_u64_e32 vcc, s[58:59], v[22:23]
	v_cndmask_b32_e32 v24, v27, v24, vcc
	v_cndmask_b32_e64 v27, 0, 1, vcc
	v_lshrrev_b64 v[22:23], v27, v[22:23]
; %bb.2695:                             ;   in Loop: Header=BB2_2678 Depth=3
	s_andn2_saveexec_b64 vcc, s[30:31]
; %bb.2696:                             ;   in Loop: Header=BB2_2678 Depth=3
	v_bfe_u32 v24, v22, 23, 1
; %bb.2697:                             ;   in Loop: Header=BB2_2678 Depth=3
	s_or_b64 exec, exec, vcc
	v_lshrrev_b64 v[22:23], 20, v[22:23]
	v_cmp_gt_i32_e32 vcc, 16, v24
	v_cndmask_b32_e32 v23, 0, v23, vcc
	v_cndmask_b32_e32 v22, 7, v22, vcc
	v_cmp_eq_u64_e64 s[30:31], 0, v[22:23]
	v_min_i32_e32 v23, 15, v24
	v_cmp_eq_u32_e32 vcc, 0, v24
	v_lshlrev_b32_e32 v23, 3, v23
	v_and_or_b32 v22, v22, 7, v23
	s_and_b64 vcc, vcc, s[30:31]
	v_cndmask_b32_e64 v22, v22, 0, vcc
	v_or_b32_e32 v27, v22, v1
.LBB2_2698:                             ;   in Loop: Header=BB2_2678 Depth=3
	s_or_b64 exec, exec, s[72:73]
.LBB2_2699:                             ;   in Loop: Header=BB2_2678 Depth=3
	s_or_b64 exec, exec, s[36:37]
                                        ; implicit-def: $vgpr22
.LBB2_2700:                             ;   in Loop: Header=BB2_2678 Depth=3
	s_andn2_saveexec_b64 s[30:31], s[34:35]
; %bb.2701:                             ;   in Loop: Header=BB2_2678 Depth=3
	v_or_b32_sdwa v1, v22, s92 dst_sel:DWORD dst_unused:UNUSED_PAD src0_sel:BYTE_3 src1_sel:DWORD
	v_cmp_eq_u64_e32 vcc, 0, v[60:61]
	v_cndmask_b32_e32 v27, v1, v27, vcc
; %bb.2702:                             ;   in Loop: Header=BB2_2678 Depth=3
	s_or_b64 exec, exec, s[30:31]
	v_lshrrev_b16_e32 v22, 8, v12
	v_cmp_ne_u16_e32 vcc, 0, v22
	v_mov_b32_e32 v1, 0
	v_mov_b32_e32 v23, 0
	s_and_saveexec_b64 s[30:31], vcc
	s_cbranch_execz .LBB2_2708
; %bb.2703:                             ;   in Loop: Header=BB2_2678 Depth=3
	v_cmp_ne_u16_e32 vcc, s91, v22
	v_bfrev_b32_e32 v23, 1
	s_and_saveexec_b64 s[34:35], vcc
	s_cbranch_execz .LBB2_2707
; %bb.2704:                             ;   in Loop: Header=BB2_2678 Depth=3
	v_and_b32_e32 v24, 0x7f, v22
	v_cmp_ne_u32_e32 vcc, s92, v24
	v_mov_b32_e32 v23, 0x7f800001
	s_and_saveexec_b64 s[36:37], vcc
	s_cbranch_execz .LBB2_2706
; %bb.2705:                             ;   in Loop: Header=BB2_2678 Depth=3
	v_and_b32_e32 v28, 7, v22
	v_ffbh_u32_e32 v23, v28
	v_min_u32_e32 v30, 32, v23
	v_subrev_u32_e32 v23, 28, v30
	v_lshlrev_b64 v[22:23], v23, v[22:23]
	v_lshrrev_b32_e32 v29, 3, v24
	v_sub_u32_e32 v23, 29, v30
	v_and_b32_e32 v22, 7, v22
	v_cmp_gt_u32_e32 vcc, 8, v24
	v_cndmask_b32_e32 v23, v29, v23, vcc
	v_cndmask_b32_e32 v22, v28, v22, vcc
	v_lshlrev_b32_e32 v24, 16, v12
	v_lshlrev_b32_e32 v22, 20, v22
	v_and_b32_e32 v24, 0x80000000, v24
	v_lshl_add_u32 v23, v23, 23, v0
	v_or3_b32 v23, v24, v23, v22
.LBB2_2706:                             ;   in Loop: Header=BB2_2678 Depth=3
	s_or_b64 exec, exec, s[36:37]
.LBB2_2707:                             ;   in Loop: Header=BB2_2678 Depth=3
	s_or_b64 exec, exec, s[34:35]
.LBB2_2708:                             ;   in Loop: Header=BB2_2678 Depth=3
	s_or_b64 exec, exec, s[30:31]
	v_lshrrev_b16_e32 v22, 8, v8
	v_cmp_ne_u16_e32 vcc, 0, v22
	s_and_saveexec_b64 s[30:31], vcc
	s_cbranch_execz .LBB2_2714
; %bb.2709:                             ;   in Loop: Header=BB2_2678 Depth=3
	v_cmp_ne_u16_e32 vcc, s91, v22
	v_bfrev_b32_e32 v1, 1
	s_and_saveexec_b64 s[34:35], vcc
	s_cbranch_execz .LBB2_2713
; %bb.2710:                             ;   in Loop: Header=BB2_2678 Depth=3
	v_and_b32_e32 v24, 0x7f, v22
	v_cmp_ne_u32_e32 vcc, s92, v24
	v_mov_b32_e32 v1, 0x7f800001
	s_and_saveexec_b64 s[36:37], vcc
	s_cbranch_execz .LBB2_2712
; %bb.2711:                             ;   in Loop: Header=BB2_2678 Depth=3
	v_and_b32_e32 v1, 7, v22
	v_ffbh_u32_e32 v28, v1
	v_min_u32_e32 v31, 32, v28
	v_subrev_u32_e32 v28, 28, v31
	v_lshlrev_b64 v[28:29], v28, v[22:23]
	v_lshrrev_b32_e32 v30, 3, v24
	v_sub_u32_e32 v22, 29, v31
	v_and_b32_e32 v28, 7, v28
	v_cmp_gt_u32_e32 vcc, 8, v24
	v_cndmask_b32_e32 v22, v30, v22, vcc
	v_cndmask_b32_e32 v1, v1, v28, vcc
	v_lshlrev_b32_e32 v24, 16, v8
	v_lshlrev_b32_e32 v1, 20, v1
	v_and_b32_e32 v24, 0x80000000, v24
	v_lshl_add_u32 v22, v22, 23, v0
	v_or3_b32 v1, v24, v22, v1
.LBB2_2712:                             ;   in Loop: Header=BB2_2678 Depth=3
	s_or_b64 exec, exec, s[36:37]
.LBB2_2713:                             ;   in Loop: Header=BB2_2678 Depth=3
	s_or_b64 exec, exec, s[34:35]
.LBB2_2714:                             ;   in Loop: Header=BB2_2678 Depth=3
	s_or_b64 exec, exec, s[30:31]
	v_add_f32_e32 v22, v23, v1
	v_and_b32_sdwa v1, v22, s91 dst_sel:DWORD dst_unused:UNUSED_PAD src0_sel:BYTE_3 src1_sel:DWORD
	v_and_b32_e32 v30, 0x7f800000, v22
	v_mov_b32_e32 v31, v61
	v_and_b32_e32 v60, 0x7fffff, v22
	v_or_b32_e32 v28, 0x7e, v1
	v_cmp_ne_u64_e32 vcc, s[54:55], v[30:31]
	s_and_saveexec_b64 s[30:31], vcc
	s_xor_b64 s[34:35], exec, s[30:31]
	s_cbranch_execz .LBB2_2724
; %bb.2715:                             ;   in Loop: Header=BB2_2678 Depth=3
	v_and_b32_e32 v30, 0x7fffffff, v22
	v_mov_b32_e32 v31, v61
	v_cmp_gt_u64_e32 vcc, s[56:57], v[30:31]
	s_and_saveexec_b64 s[36:37], vcc
	s_cbranch_execz .LBB2_2723
; %bb.2716:                             ;   in Loop: Header=BB2_2678 Depth=3
	v_cmp_ne_u32_e32 vcc, 0, v22
	v_mov_b32_e32 v28, 0
	s_and_saveexec_b64 s[72:73], vcc
	s_cbranch_execz .LBB2_2722
; %bb.2717:                             ;   in Loop: Header=BB2_2678 Depth=3
	v_bfe_u32 v22, v22, 23, 8
	v_sub_u32_e32 v24, 0x79, v22
	v_cmp_gt_u32_e32 vcc, s93, v22
	v_add_u32_e32 v23, 0xffffff81, v22
	v_cndmask_b32_e32 v24, 0, v24, vcc
	v_cmp_eq_u32_e32 vcc, 0, v22
	v_mov_b32_e32 v22, 0xffffff82
	v_cndmask_b32_e32 v29, v23, v22, vcc
	v_mov_b32_e32 v22, 0x78
	v_or_b32_e32 v28, 0x800000, v60
	v_cndmask_b32_e32 v24, v24, v22, vcc
	v_cndmask_b32_e32 v60, v28, v60, vcc
	v_add_u32_e32 v22, 20, v24
	v_lshlrev_b64 v[22:23], v22, -1
	v_add_u32_e32 v28, 19, v24
	v_lshrrev_b64 v[32:33], v24, v[60:61]
	v_not_b32_e32 v23, v23
	v_not_b32_e32 v22, v22
	v_lshlrev_b64 v[30:31], v28, 1
	v_lshrrev_b32_e32 v28, 23, v32
	v_and_b32_e32 v23, 0, v23
	v_and_b32_e32 v22, v60, v22
	v_add3_u32 v29, v24, v29, v28
	v_bfe_u32 v24, v32, 20, 1
	v_add_u32_e32 v24, -1, v24
	v_cmp_eq_u64_e32 vcc, v[22:23], v[30:31]
	v_cndmask_b32_e32 v22, 0, v24, vcc
	v_add_u32_e32 v22, v22, v32
	v_and_b32_e32 v22, 0xfffff, v22
	v_add_co_u32_e32 v22, vcc, v22, v32
	v_add_u32_e32 v28, 6, v29
	v_addc_co_u32_e32 v23, vcc, 0, v33, vcc
	v_cmp_ne_u32_e32 vcc, 0, v28
                                        ; implicit-def: $vgpr24
	s_and_saveexec_b64 s[30:31], vcc
	s_xor_b64 s[30:31], exec, s[30:31]
; %bb.2718:                             ;   in Loop: Header=BB2_2678 Depth=3
	v_add_u32_e32 v24, 7, v29
	v_cmp_lt_u64_e32 vcc, s[58:59], v[22:23]
	v_cndmask_b32_e32 v24, v28, v24, vcc
	v_cndmask_b32_e64 v28, 0, 1, vcc
	v_lshrrev_b64 v[22:23], v28, v[22:23]
; %bb.2719:                             ;   in Loop: Header=BB2_2678 Depth=3
	s_andn2_saveexec_b64 vcc, s[30:31]
; %bb.2720:                             ;   in Loop: Header=BB2_2678 Depth=3
	v_bfe_u32 v24, v22, 23, 1
; %bb.2721:                             ;   in Loop: Header=BB2_2678 Depth=3
	s_or_b64 exec, exec, vcc
	v_lshrrev_b64 v[22:23], 20, v[22:23]
	v_cmp_gt_i32_e32 vcc, 16, v24
	v_cndmask_b32_e32 v23, 0, v23, vcc
	v_cndmask_b32_e32 v22, 7, v22, vcc
	v_cmp_eq_u64_e64 s[30:31], 0, v[22:23]
	v_min_i32_e32 v23, 15, v24
	v_cmp_eq_u32_e32 vcc, 0, v24
	v_lshlrev_b32_e32 v23, 3, v23
	v_and_or_b32 v22, v22, 7, v23
	s_and_b64 vcc, vcc, s[30:31]
	v_cndmask_b32_e64 v22, v22, 0, vcc
	v_or_b32_e32 v28, v22, v1
.LBB2_2722:                             ;   in Loop: Header=BB2_2678 Depth=3
	s_or_b64 exec, exec, s[72:73]
.LBB2_2723:                             ;   in Loop: Header=BB2_2678 Depth=3
	s_or_b64 exec, exec, s[36:37]
                                        ; implicit-def: $vgpr22
.LBB2_2724:                             ;   in Loop: Header=BB2_2678 Depth=3
	s_andn2_saveexec_b64 s[30:31], s[34:35]
; %bb.2725:                             ;   in Loop: Header=BB2_2678 Depth=3
	v_or_b32_sdwa v1, v22, s92 dst_sel:DWORD dst_unused:UNUSED_PAD src0_sel:BYTE_3 src1_sel:DWORD
	v_cmp_eq_u64_e32 vcc, 0, v[60:61]
	v_cndmask_b32_e32 v28, v1, v28, vcc
; %bb.2726:                             ;   in Loop: Header=BB2_2678 Depth=3
	s_or_b64 exec, exec, s[30:31]
	v_lshrrev_b32_e32 v22, 16, v12
	v_cmp_ne_u16_sdwa vcc, v22, v61 src0_sel:BYTE_0 src1_sel:DWORD
	v_mov_b32_e32 v1, 0
	v_mov_b32_e32 v23, 0
	s_and_saveexec_b64 s[30:31], vcc
	s_cbranch_execz .LBB2_2732
; %bb.2727:                             ;   in Loop: Header=BB2_2678 Depth=3
	v_cmp_ne_u16_sdwa vcc, v22, s91 src0_sel:BYTE_0 src1_sel:DWORD
	v_bfrev_b32_e32 v23, 1
	s_and_saveexec_b64 s[34:35], vcc
	s_cbranch_execz .LBB2_2731
; %bb.2728:                             ;   in Loop: Header=BB2_2678 Depth=3
	v_bfe_u32 v24, v12, 16, 7
	v_cmp_ne_u32_e32 vcc, s92, v24
	v_mov_b32_e32 v23, 0x7f800001
	s_and_saveexec_b64 s[36:37], vcc
	s_cbranch_execz .LBB2_2730
; %bb.2729:                             ;   in Loop: Header=BB2_2678 Depth=3
	v_and_b32_e32 v23, 7, v22
	v_ffbh_u32_e32 v30, v23
	v_min_u32_e32 v32, 32, v30
	v_subrev_u32_e32 v30, 28, v32
	v_lshlrev_b64 v[30:31], v30, v[22:23]
	v_lshrrev_b32_e32 v29, 3, v24
	v_sub_u32_e32 v31, 29, v32
	v_and_b32_e32 v30, 7, v30
	v_cmp_gt_u32_e32 vcc, 8, v24
	v_cndmask_b32_e32 v24, v29, v31, vcc
	v_cndmask_b32_e32 v23, v23, v30, vcc
	v_lshlrev_b32_e32 v22, 24, v22
	v_lshlrev_b32_e32 v23, 20, v23
	v_and_b32_e32 v22, 0x80000000, v22
	v_lshl_add_u32 v24, v24, 23, v0
	v_or3_b32 v23, v22, v24, v23
.LBB2_2730:                             ;   in Loop: Header=BB2_2678 Depth=3
	s_or_b64 exec, exec, s[36:37]
.LBB2_2731:                             ;   in Loop: Header=BB2_2678 Depth=3
	s_or_b64 exec, exec, s[34:35]
.LBB2_2732:                             ;   in Loop: Header=BB2_2678 Depth=3
	s_or_b64 exec, exec, s[30:31]
	v_lshrrev_b32_e32 v22, 16, v8
	v_cmp_ne_u16_sdwa vcc, v22, v61 src0_sel:BYTE_0 src1_sel:DWORD
	s_and_saveexec_b64 s[30:31], vcc
	s_cbranch_execz .LBB2_2738
; %bb.2733:                             ;   in Loop: Header=BB2_2678 Depth=3
	v_cmp_ne_u16_sdwa vcc, v22, s91 src0_sel:BYTE_0 src1_sel:DWORD
	v_bfrev_b32_e32 v1, 1
	s_and_saveexec_b64 s[34:35], vcc
	s_cbranch_execz .LBB2_2737
; %bb.2734:                             ;   in Loop: Header=BB2_2678 Depth=3
	v_bfe_u32 v24, v8, 16, 7
	v_cmp_ne_u32_e32 vcc, s92, v24
	v_mov_b32_e32 v1, 0x7f800001
	s_and_saveexec_b64 s[36:37], vcc
	s_cbranch_execz .LBB2_2736
; %bb.2735:                             ;   in Loop: Header=BB2_2678 Depth=3
	v_and_b32_e32 v1, 7, v22
	v_ffbh_u32_e32 v30, v1
	v_min_u32_e32 v32, 32, v30
	v_subrev_u32_e32 v30, 28, v32
	v_lshlrev_b64 v[30:31], v30, v[22:23]
	v_lshrrev_b32_e32 v29, 3, v24
	v_sub_u32_e32 v22, 29, v32
	v_and_b32_e32 v30, 7, v30
	v_cmp_gt_u32_e32 vcc, 8, v24
	v_cndmask_b32_e32 v22, v29, v22, vcc
	v_cndmask_b32_e32 v1, v1, v30, vcc
	v_lshlrev_b32_e32 v24, 8, v8
	v_lshlrev_b32_e32 v1, 20, v1
	v_and_b32_e32 v24, 0x80000000, v24
	v_lshl_add_u32 v22, v22, 23, v0
	v_or3_b32 v1, v24, v22, v1
.LBB2_2736:                             ;   in Loop: Header=BB2_2678 Depth=3
	s_or_b64 exec, exec, s[36:37]
.LBB2_2737:                             ;   in Loop: Header=BB2_2678 Depth=3
	s_or_b64 exec, exec, s[34:35]
.LBB2_2738:                             ;   in Loop: Header=BB2_2678 Depth=3
	s_or_b64 exec, exec, s[30:31]
	v_add_f32_e32 v22, v23, v1
	v_and_b32_sdwa v1, v22, s91 dst_sel:DWORD dst_unused:UNUSED_PAD src0_sel:BYTE_3 src1_sel:DWORD
	v_and_b32_e32 v30, 0x7f800000, v22
	v_mov_b32_e32 v31, v61
	v_and_b32_e32 v60, 0x7fffff, v22
	v_or_b32_e32 v29, 0x7e, v1
	v_cmp_ne_u64_e32 vcc, s[54:55], v[30:31]
	s_and_saveexec_b64 s[30:31], vcc
	s_xor_b64 s[34:35], exec, s[30:31]
	s_cbranch_execz .LBB2_2748
; %bb.2739:                             ;   in Loop: Header=BB2_2678 Depth=3
	v_and_b32_e32 v30, 0x7fffffff, v22
	v_mov_b32_e32 v31, v61
	v_cmp_gt_u64_e32 vcc, s[56:57], v[30:31]
	s_and_saveexec_b64 s[36:37], vcc
	s_cbranch_execz .LBB2_2747
; %bb.2740:                             ;   in Loop: Header=BB2_2678 Depth=3
	v_cmp_ne_u32_e32 vcc, 0, v22
	v_mov_b32_e32 v29, 0
	s_and_saveexec_b64 s[72:73], vcc
	s_cbranch_execz .LBB2_2746
; %bb.2741:                             ;   in Loop: Header=BB2_2678 Depth=3
	v_bfe_u32 v22, v22, 23, 8
	v_sub_u32_e32 v24, 0x79, v22
	v_cmp_gt_u32_e32 vcc, s93, v22
	v_add_u32_e32 v23, 0xffffff81, v22
	v_cndmask_b32_e32 v24, 0, v24, vcc
	v_cmp_eq_u32_e32 vcc, 0, v22
	v_mov_b32_e32 v22, 0xffffff82
	v_cndmask_b32_e32 v30, v23, v22, vcc
	v_mov_b32_e32 v22, 0x78
	v_or_b32_e32 v29, 0x800000, v60
	v_cndmask_b32_e32 v24, v24, v22, vcc
	v_cndmask_b32_e32 v60, v29, v60, vcc
	v_add_u32_e32 v22, 20, v24
	v_lshlrev_b64 v[22:23], v22, -1
	v_add_u32_e32 v29, 19, v24
	v_lshrrev_b64 v[34:35], v24, v[60:61]
	v_not_b32_e32 v23, v23
	v_not_b32_e32 v22, v22
	v_lshlrev_b64 v[32:33], v29, 1
	v_lshrrev_b32_e32 v29, 23, v34
	v_and_b32_e32 v23, 0, v23
	v_and_b32_e32 v22, v60, v22
	v_add3_u32 v30, v24, v30, v29
	v_bfe_u32 v24, v34, 20, 1
	v_add_u32_e32 v24, -1, v24
	v_cmp_eq_u64_e32 vcc, v[22:23], v[32:33]
	v_cndmask_b32_e32 v22, 0, v24, vcc
	v_add_u32_e32 v22, v22, v34
	v_and_b32_e32 v22, 0xfffff, v22
	v_add_co_u32_e32 v22, vcc, v22, v34
	v_add_u32_e32 v29, 6, v30
	v_addc_co_u32_e32 v23, vcc, 0, v35, vcc
	v_cmp_ne_u32_e32 vcc, 0, v29
                                        ; implicit-def: $vgpr24
	s_and_saveexec_b64 s[30:31], vcc
	s_xor_b64 s[30:31], exec, s[30:31]
; %bb.2742:                             ;   in Loop: Header=BB2_2678 Depth=3
	v_add_u32_e32 v24, 7, v30
	v_cmp_lt_u64_e32 vcc, s[58:59], v[22:23]
	v_cndmask_b32_e32 v24, v29, v24, vcc
	v_cndmask_b32_e64 v29, 0, 1, vcc
	v_lshrrev_b64 v[22:23], v29, v[22:23]
; %bb.2743:                             ;   in Loop: Header=BB2_2678 Depth=3
	s_andn2_saveexec_b64 vcc, s[30:31]
; %bb.2744:                             ;   in Loop: Header=BB2_2678 Depth=3
	v_bfe_u32 v24, v22, 23, 1
; %bb.2745:                             ;   in Loop: Header=BB2_2678 Depth=3
	s_or_b64 exec, exec, vcc
	v_lshrrev_b64 v[22:23], 20, v[22:23]
	v_cmp_gt_i32_e32 vcc, 16, v24
	v_cndmask_b32_e32 v23, 0, v23, vcc
	v_cndmask_b32_e32 v22, 7, v22, vcc
	v_cmp_eq_u64_e64 s[30:31], 0, v[22:23]
	v_min_i32_e32 v23, 15, v24
	v_cmp_eq_u32_e32 vcc, 0, v24
	v_lshlrev_b32_e32 v23, 3, v23
	v_and_or_b32 v22, v22, 7, v23
	s_and_b64 vcc, vcc, s[30:31]
	v_cndmask_b32_e64 v22, v22, 0, vcc
	v_or_b32_e32 v29, v22, v1
.LBB2_2746:                             ;   in Loop: Header=BB2_2678 Depth=3
	s_or_b64 exec, exec, s[72:73]
.LBB2_2747:                             ;   in Loop: Header=BB2_2678 Depth=3
	s_or_b64 exec, exec, s[36:37]
                                        ; implicit-def: $vgpr22
.LBB2_2748:                             ;   in Loop: Header=BB2_2678 Depth=3
	s_andn2_saveexec_b64 s[30:31], s[34:35]
; %bb.2749:                             ;   in Loop: Header=BB2_2678 Depth=3
	v_or_b32_sdwa v1, v22, s92 dst_sel:DWORD dst_unused:UNUSED_PAD src0_sel:BYTE_3 src1_sel:DWORD
	v_cmp_eq_u64_e32 vcc, 0, v[60:61]
	v_cndmask_b32_e32 v29, v1, v29, vcc
; %bb.2750:                             ;   in Loop: Header=BB2_2678 Depth=3
	s_or_b64 exec, exec, s[30:31]
	v_cmp_lt_u32_e32 vcc, s45, v12
	v_mov_b32_e32 v1, 0
	v_mov_b32_e32 v23, 0
	s_and_saveexec_b64 s[30:31], vcc
	s_cbranch_execz .LBB2_2756
; %bb.2751:                             ;   in Loop: Header=BB2_2678 Depth=3
	v_lshrrev_b32_e32 v22, 24, v12
	v_cmp_ne_u32_e32 vcc, s91, v22
	v_bfrev_b32_e32 v23, 1
	s_and_saveexec_b64 s[34:35], vcc
	s_cbranch_execz .LBB2_2755
; %bb.2752:                             ;   in Loop: Header=BB2_2678 Depth=3
	v_bfe_u32 v24, v12, 24, 7
	v_cmp_ne_u32_e32 vcc, s92, v24
	v_mov_b32_e32 v23, 0x7f800001
	s_and_saveexec_b64 s[36:37], vcc
	s_cbranch_execz .LBB2_2754
; %bb.2753:                             ;   in Loop: Header=BB2_2678 Depth=3
	v_and_b32_e32 v23, 7, v22
	v_ffbh_u32_e32 v30, v23
	v_min_u32_e32 v33, 32, v30
	v_subrev_u32_e32 v30, 28, v33
	v_lshlrev_b64 v[30:31], v30, v[22:23]
	v_lshrrev_b32_e32 v32, 3, v24
	v_sub_u32_e32 v31, 29, v33
	v_and_b32_e32 v30, 7, v30
	v_cmp_gt_u32_e32 vcc, 8, v24
	v_cndmask_b32_e32 v24, v32, v31, vcc
	v_cndmask_b32_e32 v23, v23, v30, vcc
	v_lshlrev_b32_e32 v22, 24, v22
	v_lshlrev_b32_e32 v23, 20, v23
	v_and_b32_e32 v22, 0x80000000, v22
	v_lshl_add_u32 v24, v24, 23, v0
	v_or3_b32 v23, v22, v24, v23
.LBB2_2754:                             ;   in Loop: Header=BB2_2678 Depth=3
	s_or_b64 exec, exec, s[36:37]
.LBB2_2755:                             ;   in Loop: Header=BB2_2678 Depth=3
	s_or_b64 exec, exec, s[34:35]
.LBB2_2756:                             ;   in Loop: Header=BB2_2678 Depth=3
	s_or_b64 exec, exec, s[30:31]
	v_cmp_lt_u32_e32 vcc, s45, v8
	s_and_saveexec_b64 s[30:31], vcc
	s_cbranch_execz .LBB2_2762
; %bb.2757:                             ;   in Loop: Header=BB2_2678 Depth=3
	v_lshrrev_b32_e32 v22, 24, v8
	v_cmp_ne_u32_e32 vcc, s91, v22
	v_bfrev_b32_e32 v1, 1
	s_and_saveexec_b64 s[34:35], vcc
	s_cbranch_execz .LBB2_2761
; %bb.2758:                             ;   in Loop: Header=BB2_2678 Depth=3
	v_bfe_u32 v24, v8, 24, 7
	v_cmp_ne_u32_e32 vcc, s92, v24
	v_mov_b32_e32 v1, 0x7f800001
	s_and_saveexec_b64 s[36:37], vcc
	s_cbranch_execz .LBB2_2760
; %bb.2759:                             ;   in Loop: Header=BB2_2678 Depth=3
	v_and_b32_e32 v1, 7, v22
	v_ffbh_u32_e32 v30, v1
	v_min_u32_e32 v33, 32, v30
	v_subrev_u32_e32 v30, 28, v33
	v_lshlrev_b64 v[30:31], v30, v[22:23]
	v_lshrrev_b32_e32 v32, 3, v24
	v_sub_u32_e32 v31, 29, v33
	v_and_b32_e32 v30, 7, v30
	v_cmp_gt_u32_e32 vcc, 8, v24
	v_cndmask_b32_e32 v24, v32, v31, vcc
	v_cndmask_b32_e32 v1, v1, v30, vcc
	v_lshlrev_b32_e32 v22, 24, v22
	v_lshlrev_b32_e32 v1, 20, v1
	v_and_b32_e32 v22, 0x80000000, v22
	v_lshl_add_u32 v24, v24, 23, v0
	v_or3_b32 v1, v22, v24, v1
.LBB2_2760:                             ;   in Loop: Header=BB2_2678 Depth=3
	s_or_b64 exec, exec, s[36:37]
.LBB2_2761:                             ;   in Loop: Header=BB2_2678 Depth=3
	s_or_b64 exec, exec, s[34:35]
.LBB2_2762:                             ;   in Loop: Header=BB2_2678 Depth=3
	s_or_b64 exec, exec, s[30:31]
	v_add_f32_e32 v22, v23, v1
	v_and_b32_sdwa v1, v22, s91 dst_sel:DWORD dst_unused:UNUSED_PAD src0_sel:BYTE_3 src1_sel:DWORD
	v_and_b32_e32 v32, 0x7f800000, v22
	v_mov_b32_e32 v33, v61
	v_and_b32_e32 v60, 0x7fffff, v22
	v_or_b32_e32 v30, 0x7e, v1
	v_cmp_ne_u64_e32 vcc, s[54:55], v[32:33]
	s_and_saveexec_b64 s[30:31], vcc
	s_xor_b64 s[34:35], exec, s[30:31]
	s_cbranch_execz .LBB2_2772
; %bb.2763:                             ;   in Loop: Header=BB2_2678 Depth=3
	v_and_b32_e32 v32, 0x7fffffff, v22
	v_mov_b32_e32 v33, v61
	v_cmp_gt_u64_e32 vcc, s[56:57], v[32:33]
	s_and_saveexec_b64 s[36:37], vcc
	s_cbranch_execz .LBB2_2771
; %bb.2764:                             ;   in Loop: Header=BB2_2678 Depth=3
	v_cmp_ne_u32_e32 vcc, 0, v22
	v_mov_b32_e32 v30, 0
	s_and_saveexec_b64 s[72:73], vcc
	s_cbranch_execz .LBB2_2770
; %bb.2765:                             ;   in Loop: Header=BB2_2678 Depth=3
	v_bfe_u32 v22, v22, 23, 8
	v_sub_u32_e32 v24, 0x79, v22
	v_cmp_gt_u32_e32 vcc, s93, v22
	v_add_u32_e32 v23, 0xffffff81, v22
	v_cndmask_b32_e32 v24, 0, v24, vcc
	v_cmp_eq_u32_e32 vcc, 0, v22
	v_mov_b32_e32 v22, 0xffffff82
	v_cndmask_b32_e32 v31, v23, v22, vcc
	v_mov_b32_e32 v22, 0x78
	v_or_b32_e32 v30, 0x800000, v60
	v_cndmask_b32_e32 v24, v24, v22, vcc
	v_cndmask_b32_e32 v60, v30, v60, vcc
	v_add_u32_e32 v22, 20, v24
	v_lshlrev_b64 v[22:23], v22, -1
	v_add_u32_e32 v30, 19, v24
	v_lshrrev_b64 v[34:35], v24, v[60:61]
	v_not_b32_e32 v23, v23
	v_not_b32_e32 v22, v22
	v_lshlrev_b64 v[32:33], v30, 1
	v_lshrrev_b32_e32 v30, 23, v34
	v_and_b32_e32 v23, 0, v23
	v_and_b32_e32 v22, v60, v22
	v_add3_u32 v31, v24, v31, v30
	v_bfe_u32 v24, v34, 20, 1
	v_add_u32_e32 v24, -1, v24
	v_cmp_eq_u64_e32 vcc, v[22:23], v[32:33]
	v_cndmask_b32_e32 v22, 0, v24, vcc
	v_add_u32_e32 v22, v22, v34
	v_and_b32_e32 v22, 0xfffff, v22
	v_add_co_u32_e32 v22, vcc, v22, v34
	v_add_u32_e32 v30, 6, v31
	v_addc_co_u32_e32 v23, vcc, 0, v35, vcc
	v_cmp_ne_u32_e32 vcc, 0, v30
                                        ; implicit-def: $vgpr24
	s_and_saveexec_b64 s[30:31], vcc
	s_xor_b64 s[30:31], exec, s[30:31]
; %bb.2766:                             ;   in Loop: Header=BB2_2678 Depth=3
	v_add_u32_e32 v24, 7, v31
	v_cmp_lt_u64_e32 vcc, s[58:59], v[22:23]
	v_cndmask_b32_e32 v24, v30, v24, vcc
	v_cndmask_b32_e64 v30, 0, 1, vcc
	v_lshrrev_b64 v[22:23], v30, v[22:23]
; %bb.2767:                             ;   in Loop: Header=BB2_2678 Depth=3
	s_andn2_saveexec_b64 vcc, s[30:31]
; %bb.2768:                             ;   in Loop: Header=BB2_2678 Depth=3
	v_bfe_u32 v24, v22, 23, 1
; %bb.2769:                             ;   in Loop: Header=BB2_2678 Depth=3
	s_or_b64 exec, exec, vcc
	v_lshrrev_b64 v[22:23], 20, v[22:23]
	v_cmp_gt_i32_e32 vcc, 16, v24
	v_cndmask_b32_e32 v23, 0, v23, vcc
	v_cndmask_b32_e32 v22, 7, v22, vcc
	v_cmp_eq_u64_e64 s[30:31], 0, v[22:23]
	v_min_i32_e32 v23, 15, v24
	v_cmp_eq_u32_e32 vcc, 0, v24
	v_lshlrev_b32_e32 v23, 3, v23
	v_and_or_b32 v22, v22, 7, v23
	s_and_b64 vcc, vcc, s[30:31]
	v_cndmask_b32_e64 v22, v22, 0, vcc
	v_or_b32_e32 v30, v22, v1
.LBB2_2770:                             ;   in Loop: Header=BB2_2678 Depth=3
	s_or_b64 exec, exec, s[72:73]
.LBB2_2771:                             ;   in Loop: Header=BB2_2678 Depth=3
	s_or_b64 exec, exec, s[36:37]
                                        ; implicit-def: $vgpr22
.LBB2_2772:                             ;   in Loop: Header=BB2_2678 Depth=3
	s_andn2_saveexec_b64 s[30:31], s[34:35]
; %bb.2773:                             ;   in Loop: Header=BB2_2678 Depth=3
	v_or_b32_sdwa v1, v22, s92 dst_sel:DWORD dst_unused:UNUSED_PAD src0_sel:BYTE_3 src1_sel:DWORD
	v_cmp_eq_u64_e32 vcc, 0, v[60:61]
	v_cndmask_b32_e32 v30, v1, v30, vcc
; %bb.2774:                             ;   in Loop: Header=BB2_2678 Depth=3
	s_or_b64 exec, exec, s[30:31]
	v_mov_b32_e32 v60, v13
	v_cmp_ne_u16_sdwa vcc, v13, v61 src0_sel:BYTE_0 src1_sel:DWORD
	v_mov_b32_e32 v22, 0
	v_mov_b32_e32 v1, 0
	s_and_saveexec_b64 s[30:31], vcc
	s_cbranch_execz .LBB2_2780
; %bb.2775:                             ;   in Loop: Header=BB2_2678 Depth=3
	v_cmp_ne_u16_sdwa vcc, v13, s91 src0_sel:BYTE_0 src1_sel:DWORD
	v_bfrev_b32_e32 v1, 1
	s_and_saveexec_b64 s[34:35], vcc
	s_cbranch_execz .LBB2_2779
; %bb.2776:                             ;   in Loop: Header=BB2_2678 Depth=3
	v_and_b32_e32 v23, 0x7f, v13
	v_cmp_ne_u32_e32 vcc, s92, v23
	v_mov_b32_e32 v1, 0x7f800001
	s_and_saveexec_b64 s[36:37], vcc
	s_cbranch_execz .LBB2_2778
; %bb.2777:                             ;   in Loop: Header=BB2_2678 Depth=3
	v_and_b32_e32 v1, 7, v13
	v_ffbh_u32_e32 v1, v1
	v_min_u32_e32 v1, 32, v1
	v_subrev_u32_e32 v31, 28, v1
	v_cmp_gt_u32_e32 vcc, 8, v23
	v_lshrrev_b32_e32 v24, 3, v23
	v_cndmask_b32_e32 v23, 0, v31, vcc
	v_sub_u32_e32 v1, 29, v1
	v_lshlrev_b64 v[32:33], v23, v[60:61]
	v_cndmask_b32_e32 v1, v24, v1, vcc
	v_lshlrev_b32_e32 v23, 20, v32
	v_lshlrev_b32_e32 v24, 24, v60
	v_and_b32_e32 v23, 0x700000, v23
	v_and_b32_e32 v24, 0x80000000, v24
	v_lshl_add_u32 v1, v1, 23, v0
	v_or3_b32 v1, v24, v1, v23
.LBB2_2778:                             ;   in Loop: Header=BB2_2678 Depth=3
	s_or_b64 exec, exec, s[36:37]
.LBB2_2779:                             ;   in Loop: Header=BB2_2678 Depth=3
	s_or_b64 exec, exec, s[34:35]
.LBB2_2780:                             ;   in Loop: Header=BB2_2678 Depth=3
	s_or_b64 exec, exec, s[30:31]
	v_cmp_ne_u16_sdwa vcc, v9, v61 src0_sel:BYTE_0 src1_sel:DWORD
	s_and_saveexec_b64 s[30:31], vcc
	s_cbranch_execz .LBB2_2786
; %bb.2781:                             ;   in Loop: Header=BB2_2678 Depth=3
	v_cmp_ne_u16_sdwa vcc, v9, s91 src0_sel:BYTE_0 src1_sel:DWORD
	v_bfrev_b32_e32 v22, 1
	s_and_saveexec_b64 s[34:35], vcc
	s_cbranch_execz .LBB2_2785
; %bb.2782:                             ;   in Loop: Header=BB2_2678 Depth=3
	v_and_b32_e32 v23, 0x7f, v9
	v_cmp_ne_u32_e32 vcc, s92, v23
	v_mov_b32_e32 v22, 0x7f800001
	s_and_saveexec_b64 s[36:37], vcc
	s_cbranch_execz .LBB2_2784
; %bb.2783:                             ;   in Loop: Header=BB2_2678 Depth=3
	v_and_b32_e32 v22, 7, v9
	v_ffbh_u32_e32 v22, v22
	v_min_u32_e32 v22, 32, v22
	v_lshrrev_b32_e32 v24, 3, v23
	v_subrev_u32_e32 v31, 28, v22
	v_sub_u32_e32 v22, 29, v22
	v_cmp_gt_u32_e32 vcc, 8, v23
	v_mov_b32_e32 v32, v9
	v_mov_b32_e32 v33, v61
	v_cndmask_b32_e32 v24, v24, v22, vcc
	v_cndmask_b32_e32 v22, 0, v31, vcc
	v_lshlrev_b64 v[22:23], v22, v[32:33]
	v_lshlrev_b32_e32 v22, 20, v22
	v_lshlrev_b32_e32 v23, 24, v32
	v_and_b32_e32 v22, 0x700000, v22
	v_and_b32_e32 v23, 0x80000000, v23
	v_lshl_add_u32 v24, v24, 23, v0
	v_or3_b32 v22, v23, v24, v22
.LBB2_2784:                             ;   in Loop: Header=BB2_2678 Depth=3
	s_or_b64 exec, exec, s[36:37]
.LBB2_2785:                             ;   in Loop: Header=BB2_2678 Depth=3
	s_or_b64 exec, exec, s[34:35]
.LBB2_2786:                             ;   in Loop: Header=BB2_2678 Depth=3
	s_or_b64 exec, exec, s[30:31]
	v_add_f32_e32 v24, v1, v22
	v_and_b32_sdwa v1, v24, s91 dst_sel:DWORD dst_unused:UNUSED_PAD src0_sel:BYTE_3 src1_sel:DWORD
	v_and_b32_e32 v32, 0x7f800000, v24
	v_mov_b32_e32 v33, v61
	v_and_b32_e32 v22, 0x7fffff, v24
	v_mov_b32_e32 v23, v61
	v_or_b32_e32 v31, 0x7e, v1
	v_cmp_ne_u64_e32 vcc, s[54:55], v[32:33]
	s_and_saveexec_b64 s[30:31], vcc
	s_xor_b64 s[34:35], exec, s[30:31]
	s_cbranch_execz .LBB2_2796
; %bb.2787:                             ;   in Loop: Header=BB2_2678 Depth=3
	v_and_b32_e32 v32, 0x7fffffff, v24
	v_mov_b32_e32 v33, v61
	v_cmp_gt_u64_e32 vcc, s[56:57], v[32:33]
	s_and_saveexec_b64 s[36:37], vcc
	s_cbranch_execz .LBB2_2795
; %bb.2788:                             ;   in Loop: Header=BB2_2678 Depth=3
	v_cmp_ne_u32_e32 vcc, 0, v24
	v_mov_b32_e32 v31, 0
	s_and_saveexec_b64 s[72:73], vcc
	s_cbranch_execz .LBB2_2794
; %bb.2789:                             ;   in Loop: Header=BB2_2678 Depth=3
	v_bfe_u32 v24, v24, 23, 8
	v_sub_u32_e32 v32, 0x79, v24
	v_cmp_gt_u32_e32 vcc, s93, v24
	v_add_u32_e32 v31, 0xffffff81, v24
	v_cndmask_b32_e32 v32, 0, v32, vcc
	v_cmp_eq_u32_e32 vcc, 0, v24
	v_mov_b32_e32 v24, 0xffffff82
	v_cndmask_b32_e32 v24, v31, v24, vcc
	v_mov_b32_e32 v31, 0x78
	v_cndmask_b32_e32 v31, v32, v31, vcc
	v_or_b32_e32 v33, 0x800000, v22
	v_add_u32_e32 v32, 20, v31
	v_cndmask_b32_e32 v22, v33, v22, vcc
	v_lshlrev_b64 v[32:33], v32, -1
	v_not_b32_e32 v32, v32
	v_and_b32_e32 v32, v22, v32
	v_lshrrev_b64 v[22:23], v31, v[22:23]
	v_not_b32_e32 v33, v33
	v_add_u32_e32 v34, 19, v31
	v_lshrrev_b32_e32 v36, 23, v22
	v_and_b32_e32 v33, 0, v33
	v_lshlrev_b64 v[34:35], v34, 1
	v_add3_u32 v36, v31, v24, v36
	v_bfe_u32 v24, v22, 20, 1
	v_add_u32_e32 v24, -1, v24
	v_cmp_eq_u64_e32 vcc, v[32:33], v[34:35]
	v_cndmask_b32_e32 v24, 0, v24, vcc
	v_add_u32_e32 v24, v24, v22
	v_and_b32_e32 v24, 0xfffff, v24
	v_add_co_u32_e32 v22, vcc, v24, v22
	v_add_u32_e32 v31, 6, v36
	v_addc_co_u32_e32 v23, vcc, 0, v23, vcc
	v_cmp_ne_u32_e32 vcc, 0, v31
                                        ; implicit-def: $vgpr24
	s_and_saveexec_b64 s[30:31], vcc
	s_xor_b64 s[30:31], exec, s[30:31]
; %bb.2790:                             ;   in Loop: Header=BB2_2678 Depth=3
	v_add_u32_e32 v24, 7, v36
	v_cmp_lt_u64_e32 vcc, s[58:59], v[22:23]
	v_cndmask_b32_e32 v24, v31, v24, vcc
	v_cndmask_b32_e64 v31, 0, 1, vcc
	v_lshrrev_b64 v[22:23], v31, v[22:23]
; %bb.2791:                             ;   in Loop: Header=BB2_2678 Depth=3
	s_andn2_saveexec_b64 vcc, s[30:31]
; %bb.2792:                             ;   in Loop: Header=BB2_2678 Depth=3
	v_bfe_u32 v24, v22, 23, 1
; %bb.2793:                             ;   in Loop: Header=BB2_2678 Depth=3
	s_or_b64 exec, exec, vcc
	v_lshrrev_b64 v[22:23], 20, v[22:23]
	v_cmp_gt_i32_e32 vcc, 16, v24
	v_cndmask_b32_e32 v23, 0, v23, vcc
	v_cndmask_b32_e32 v22, 7, v22, vcc
	v_cmp_eq_u64_e64 s[30:31], 0, v[22:23]
	v_min_i32_e32 v23, 15, v24
	v_cmp_eq_u32_e32 vcc, 0, v24
	v_lshlrev_b32_e32 v23, 3, v23
	v_and_or_b32 v22, v22, 7, v23
	s_and_b64 vcc, vcc, s[30:31]
	v_cndmask_b32_e64 v22, v22, 0, vcc
	v_or_b32_e32 v31, v22, v1
.LBB2_2794:                             ;   in Loop: Header=BB2_2678 Depth=3
	s_or_b64 exec, exec, s[72:73]
.LBB2_2795:                             ;   in Loop: Header=BB2_2678 Depth=3
	s_or_b64 exec, exec, s[36:37]
                                        ; implicit-def: $vgpr24
                                        ; implicit-def: $vgpr22_vgpr23
.LBB2_2796:                             ;   in Loop: Header=BB2_2678 Depth=3
	s_andn2_saveexec_b64 s[30:31], s[34:35]
; %bb.2797:                             ;   in Loop: Header=BB2_2678 Depth=3
	v_or_b32_sdwa v1, v24, s92 dst_sel:DWORD dst_unused:UNUSED_PAD src0_sel:BYTE_3 src1_sel:DWORD
	v_cmp_eq_u64_e32 vcc, 0, v[22:23]
	v_cndmask_b32_e32 v31, v1, v31, vcc
; %bb.2798:                             ;   in Loop: Header=BB2_2678 Depth=3
	s_or_b64 exec, exec, s[30:31]
	v_lshrrev_b16_e32 v22, 8, v60
	v_cmp_ne_u16_e32 vcc, 0, v22
	v_mov_b32_e32 v1, 0
	v_mov_b32_e32 v23, 0
	s_and_saveexec_b64 s[30:31], vcc
	s_cbranch_execz .LBB2_2804
; %bb.2799:                             ;   in Loop: Header=BB2_2678 Depth=3
	v_cmp_ne_u16_e32 vcc, s91, v22
	v_bfrev_b32_e32 v23, 1
	s_and_saveexec_b64 s[34:35], vcc
	s_cbranch_execz .LBB2_2803
; %bb.2800:                             ;   in Loop: Header=BB2_2678 Depth=3
	v_and_b32_e32 v24, 0x7f, v22
	v_cmp_ne_u32_e32 vcc, s92, v24
	v_mov_b32_e32 v23, 0x7f800001
	s_and_saveexec_b64 s[36:37], vcc
	s_cbranch_execz .LBB2_2802
; %bb.2801:                             ;   in Loop: Header=BB2_2678 Depth=3
	v_and_b32_e32 v32, 7, v22
	v_ffbh_u32_e32 v23, v32
	v_min_u32_e32 v34, 32, v23
	v_subrev_u32_e32 v23, 28, v34
	v_lshlrev_b64 v[22:23], v23, v[22:23]
	v_lshrrev_b32_e32 v33, 3, v24
	v_sub_u32_e32 v23, 29, v34
	v_and_b32_e32 v22, 7, v22
	v_cmp_gt_u32_e32 vcc, 8, v24
	v_cndmask_b32_e32 v23, v33, v23, vcc
	v_cndmask_b32_e32 v22, v32, v22, vcc
	v_lshlrev_b32_e32 v24, 16, v60
	v_lshlrev_b32_e32 v22, 20, v22
	v_and_b32_e32 v24, 0x80000000, v24
	v_lshl_add_u32 v23, v23, 23, v0
	v_or3_b32 v23, v24, v23, v22
.LBB2_2802:                             ;   in Loop: Header=BB2_2678 Depth=3
	s_or_b64 exec, exec, s[36:37]
.LBB2_2803:                             ;   in Loop: Header=BB2_2678 Depth=3
	s_or_b64 exec, exec, s[34:35]
.LBB2_2804:                             ;   in Loop: Header=BB2_2678 Depth=3
	s_or_b64 exec, exec, s[30:31]
	v_mov_b32_e32 v22, v9
	v_lshrrev_b16_e32 v24, 8, v22
	v_cmp_ne_u16_e32 vcc, 0, v24
	s_and_saveexec_b64 s[30:31], vcc
	s_cbranch_execz .LBB2_2810
; %bb.2805:                             ;   in Loop: Header=BB2_2678 Depth=3
	v_cmp_ne_u16_e32 vcc, s91, v24
	v_bfrev_b32_e32 v1, 1
	s_and_saveexec_b64 s[34:35], vcc
	s_cbranch_execz .LBB2_2809
; %bb.2806:                             ;   in Loop: Header=BB2_2678 Depth=3
	v_and_b32_e32 v36, 0x7f, v24
	v_cmp_ne_u32_e32 vcc, s92, v36
	v_mov_b32_e32 v1, 0x7f800001
	s_and_saveexec_b64 s[36:37], vcc
	s_cbranch_execz .LBB2_2808
; %bb.2807:                             ;   in Loop: Header=BB2_2678 Depth=3
	v_and_b32_e32 v1, 7, v24
	v_ffbh_u32_e32 v32, v1
	v_min_u32_e32 v35, 32, v32
	v_subrev_u32_e32 v32, 28, v35
	v_lshlrev_b64 v[32:33], v32, v[24:25]
	v_lshrrev_b32_e32 v34, 3, v36
	v_sub_u32_e32 v24, 29, v35
	v_and_b32_e32 v32, 7, v32
	v_cmp_gt_u32_e32 vcc, 8, v36
	v_cndmask_b32_e32 v24, v34, v24, vcc
	v_cndmask_b32_e32 v1, v1, v32, vcc
	v_lshlrev_b32_e32 v22, 16, v22
	v_lshlrev_b32_e32 v1, 20, v1
	v_and_b32_e32 v22, 0x80000000, v22
	v_lshl_add_u32 v24, v24, 23, v0
	v_or3_b32 v1, v22, v24, v1
.LBB2_2808:                             ;   in Loop: Header=BB2_2678 Depth=3
	s_or_b64 exec, exec, s[36:37]
.LBB2_2809:                             ;   in Loop: Header=BB2_2678 Depth=3
	s_or_b64 exec, exec, s[34:35]
.LBB2_2810:                             ;   in Loop: Header=BB2_2678 Depth=3
	s_or_b64 exec, exec, s[30:31]
	v_add_f32_e32 v22, v23, v1
	v_and_b32_sdwa v1, v22, s91 dst_sel:DWORD dst_unused:UNUSED_PAD src0_sel:BYTE_3 src1_sel:DWORD
	v_and_b32_e32 v32, 0x7f800000, v22
	v_mov_b32_e32 v33, v61
	v_and_b32_e32 v60, 0x7fffff, v22
	v_or_b32_e32 v24, 0x7e, v1
	v_cmp_ne_u64_e32 vcc, s[54:55], v[32:33]
	s_and_saveexec_b64 s[30:31], vcc
	s_xor_b64 s[34:35], exec, s[30:31]
	s_cbranch_execz .LBB2_2820
; %bb.2811:                             ;   in Loop: Header=BB2_2678 Depth=3
	v_and_b32_e32 v32, 0x7fffffff, v22
	v_mov_b32_e32 v33, v61
	v_cmp_gt_u64_e32 vcc, s[56:57], v[32:33]
	s_and_saveexec_b64 s[36:37], vcc
	s_cbranch_execz .LBB2_2819
; %bb.2812:                             ;   in Loop: Header=BB2_2678 Depth=3
	v_cmp_ne_u32_e32 vcc, 0, v22
	v_mov_b32_e32 v24, 0
	s_and_saveexec_b64 s[72:73], vcc
	s_cbranch_execz .LBB2_2818
; %bb.2813:                             ;   in Loop: Header=BB2_2678 Depth=3
	v_bfe_u32 v22, v22, 23, 8
	v_sub_u32_e32 v24, 0x79, v22
	v_cmp_gt_u32_e32 vcc, s93, v22
	v_add_u32_e32 v23, 0xffffff81, v22
	v_cndmask_b32_e32 v24, 0, v24, vcc
	v_cmp_eq_u32_e32 vcc, 0, v22
	v_mov_b32_e32 v22, 0xffffff82
	v_cndmask_b32_e32 v36, v23, v22, vcc
	v_mov_b32_e32 v22, 0x78
	v_or_b32_e32 v32, 0x800000, v60
	v_cndmask_b32_e32 v24, v24, v22, vcc
	v_cndmask_b32_e32 v60, v32, v60, vcc
	v_add_u32_e32 v22, 20, v24
	v_lshlrev_b64 v[22:23], v22, -1
	v_lshrrev_b64 v[34:35], v24, v[60:61]
	v_not_b32_e32 v23, v23
	v_not_b32_e32 v22, v22
	v_add_u32_e32 v32, 19, v24
	v_lshrrev_b32_e32 v37, 23, v34
	v_and_b32_e32 v23, 0, v23
	v_and_b32_e32 v22, v60, v22
	v_lshlrev_b64 v[32:33], v32, 1
	v_add3_u32 v37, v24, v36, v37
	v_bfe_u32 v24, v34, 20, 1
	v_add_u32_e32 v24, -1, v24
	v_cmp_eq_u64_e32 vcc, v[22:23], v[32:33]
	v_cndmask_b32_e32 v22, 0, v24, vcc
	v_add_u32_e32 v22, v22, v34
	v_and_b32_e32 v22, 0xfffff, v22
	v_add_co_u32_e32 v22, vcc, v22, v34
	v_add_u32_e32 v36, 6, v37
	v_addc_co_u32_e32 v23, vcc, 0, v35, vcc
	v_cmp_ne_u32_e32 vcc, 0, v36
                                        ; implicit-def: $vgpr24
	s_and_saveexec_b64 s[30:31], vcc
	s_xor_b64 s[30:31], exec, s[30:31]
; %bb.2814:                             ;   in Loop: Header=BB2_2678 Depth=3
	v_cmp_lt_u64_e32 vcc, s[58:59], v[22:23]
	v_add_u32_e32 v24, 7, v37
	v_cndmask_b32_e64 v32, 0, 1, vcc
	v_cndmask_b32_e32 v24, v36, v24, vcc
	v_lshrrev_b64 v[22:23], v32, v[22:23]
; %bb.2815:                             ;   in Loop: Header=BB2_2678 Depth=3
	s_andn2_saveexec_b64 vcc, s[30:31]
; %bb.2816:                             ;   in Loop: Header=BB2_2678 Depth=3
	v_bfe_u32 v24, v22, 23, 1
; %bb.2817:                             ;   in Loop: Header=BB2_2678 Depth=3
	s_or_b64 exec, exec, vcc
	v_lshrrev_b64 v[22:23], 20, v[22:23]
	v_cmp_gt_i32_e32 vcc, 16, v24
	v_cndmask_b32_e32 v23, 0, v23, vcc
	v_cndmask_b32_e32 v22, 7, v22, vcc
	v_cmp_eq_u64_e64 s[30:31], 0, v[22:23]
	v_min_i32_e32 v23, 15, v24
	v_cmp_eq_u32_e32 vcc, 0, v24
	v_lshlrev_b32_e32 v23, 3, v23
	v_and_or_b32 v22, v22, 7, v23
	s_and_b64 vcc, vcc, s[30:31]
	v_cndmask_b32_e64 v22, v22, 0, vcc
	v_or_b32_e32 v24, v22, v1
.LBB2_2818:                             ;   in Loop: Header=BB2_2678 Depth=3
	s_or_b64 exec, exec, s[72:73]
.LBB2_2819:                             ;   in Loop: Header=BB2_2678 Depth=3
	s_or_b64 exec, exec, s[36:37]
                                        ; implicit-def: $vgpr22
.LBB2_2820:                             ;   in Loop: Header=BB2_2678 Depth=3
	s_andn2_saveexec_b64 s[30:31], s[34:35]
; %bb.2821:                             ;   in Loop: Header=BB2_2678 Depth=3
	v_or_b32_sdwa v1, v22, s92 dst_sel:DWORD dst_unused:UNUSED_PAD src0_sel:BYTE_3 src1_sel:DWORD
	v_cmp_eq_u64_e32 vcc, 0, v[60:61]
	v_cndmask_b32_e32 v24, v1, v24, vcc
; %bb.2822:                             ;   in Loop: Header=BB2_2678 Depth=3
	s_or_b64 exec, exec, s[30:31]
	v_lshrrev_b32_e32 v22, 16, v13
	v_cmp_ne_u16_sdwa vcc, v22, v61 src0_sel:BYTE_0 src1_sel:DWORD
	v_mov_b32_e32 v1, 0
	v_mov_b32_e32 v23, 0
	s_and_saveexec_b64 s[30:31], vcc
	s_cbranch_execz .LBB2_2828
; %bb.2823:                             ;   in Loop: Header=BB2_2678 Depth=3
	v_cmp_ne_u16_sdwa vcc, v22, s91 src0_sel:BYTE_0 src1_sel:DWORD
	v_bfrev_b32_e32 v23, 1
	s_and_saveexec_b64 s[34:35], vcc
	s_cbranch_execz .LBB2_2827
; %bb.2824:                             ;   in Loop: Header=BB2_2678 Depth=3
	v_bfe_u32 v36, v13, 16, 7
	v_cmp_ne_u32_e32 vcc, s92, v36
	v_mov_b32_e32 v23, 0x7f800001
	s_and_saveexec_b64 s[36:37], vcc
	s_cbranch_execz .LBB2_2826
; %bb.2825:                             ;   in Loop: Header=BB2_2678 Depth=3
	v_and_b32_e32 v23, 7, v22
	v_ffbh_u32_e32 v32, v23
	v_min_u32_e32 v35, 32, v32
	v_subrev_u32_e32 v32, 28, v35
	v_lshlrev_b64 v[32:33], v32, v[22:23]
	v_lshrrev_b32_e32 v34, 3, v36
	v_sub_u32_e32 v33, 29, v35
	v_and_b32_e32 v32, 7, v32
	v_cmp_gt_u32_e32 vcc, 8, v36
	v_cndmask_b32_e32 v33, v34, v33, vcc
	v_cndmask_b32_e32 v23, v23, v32, vcc
	v_lshlrev_b32_e32 v22, 24, v22
	v_lshlrev_b32_e32 v23, 20, v23
	v_and_b32_e32 v22, 0x80000000, v22
	v_lshl_add_u32 v32, v33, 23, v0
	v_or3_b32 v23, v22, v32, v23
.LBB2_2826:                             ;   in Loop: Header=BB2_2678 Depth=3
	s_or_b64 exec, exec, s[36:37]
.LBB2_2827:                             ;   in Loop: Header=BB2_2678 Depth=3
	s_or_b64 exec, exec, s[34:35]
.LBB2_2828:                             ;   in Loop: Header=BB2_2678 Depth=3
	s_or_b64 exec, exec, s[30:31]
	v_lshrrev_b32_e32 v22, 16, v9
	v_cmp_ne_u16_sdwa vcc, v22, v61 src0_sel:BYTE_0 src1_sel:DWORD
	s_and_saveexec_b64 s[30:31], vcc
	s_cbranch_execz .LBB2_2834
; %bb.2829:                             ;   in Loop: Header=BB2_2678 Depth=3
	v_cmp_ne_u16_sdwa vcc, v22, s91 src0_sel:BYTE_0 src1_sel:DWORD
	v_bfrev_b32_e32 v1, 1
	s_and_saveexec_b64 s[34:35], vcc
	s_cbranch_execz .LBB2_2833
; %bb.2830:                             ;   in Loop: Header=BB2_2678 Depth=3
	v_bfe_u32 v36, v9, 16, 7
	v_cmp_ne_u32_e32 vcc, s92, v36
	v_mov_b32_e32 v1, 0x7f800001
	s_and_saveexec_b64 s[36:37], vcc
	s_cbranch_execz .LBB2_2832
; %bb.2831:                             ;   in Loop: Header=BB2_2678 Depth=3
	v_and_b32_e32 v1, 7, v22
	v_ffbh_u32_e32 v32, v1
	v_min_u32_e32 v35, 32, v32
	v_subrev_u32_e32 v32, 28, v35
	v_lshlrev_b64 v[32:33], v32, v[22:23]
	v_lshrrev_b32_e32 v34, 3, v36
	v_sub_u32_e32 v22, 29, v35
	v_and_b32_e32 v32, 7, v32
	v_cmp_gt_u32_e32 vcc, 8, v36
	v_cndmask_b32_e32 v22, v34, v22, vcc
	v_cndmask_b32_e32 v1, v1, v32, vcc
	v_lshlrev_b32_e32 v32, 8, v9
	v_lshlrev_b32_e32 v1, 20, v1
	v_and_b32_e32 v32, 0x80000000, v32
	v_lshl_add_u32 v22, v22, 23, v0
	v_or3_b32 v1, v32, v22, v1
.LBB2_2832:                             ;   in Loop: Header=BB2_2678 Depth=3
	s_or_b64 exec, exec, s[36:37]
.LBB2_2833:                             ;   in Loop: Header=BB2_2678 Depth=3
	s_or_b64 exec, exec, s[34:35]
.LBB2_2834:                             ;   in Loop: Header=BB2_2678 Depth=3
	s_or_b64 exec, exec, s[30:31]
	v_add_f32_e32 v23, v23, v1
	v_and_b32_sdwa v1, v23, s91 dst_sel:DWORD dst_unused:UNUSED_PAD src0_sel:BYTE_3 src1_sel:DWORD
	v_and_b32_e32 v32, 0x7f800000, v23
	v_mov_b32_e32 v33, v61
	v_and_b32_e32 v60, 0x7fffff, v23
	v_or_b32_e32 v22, 0x7e, v1
	v_cmp_ne_u64_e32 vcc, s[54:55], v[32:33]
	s_and_saveexec_b64 s[30:31], vcc
	s_xor_b64 s[34:35], exec, s[30:31]
	s_cbranch_execz .LBB2_2844
; %bb.2835:                             ;   in Loop: Header=BB2_2678 Depth=3
	v_and_b32_e32 v32, 0x7fffffff, v23
	v_mov_b32_e32 v33, v61
	v_cmp_gt_u64_e32 vcc, s[56:57], v[32:33]
	s_and_saveexec_b64 s[36:37], vcc
	s_cbranch_execz .LBB2_2843
; %bb.2836:                             ;   in Loop: Header=BB2_2678 Depth=3
	v_cmp_ne_u32_e32 vcc, 0, v23
	v_mov_b32_e32 v22, 0
	s_and_saveexec_b64 s[72:73], vcc
	s_cbranch_execz .LBB2_2842
; %bb.2837:                             ;   in Loop: Header=BB2_2678 Depth=3
	v_bfe_u32 v22, v23, 23, 8
	v_sub_u32_e32 v32, 0x79, v22
	v_cmp_gt_u32_e32 vcc, s93, v22
	v_add_u32_e32 v23, 0xffffff81, v22
	v_cndmask_b32_e32 v32, 0, v32, vcc
	v_cmp_eq_u32_e32 vcc, 0, v22
	v_mov_b32_e32 v22, 0xffffff82
	v_cndmask_b32_e32 v36, v23, v22, vcc
	v_mov_b32_e32 v22, 0x78
	v_or_b32_e32 v33, 0x800000, v60
	v_cndmask_b32_e32 v37, v32, v22, vcc
	v_cndmask_b32_e32 v60, v33, v60, vcc
	v_add_u32_e32 v22, 20, v37
	v_lshlrev_b64 v[22:23], v22, -1
	v_lshrrev_b64 v[34:35], v37, v[60:61]
	v_not_b32_e32 v23, v23
	v_not_b32_e32 v22, v22
	v_add_u32_e32 v32, 19, v37
	v_lshrrev_b32_e32 v38, 23, v34
	v_and_b32_e32 v23, 0, v23
	v_and_b32_e32 v22, v60, v22
	v_lshlrev_b64 v[32:33], v32, 1
	v_add3_u32 v38, v37, v36, v38
	v_bfe_u32 v36, v34, 20, 1
	v_add_u32_e32 v36, -1, v36
	v_cmp_eq_u64_e32 vcc, v[22:23], v[32:33]
	v_cndmask_b32_e32 v22, 0, v36, vcc
	v_add_u32_e32 v22, v22, v34
	v_and_b32_e32 v22, 0xfffff, v22
	v_add_co_u32_e32 v22, vcc, v22, v34
	v_add_u32_e32 v37, 6, v38
	v_addc_co_u32_e32 v23, vcc, 0, v35, vcc
	v_cmp_ne_u32_e32 vcc, 0, v37
                                        ; implicit-def: $vgpr36
	s_and_saveexec_b64 s[30:31], vcc
	s_xor_b64 s[30:31], exec, s[30:31]
; %bb.2838:                             ;   in Loop: Header=BB2_2678 Depth=3
	v_add_u32_e32 v32, 7, v38
	v_cmp_lt_u64_e32 vcc, s[58:59], v[22:23]
	v_cndmask_b32_e32 v36, v37, v32, vcc
	v_cndmask_b32_e64 v32, 0, 1, vcc
	v_lshrrev_b64 v[22:23], v32, v[22:23]
; %bb.2839:                             ;   in Loop: Header=BB2_2678 Depth=3
	s_andn2_saveexec_b64 vcc, s[30:31]
; %bb.2840:                             ;   in Loop: Header=BB2_2678 Depth=3
	v_bfe_u32 v36, v22, 23, 1
; %bb.2841:                             ;   in Loop: Header=BB2_2678 Depth=3
	s_or_b64 exec, exec, vcc
	v_lshrrev_b64 v[22:23], 20, v[22:23]
	v_cmp_gt_i32_e32 vcc, 16, v36
	v_cndmask_b32_e32 v23, 0, v23, vcc
	v_cndmask_b32_e32 v22, 7, v22, vcc
	v_cmp_eq_u64_e64 s[30:31], 0, v[22:23]
	v_min_i32_e32 v23, 15, v36
	v_lshlrev_b32_e32 v23, 3, v23
	v_cmp_eq_u32_e32 vcc, 0, v36
	v_and_b32_e32 v23, 0xf8, v23
	v_and_or_b32 v22, v22, 7, v23
	s_and_b64 vcc, vcc, s[30:31]
	v_cndmask_b32_e64 v22, v22, 0, vcc
	v_or_b32_e32 v22, v22, v1
.LBB2_2842:                             ;   in Loop: Header=BB2_2678 Depth=3
	s_or_b64 exec, exec, s[72:73]
.LBB2_2843:                             ;   in Loop: Header=BB2_2678 Depth=3
	s_or_b64 exec, exec, s[36:37]
                                        ; implicit-def: $vgpr23
.LBB2_2844:                             ;   in Loop: Header=BB2_2678 Depth=3
	s_andn2_saveexec_b64 s[30:31], s[34:35]
; %bb.2845:                             ;   in Loop: Header=BB2_2678 Depth=3
	v_or_b32_sdwa v1, v23, s92 dst_sel:DWORD dst_unused:UNUSED_PAD src0_sel:BYTE_3 src1_sel:DWORD
	v_cmp_eq_u64_e32 vcc, 0, v[60:61]
	v_cndmask_b32_e32 v22, v1, v22, vcc
; %bb.2846:                             ;   in Loop: Header=BB2_2678 Depth=3
	s_or_b64 exec, exec, s[30:31]
	v_cmp_lt_u64_e32 vcc, s[44:45], v[12:13]
	v_mov_b32_e32 v1, 0
	v_mov_b32_e32 v23, 0
	s_and_saveexec_b64 s[30:31], vcc
	s_cbranch_execz .LBB2_2852
; %bb.2847:                             ;   in Loop: Header=BB2_2678 Depth=3
	v_lshrrev_b32_e32 v12, 24, v13
	v_cmp_ne_u32_e32 vcc, s91, v12
	v_bfrev_b32_e32 v23, 1
	s_and_saveexec_b64 s[34:35], vcc
	s_cbranch_execz .LBB2_2851
; %bb.2848:                             ;   in Loop: Header=BB2_2678 Depth=3
	v_bfe_u32 v13, v13, 24, 7
	v_cmp_ne_u32_e32 vcc, s92, v13
	v_mov_b32_e32 v23, 0x7f800001
	s_and_saveexec_b64 s[36:37], vcc
	s_cbranch_execz .LBB2_2850
; %bb.2849:                             ;   in Loop: Header=BB2_2678 Depth=3
	v_and_b32_e32 v23, 7, v12
	v_ffbh_u32_e32 v32, v23
	v_min_u32_e32 v35, 32, v32
	v_subrev_u32_e32 v32, 28, v35
	v_lshlrev_b64 v[32:33], v32, v[12:13]
	v_lshrrev_b32_e32 v34, 3, v13
	v_sub_u32_e32 v33, 29, v35
	v_and_b32_e32 v32, 7, v32
	v_cmp_gt_u32_e32 vcc, 8, v13
	v_cndmask_b32_e32 v13, v34, v33, vcc
	v_cndmask_b32_e32 v23, v23, v32, vcc
	v_lshlrev_b32_e32 v12, 24, v12
	v_lshlrev_b32_e32 v23, 20, v23
	v_and_b32_e32 v12, 0x80000000, v12
	v_lshl_add_u32 v13, v13, 23, v0
	v_or3_b32 v23, v12, v13, v23
.LBB2_2850:                             ;   in Loop: Header=BB2_2678 Depth=3
	s_or_b64 exec, exec, s[36:37]
.LBB2_2851:                             ;   in Loop: Header=BB2_2678 Depth=3
	s_or_b64 exec, exec, s[34:35]
.LBB2_2852:                             ;   in Loop: Header=BB2_2678 Depth=3
	s_or_b64 exec, exec, s[30:31]
	v_cmp_lt_u64_e32 vcc, s[44:45], v[8:9]
	s_and_saveexec_b64 s[30:31], vcc
	s_cbranch_execz .LBB2_2858
; %bb.2853:                             ;   in Loop: Header=BB2_2678 Depth=3
	v_lshrrev_b32_e32 v8, 24, v9
	v_cmp_ne_u32_e32 vcc, s91, v8
	v_bfrev_b32_e32 v1, 1
	s_and_saveexec_b64 s[34:35], vcc
	s_cbranch_execz .LBB2_2857
; %bb.2854:                             ;   in Loop: Header=BB2_2678 Depth=3
	v_bfe_u32 v9, v9, 24, 7
	v_cmp_ne_u32_e32 vcc, s92, v9
	v_mov_b32_e32 v1, 0x7f800001
	s_and_saveexec_b64 s[36:37], vcc
	s_cbranch_execz .LBB2_2856
; %bb.2855:                             ;   in Loop: Header=BB2_2678 Depth=3
	v_and_b32_e32 v1, 7, v8
	v_ffbh_u32_e32 v12, v1
	v_min_u32_e32 v33, 32, v12
	v_subrev_u32_e32 v12, 28, v33
	v_lshlrev_b64 v[12:13], v12, v[8:9]
	v_lshrrev_b32_e32 v32, 3, v9
	v_sub_u32_e32 v13, 29, v33
	v_and_b32_e32 v12, 7, v12
	v_cmp_gt_u32_e32 vcc, 8, v9
	v_cndmask_b32_e32 v9, v32, v13, vcc
	v_cndmask_b32_e32 v1, v1, v12, vcc
	v_lshlrev_b32_e32 v8, 24, v8
	v_lshlrev_b32_e32 v1, 20, v1
	v_and_b32_e32 v8, 0x80000000, v8
	v_lshl_add_u32 v9, v9, 23, v0
	v_or3_b32 v1, v8, v9, v1
.LBB2_2856:                             ;   in Loop: Header=BB2_2678 Depth=3
	s_or_b64 exec, exec, s[36:37]
.LBB2_2857:                             ;   in Loop: Header=BB2_2678 Depth=3
	s_or_b64 exec, exec, s[34:35]
.LBB2_2858:                             ;   in Loop: Header=BB2_2678 Depth=3
	s_or_b64 exec, exec, s[30:31]
	v_add_f32_e32 v8, v23, v1
	v_and_b32_sdwa v1, v8, s91 dst_sel:DWORD dst_unused:UNUSED_PAD src0_sel:BYTE_3 src1_sel:DWORD
	v_and_b32_e32 v32, 0x7f800000, v8
	v_mov_b32_e32 v33, v61
	v_and_b32_e32 v60, 0x7fffff, v8
	v_or_b32_e32 v13, 0x7e, v1
	v_cmp_ne_u64_e32 vcc, s[54:55], v[32:33]
	s_and_saveexec_b64 s[30:31], vcc
	s_xor_b64 s[34:35], exec, s[30:31]
	s_cbranch_execz .LBB2_2868
; %bb.2859:                             ;   in Loop: Header=BB2_2678 Depth=3
	v_and_b32_e32 v32, 0x7fffffff, v8
	v_mov_b32_e32 v33, v61
	v_cmp_gt_u64_e32 vcc, s[56:57], v[32:33]
	s_and_saveexec_b64 s[36:37], vcc
	s_cbranch_execz .LBB2_2867
; %bb.2860:                             ;   in Loop: Header=BB2_2678 Depth=3
	v_cmp_ne_u32_e32 vcc, 0, v8
	v_mov_b32_e32 v13, 0
	s_and_saveexec_b64 s[72:73], vcc
	s_cbranch_execz .LBB2_2866
; %bb.2861:                             ;   in Loop: Header=BB2_2678 Depth=3
	v_bfe_u32 v8, v8, 23, 8
	v_sub_u32_e32 v12, 0x79, v8
	v_cmp_gt_u32_e32 vcc, s93, v8
	v_add_u32_e32 v9, 0xffffff81, v8
	v_cndmask_b32_e32 v12, 0, v12, vcc
	v_cmp_eq_u32_e32 vcc, 0, v8
	v_mov_b32_e32 v8, 0xffffff82
	v_cndmask_b32_e32 v23, v9, v8, vcc
	v_mov_b32_e32 v8, 0x78
	v_or_b32_e32 v13, 0x800000, v60
	v_cndmask_b32_e32 v12, v12, v8, vcc
	v_cndmask_b32_e32 v60, v13, v60, vcc
	v_add_u32_e32 v8, 20, v12
	v_lshlrev_b64 v[8:9], v8, -1
	v_add_u32_e32 v13, 19, v12
	v_lshrrev_b64 v[34:35], v12, v[60:61]
	v_not_b32_e32 v9, v9
	v_not_b32_e32 v8, v8
	v_lshlrev_b64 v[32:33], v13, 1
	v_lshrrev_b32_e32 v13, 23, v34
	v_and_b32_e32 v9, 0, v9
	v_and_b32_e32 v8, v60, v8
	v_add3_u32 v23, v12, v23, v13
	v_bfe_u32 v12, v34, 20, 1
	v_add_u32_e32 v12, -1, v12
	v_cmp_eq_u64_e32 vcc, v[8:9], v[32:33]
	v_cndmask_b32_e32 v8, 0, v12, vcc
	v_add_u32_e32 v8, v8, v34
	v_and_b32_e32 v8, 0xfffff, v8
	v_add_co_u32_e32 v8, vcc, v8, v34
	v_add_u32_e32 v13, 6, v23
	v_addc_co_u32_e32 v9, vcc, 0, v35, vcc
	v_cmp_ne_u32_e32 vcc, 0, v13
                                        ; implicit-def: $vgpr12
	s_and_saveexec_b64 s[30:31], vcc
	s_xor_b64 s[30:31], exec, s[30:31]
; %bb.2862:                             ;   in Loop: Header=BB2_2678 Depth=3
	v_add_u32_e32 v12, 7, v23
	v_cmp_lt_u64_e32 vcc, s[58:59], v[8:9]
	v_cndmask_b32_e32 v12, v13, v12, vcc
	v_cndmask_b32_e64 v13, 0, 1, vcc
	v_lshrrev_b64 v[8:9], v13, v[8:9]
; %bb.2863:                             ;   in Loop: Header=BB2_2678 Depth=3
	s_andn2_saveexec_b64 vcc, s[30:31]
; %bb.2864:                             ;   in Loop: Header=BB2_2678 Depth=3
	v_bfe_u32 v12, v8, 23, 1
; %bb.2865:                             ;   in Loop: Header=BB2_2678 Depth=3
	s_or_b64 exec, exec, vcc
	v_lshrrev_b64 v[8:9], 20, v[8:9]
	v_cmp_gt_i32_e32 vcc, 16, v12
	v_cndmask_b32_e32 v9, 0, v9, vcc
	v_cndmask_b32_e32 v8, 7, v8, vcc
	v_cmp_eq_u64_e64 s[30:31], 0, v[8:9]
	v_min_i32_e32 v9, 15, v12
	v_lshlrev_b32_e32 v9, 3, v9
	v_cmp_eq_u32_e32 vcc, 0, v12
	v_and_b32_e32 v9, 0xf8, v9
	v_and_or_b32 v8, v8, 7, v9
	s_and_b64 vcc, vcc, s[30:31]
	v_cndmask_b32_e64 v8, v8, 0, vcc
	v_or_b32_e32 v13, v8, v1
.LBB2_2866:                             ;   in Loop: Header=BB2_2678 Depth=3
	s_or_b64 exec, exec, s[72:73]
.LBB2_2867:                             ;   in Loop: Header=BB2_2678 Depth=3
	s_or_b64 exec, exec, s[36:37]
                                        ; implicit-def: $vgpr8
.LBB2_2868:                             ;   in Loop: Header=BB2_2678 Depth=3
	s_andn2_saveexec_b64 s[30:31], s[34:35]
; %bb.2869:                             ;   in Loop: Header=BB2_2678 Depth=3
	v_or_b32_sdwa v1, v8, s92 dst_sel:DWORD dst_unused:UNUSED_PAD src0_sel:BYTE_3 src1_sel:DWORD
	v_cmp_eq_u64_e32 vcc, 0, v[60:61]
	v_cndmask_b32_e32 v13, v1, v13, vcc
; %bb.2870:                             ;   in Loop: Header=BB2_2678 Depth=3
	s_or_b64 exec, exec, s[30:31]
	v_cmp_ne_u16_sdwa vcc, v14, v61 src0_sel:BYTE_0 src1_sel:DWORD
	v_mov_b32_e32 v1, 0
	v_mov_b32_e32 v8, 0
	s_and_saveexec_b64 s[30:31], vcc
	s_cbranch_execz .LBB2_2876
; %bb.2871:                             ;   in Loop: Header=BB2_2678 Depth=3
	v_cmp_ne_u16_sdwa vcc, v14, s91 src0_sel:BYTE_0 src1_sel:DWORD
	v_bfrev_b32_e32 v8, 1
	s_and_saveexec_b64 s[34:35], vcc
	s_cbranch_execz .LBB2_2875
; %bb.2872:                             ;   in Loop: Header=BB2_2678 Depth=3
	v_and_b32_e32 v9, 0x7f, v14
	v_cmp_ne_u32_e32 vcc, s92, v9
	v_mov_b32_e32 v8, 0x7f800001
	s_and_saveexec_b64 s[36:37], vcc
	s_cbranch_execz .LBB2_2874
; %bb.2873:                             ;   in Loop: Header=BB2_2678 Depth=3
	v_and_b32_e32 v8, 7, v14
	v_ffbh_u32_e32 v8, v8
	v_min_u32_e32 v8, 32, v8
	v_lshrrev_b32_e32 v12, 3, v9
	v_subrev_u32_e32 v23, 28, v8
	v_sub_u32_e32 v8, 29, v8
	v_cmp_gt_u32_e32 vcc, 8, v9
	v_cndmask_b32_e32 v12, v12, v8, vcc
	v_cndmask_b32_e32 v8, 0, v23, vcc
	v_lshlrev_b64 v[8:9], v8, v[14:15]
	v_lshlrev_b32_e32 v8, 20, v8
	v_lshlrev_b32_e32 v9, 24, v14
	v_and_b32_e32 v8, 0x700000, v8
	v_and_b32_e32 v9, 0x80000000, v9
	v_lshl_add_u32 v12, v12, 23, v0
	v_or3_b32 v8, v9, v12, v8
.LBB2_2874:                             ;   in Loop: Header=BB2_2678 Depth=3
	s_or_b64 exec, exec, s[36:37]
.LBB2_2875:                             ;   in Loop: Header=BB2_2678 Depth=3
	s_or_b64 exec, exec, s[34:35]
.LBB2_2876:                             ;   in Loop: Header=BB2_2678 Depth=3
	s_or_b64 exec, exec, s[30:31]
	v_cmp_ne_u16_sdwa vcc, v10, v61 src0_sel:BYTE_0 src1_sel:DWORD
	s_and_saveexec_b64 s[30:31], vcc
	s_cbranch_execz .LBB2_2882
; %bb.2877:                             ;   in Loop: Header=BB2_2678 Depth=3
	v_cmp_ne_u16_sdwa vcc, v10, s91 src0_sel:BYTE_0 src1_sel:DWORD
	v_bfrev_b32_e32 v1, 1
	s_and_saveexec_b64 s[34:35], vcc
	s_cbranch_execz .LBB2_2881
; %bb.2878:                             ;   in Loop: Header=BB2_2678 Depth=3
	v_and_b32_e32 v9, 0x7f, v10
	v_cmp_ne_u32_e32 vcc, s92, v9
	v_mov_b32_e32 v1, 0x7f800001
	s_and_saveexec_b64 s[36:37], vcc
	s_cbranch_execz .LBB2_2880
; %bb.2879:                             ;   in Loop: Header=BB2_2678 Depth=3
	v_and_b32_e32 v1, 7, v10
	v_ffbh_u32_e32 v1, v1
	v_min_u32_e32 v1, 32, v1
	v_subrev_u32_e32 v23, 28, v1
	v_cmp_gt_u32_e32 vcc, 8, v9
	v_lshrrev_b32_e32 v12, 3, v9
	v_cndmask_b32_e32 v9, 0, v23, vcc
	v_sub_u32_e32 v1, 29, v1
	v_lshlrev_b64 v[32:33], v9, v[10:11]
	v_cndmask_b32_e32 v1, v12, v1, vcc
	v_lshlrev_b32_e32 v9, 20, v32
	v_lshlrev_b32_e32 v12, 24, v10
	v_and_b32_e32 v9, 0x700000, v9
	v_and_b32_e32 v12, 0x80000000, v12
	v_lshl_add_u32 v1, v1, 23, v0
	v_or3_b32 v1, v12, v1, v9
.LBB2_2880:                             ;   in Loop: Header=BB2_2678 Depth=3
	s_or_b64 exec, exec, s[36:37]
.LBB2_2881:                             ;   in Loop: Header=BB2_2678 Depth=3
	s_or_b64 exec, exec, s[34:35]
.LBB2_2882:                             ;   in Loop: Header=BB2_2678 Depth=3
	s_or_b64 exec, exec, s[30:31]
	v_add_f32_e32 v8, v8, v1
	v_and_b32_sdwa v1, v8, s91 dst_sel:DWORD dst_unused:UNUSED_PAD src0_sel:BYTE_3 src1_sel:DWORD
	v_and_b32_e32 v32, 0x7f800000, v8
	v_mov_b32_e32 v33, v61
	v_and_b32_e32 v60, 0x7fffff, v8
	v_or_b32_e32 v23, 0x7e, v1
	v_cmp_ne_u64_e32 vcc, s[54:55], v[32:33]
	s_and_saveexec_b64 s[30:31], vcc
	s_xor_b64 s[34:35], exec, s[30:31]
	s_cbranch_execz .LBB2_2892
; %bb.2883:                             ;   in Loop: Header=BB2_2678 Depth=3
	v_and_b32_e32 v32, 0x7fffffff, v8
	v_mov_b32_e32 v33, v61
	v_cmp_gt_u64_e32 vcc, s[56:57], v[32:33]
	s_and_saveexec_b64 s[36:37], vcc
	s_cbranch_execz .LBB2_2891
; %bb.2884:                             ;   in Loop: Header=BB2_2678 Depth=3
	v_cmp_ne_u32_e32 vcc, 0, v8
	v_mov_b32_e32 v23, 0
	s_and_saveexec_b64 s[72:73], vcc
	s_cbranch_execz .LBB2_2890
; %bb.2885:                             ;   in Loop: Header=BB2_2678 Depth=3
	v_bfe_u32 v8, v8, 23, 8
	v_sub_u32_e32 v12, 0x79, v8
	v_cmp_gt_u32_e32 vcc, s93, v8
	v_add_u32_e32 v9, 0xffffff81, v8
	v_cndmask_b32_e32 v12, 0, v12, vcc
	v_cmp_eq_u32_e32 vcc, 0, v8
	v_mov_b32_e32 v8, 0xffffff82
	v_cndmask_b32_e32 v36, v9, v8, vcc
	v_mov_b32_e32 v8, 0x78
	v_or_b32_e32 v23, 0x800000, v60
	v_cndmask_b32_e32 v12, v12, v8, vcc
	v_cndmask_b32_e32 v60, v23, v60, vcc
	v_add_u32_e32 v8, 20, v12
	v_lshlrev_b64 v[8:9], v8, -1
	v_add_u32_e32 v23, 19, v12
	v_lshrrev_b64 v[34:35], v12, v[60:61]
	v_not_b32_e32 v9, v9
	v_not_b32_e32 v8, v8
	v_lshlrev_b64 v[32:33], v23, 1
	v_lshrrev_b32_e32 v23, 23, v34
	v_and_b32_e32 v9, 0, v9
	v_and_b32_e32 v8, v60, v8
	v_add3_u32 v36, v12, v36, v23
	v_bfe_u32 v12, v34, 20, 1
	v_add_u32_e32 v12, -1, v12
	v_cmp_eq_u64_e32 vcc, v[8:9], v[32:33]
	v_cndmask_b32_e32 v8, 0, v12, vcc
	v_add_u32_e32 v8, v8, v34
	v_and_b32_e32 v8, 0xfffff, v8
	v_add_co_u32_e32 v8, vcc, v8, v34
	v_add_u32_e32 v23, 6, v36
	v_addc_co_u32_e32 v9, vcc, 0, v35, vcc
	v_cmp_ne_u32_e32 vcc, 0, v23
                                        ; implicit-def: $vgpr12
	s_and_saveexec_b64 s[30:31], vcc
	s_xor_b64 s[30:31], exec, s[30:31]
; %bb.2886:                             ;   in Loop: Header=BB2_2678 Depth=3
	v_add_u32_e32 v12, 7, v36
	v_cmp_lt_u64_e32 vcc, s[58:59], v[8:9]
	v_cndmask_b32_e32 v12, v23, v12, vcc
	v_cndmask_b32_e64 v23, 0, 1, vcc
	v_lshrrev_b64 v[8:9], v23, v[8:9]
; %bb.2887:                             ;   in Loop: Header=BB2_2678 Depth=3
	s_andn2_saveexec_b64 vcc, s[30:31]
; %bb.2888:                             ;   in Loop: Header=BB2_2678 Depth=3
	v_bfe_u32 v12, v8, 23, 1
; %bb.2889:                             ;   in Loop: Header=BB2_2678 Depth=3
	s_or_b64 exec, exec, vcc
	v_lshrrev_b64 v[8:9], 20, v[8:9]
	v_cmp_gt_i32_e32 vcc, 16, v12
	v_cndmask_b32_e32 v9, 0, v9, vcc
	v_cndmask_b32_e32 v8, 7, v8, vcc
	v_cmp_eq_u64_e64 s[30:31], 0, v[8:9]
	v_min_i32_e32 v9, 15, v12
	v_cmp_eq_u32_e32 vcc, 0, v12
	v_lshlrev_b32_e32 v9, 3, v9
	v_and_or_b32 v8, v8, 7, v9
	s_and_b64 vcc, vcc, s[30:31]
	v_cndmask_b32_e64 v8, v8, 0, vcc
	v_or_b32_e32 v23, v8, v1
.LBB2_2890:                             ;   in Loop: Header=BB2_2678 Depth=3
	s_or_b64 exec, exec, s[72:73]
.LBB2_2891:                             ;   in Loop: Header=BB2_2678 Depth=3
	s_or_b64 exec, exec, s[36:37]
                                        ; implicit-def: $vgpr8
.LBB2_2892:                             ;   in Loop: Header=BB2_2678 Depth=3
	s_andn2_saveexec_b64 s[30:31], s[34:35]
; %bb.2893:                             ;   in Loop: Header=BB2_2678 Depth=3
	v_or_b32_sdwa v1, v8, s92 dst_sel:DWORD dst_unused:UNUSED_PAD src0_sel:BYTE_3 src1_sel:DWORD
	v_cmp_eq_u64_e32 vcc, 0, v[60:61]
	v_cndmask_b32_e32 v23, v1, v23, vcc
; %bb.2894:                             ;   in Loop: Header=BB2_2678 Depth=3
	s_or_b64 exec, exec, s[30:31]
	v_lshrrev_b16_e32 v8, 8, v14
	v_cmp_ne_u16_e32 vcc, 0, v8
	v_mov_b32_e32 v1, 0
	v_mov_b32_e32 v9, 0
	s_and_saveexec_b64 s[30:31], vcc
	s_cbranch_execz .LBB2_2900
; %bb.2895:                             ;   in Loop: Header=BB2_2678 Depth=3
	v_cmp_ne_u16_e32 vcc, s91, v8
	v_bfrev_b32_e32 v9, 1
	s_and_saveexec_b64 s[34:35], vcc
	s_cbranch_execz .LBB2_2899
; %bb.2896:                             ;   in Loop: Header=BB2_2678 Depth=3
	v_and_b32_e32 v12, 0x7f, v8
	v_cmp_ne_u32_e32 vcc, s92, v12
	v_mov_b32_e32 v9, 0x7f800001
	s_and_saveexec_b64 s[36:37], vcc
	s_cbranch_execz .LBB2_2898
; %bb.2897:                             ;   in Loop: Header=BB2_2678 Depth=3
	v_and_b32_e32 v32, 7, v8
	v_ffbh_u32_e32 v9, v32
	v_min_u32_e32 v34, 32, v9
	v_subrev_u32_e32 v9, 28, v34
	v_lshlrev_b64 v[8:9], v9, v[8:9]
	v_lshrrev_b32_e32 v33, 3, v12
	v_sub_u32_e32 v9, 29, v34
	v_and_b32_e32 v8, 7, v8
	v_cmp_gt_u32_e32 vcc, 8, v12
	v_cndmask_b32_e32 v9, v33, v9, vcc
	v_cndmask_b32_e32 v8, v32, v8, vcc
	v_lshlrev_b32_e32 v12, 16, v14
	v_lshlrev_b32_e32 v8, 20, v8
	v_and_b32_e32 v12, 0x80000000, v12
	v_lshl_add_u32 v9, v9, 23, v0
	v_or3_b32 v9, v12, v9, v8
.LBB2_2898:                             ;   in Loop: Header=BB2_2678 Depth=3
	s_or_b64 exec, exec, s[36:37]
.LBB2_2899:                             ;   in Loop: Header=BB2_2678 Depth=3
	s_or_b64 exec, exec, s[34:35]
.LBB2_2900:                             ;   in Loop: Header=BB2_2678 Depth=3
	s_or_b64 exec, exec, s[30:31]
	v_lshrrev_b16_e32 v8, 8, v10
	v_cmp_ne_u16_e32 vcc, 0, v8
	s_and_saveexec_b64 s[30:31], vcc
	s_cbranch_execz .LBB2_2906
; %bb.2901:                             ;   in Loop: Header=BB2_2678 Depth=3
	v_cmp_ne_u16_e32 vcc, s91, v8
	v_bfrev_b32_e32 v1, 1
	s_and_saveexec_b64 s[34:35], vcc
	s_cbranch_execz .LBB2_2905
; %bb.2902:                             ;   in Loop: Header=BB2_2678 Depth=3
	v_and_b32_e32 v12, 0x7f, v8
	v_cmp_ne_u32_e32 vcc, s92, v12
	v_mov_b32_e32 v1, 0x7f800001
	s_and_saveexec_b64 s[36:37], vcc
	s_cbranch_execz .LBB2_2904
; %bb.2903:                             ;   in Loop: Header=BB2_2678 Depth=3
	v_and_b32_e32 v1, 7, v8
	v_ffbh_u32_e32 v32, v1
	v_min_u32_e32 v35, 32, v32
	v_subrev_u32_e32 v32, 28, v35
	v_lshlrev_b64 v[32:33], v32, v[8:9]
	v_lshrrev_b32_e32 v34, 3, v12
	v_sub_u32_e32 v8, 29, v35
	v_and_b32_e32 v32, 7, v32
	v_cmp_gt_u32_e32 vcc, 8, v12
	v_cndmask_b32_e32 v8, v34, v8, vcc
	v_cndmask_b32_e32 v1, v1, v32, vcc
	v_lshlrev_b32_e32 v12, 16, v10
	v_lshlrev_b32_e32 v1, 20, v1
	v_and_b32_e32 v12, 0x80000000, v12
	v_lshl_add_u32 v8, v8, 23, v0
	v_or3_b32 v1, v12, v8, v1
.LBB2_2904:                             ;   in Loop: Header=BB2_2678 Depth=3
	s_or_b64 exec, exec, s[36:37]
.LBB2_2905:                             ;   in Loop: Header=BB2_2678 Depth=3
	s_or_b64 exec, exec, s[34:35]
.LBB2_2906:                             ;   in Loop: Header=BB2_2678 Depth=3
	s_or_b64 exec, exec, s[30:31]
	v_add_f32_e32 v8, v9, v1
	v_and_b32_sdwa v12, v8, s91 dst_sel:DWORD dst_unused:UNUSED_PAD src0_sel:BYTE_3 src1_sel:DWORD
	v_and_b32_e32 v32, 0x7f800000, v8
	v_mov_b32_e32 v33, v61
	v_and_b32_e32 v60, 0x7fffff, v8
	v_or_b32_e32 v1, 0x7e, v12
	v_cmp_ne_u64_e32 vcc, s[54:55], v[32:33]
	s_and_saveexec_b64 s[30:31], vcc
	s_xor_b64 s[34:35], exec, s[30:31]
	s_cbranch_execz .LBB2_2916
; %bb.2907:                             ;   in Loop: Header=BB2_2678 Depth=3
	v_and_b32_e32 v32, 0x7fffffff, v8
	v_mov_b32_e32 v33, v61
	v_cmp_gt_u64_e32 vcc, s[56:57], v[32:33]
	s_and_saveexec_b64 s[36:37], vcc
	s_cbranch_execz .LBB2_2915
; %bb.2908:                             ;   in Loop: Header=BB2_2678 Depth=3
	v_cmp_ne_u32_e32 vcc, 0, v8
	v_mov_b32_e32 v1, 0
	s_and_saveexec_b64 s[72:73], vcc
	s_cbranch_execz .LBB2_2914
; %bb.2909:                             ;   in Loop: Header=BB2_2678 Depth=3
	v_bfe_u32 v1, v8, 23, 8
	v_sub_u32_e32 v9, 0x79, v1
	v_cmp_gt_u32_e32 vcc, s93, v1
	v_add_u32_e32 v8, 0xffffff81, v1
	v_cndmask_b32_e32 v9, 0, v9, vcc
	v_cmp_eq_u32_e32 vcc, 0, v1
	v_mov_b32_e32 v1, 0xffffff82
	v_cndmask_b32_e32 v1, v8, v1, vcc
	v_mov_b32_e32 v8, 0x78
	v_or_b32_e32 v32, 0x800000, v60
	v_cndmask_b32_e32 v36, v9, v8, vcc
	v_cndmask_b32_e32 v60, v32, v60, vcc
	v_add_u32_e32 v8, 20, v36
	v_lshlrev_b64 v[8:9], v8, -1
	v_lshrrev_b64 v[34:35], v36, v[60:61]
	v_not_b32_e32 v9, v9
	v_not_b32_e32 v8, v8
	v_add_u32_e32 v32, 19, v36
	v_lshrrev_b32_e32 v37, 23, v34
	v_and_b32_e32 v9, 0, v9
	v_and_b32_e32 v8, v60, v8
	v_lshlrev_b64 v[32:33], v32, 1
	v_add3_u32 v37, v36, v1, v37
	v_bfe_u32 v1, v34, 20, 1
	v_add_u32_e32 v1, -1, v1
	v_cmp_eq_u64_e32 vcc, v[8:9], v[32:33]
	v_cndmask_b32_e32 v1, 0, v1, vcc
	v_add_u32_e32 v1, v1, v34
	v_and_b32_e32 v1, 0xfffff, v1
	v_add_co_u32_e32 v8, vcc, v1, v34
	v_add_u32_e32 v36, 6, v37
	v_addc_co_u32_e32 v9, vcc, 0, v35, vcc
	v_cmp_ne_u32_e32 vcc, 0, v36
                                        ; implicit-def: $vgpr1
	s_and_saveexec_b64 s[30:31], vcc
	s_xor_b64 s[30:31], exec, s[30:31]
; %bb.2910:                             ;   in Loop: Header=BB2_2678 Depth=3
	v_cmp_lt_u64_e32 vcc, s[58:59], v[8:9]
	v_add_u32_e32 v1, 7, v37
	v_cndmask_b32_e64 v32, 0, 1, vcc
	v_cndmask_b32_e32 v1, v36, v1, vcc
	v_lshrrev_b64 v[8:9], v32, v[8:9]
; %bb.2911:                             ;   in Loop: Header=BB2_2678 Depth=3
	s_andn2_saveexec_b64 vcc, s[30:31]
; %bb.2912:                             ;   in Loop: Header=BB2_2678 Depth=3
	v_bfe_u32 v1, v8, 23, 1
; %bb.2913:                             ;   in Loop: Header=BB2_2678 Depth=3
	s_or_b64 exec, exec, vcc
	v_lshrrev_b64 v[8:9], 20, v[8:9]
	v_cmp_gt_i32_e32 vcc, 16, v1
	v_cndmask_b32_e32 v9, 0, v9, vcc
	v_cndmask_b32_e32 v8, 7, v8, vcc
	v_cmp_eq_u32_e32 vcc, 0, v1
	v_min_i32_e32 v1, 15, v1
	v_cmp_eq_u64_e64 s[30:31], 0, v[8:9]
	v_lshlrev_b32_e32 v1, 3, v1
	v_and_or_b32 v1, v8, 7, v1
	s_and_b64 vcc, vcc, s[30:31]
	v_cndmask_b32_e64 v1, v1, 0, vcc
	v_or_b32_e32 v1, v1, v12
.LBB2_2914:                             ;   in Loop: Header=BB2_2678 Depth=3
	s_or_b64 exec, exec, s[72:73]
.LBB2_2915:                             ;   in Loop: Header=BB2_2678 Depth=3
	s_or_b64 exec, exec, s[36:37]
                                        ; implicit-def: $vgpr8
.LBB2_2916:                             ;   in Loop: Header=BB2_2678 Depth=3
	s_andn2_saveexec_b64 s[30:31], s[34:35]
; %bb.2917:                             ;   in Loop: Header=BB2_2678 Depth=3
	v_or_b32_sdwa v8, v8, s92 dst_sel:DWORD dst_unused:UNUSED_PAD src0_sel:BYTE_3 src1_sel:DWORD
	v_cmp_eq_u64_e32 vcc, 0, v[60:61]
	v_cndmask_b32_e32 v1, v8, v1, vcc
; %bb.2918:                             ;   in Loop: Header=BB2_2678 Depth=3
	s_or_b64 exec, exec, s[30:31]
	v_lshrrev_b32_e32 v8, 16, v14
	v_cmp_ne_u16_sdwa vcc, v8, v61 src0_sel:BYTE_0 src1_sel:DWORD
	v_mov_b32_e32 v9, 0
	v_mov_b32_e32 v12, 0
	s_and_saveexec_b64 s[30:31], vcc
	s_cbranch_execz .LBB2_2924
; %bb.2919:                             ;   in Loop: Header=BB2_2678 Depth=3
	v_cmp_ne_u16_sdwa vcc, v8, s91 src0_sel:BYTE_0 src1_sel:DWORD
	v_bfrev_b32_e32 v12, 1
	s_and_saveexec_b64 s[34:35], vcc
	s_cbranch_execz .LBB2_2923
; %bb.2920:                             ;   in Loop: Header=BB2_2678 Depth=3
	v_bfe_u32 v36, v14, 16, 7
	v_cmp_ne_u32_e32 vcc, s92, v36
	v_mov_b32_e32 v12, 0x7f800001
	s_and_saveexec_b64 s[36:37], vcc
	s_cbranch_execz .LBB2_2922
; %bb.2921:                             ;   in Loop: Header=BB2_2678 Depth=3
	v_and_b32_e32 v12, 7, v8
	v_ffbh_u32_e32 v32, v12
	v_min_u32_e32 v35, 32, v32
	v_subrev_u32_e32 v32, 28, v35
	v_lshlrev_b64 v[32:33], v32, v[8:9]
	v_lshrrev_b32_e32 v34, 3, v36
	v_sub_u32_e32 v33, 29, v35
	v_and_b32_e32 v32, 7, v32
	v_cmp_gt_u32_e32 vcc, 8, v36
	v_cndmask_b32_e32 v33, v34, v33, vcc
	v_cndmask_b32_e32 v12, v12, v32, vcc
	v_lshlrev_b32_e32 v8, 24, v8
	v_lshlrev_b32_e32 v12, 20, v12
	v_and_b32_e32 v8, 0x80000000, v8
	v_lshl_add_u32 v32, v33, 23, v0
	v_or3_b32 v12, v8, v32, v12
.LBB2_2922:                             ;   in Loop: Header=BB2_2678 Depth=3
	s_or_b64 exec, exec, s[36:37]
.LBB2_2923:                             ;   in Loop: Header=BB2_2678 Depth=3
	s_or_b64 exec, exec, s[34:35]
.LBB2_2924:                             ;   in Loop: Header=BB2_2678 Depth=3
	s_or_b64 exec, exec, s[30:31]
	v_lshrrev_b32_e32 v8, 16, v10
	v_cmp_ne_u16_sdwa vcc, v8, v61 src0_sel:BYTE_0 src1_sel:DWORD
	s_and_saveexec_b64 s[30:31], vcc
	s_cbranch_execz .LBB2_2930
; %bb.2925:                             ;   in Loop: Header=BB2_2678 Depth=3
	v_cmp_ne_u16_sdwa vcc, v8, s91 src0_sel:BYTE_0 src1_sel:DWORD
	v_bfrev_b32_e32 v9, 1
	s_and_saveexec_b64 s[34:35], vcc
	s_cbranch_execz .LBB2_2929
; %bb.2926:                             ;   in Loop: Header=BB2_2678 Depth=3
	v_bfe_u32 v36, v10, 16, 7
	v_cmp_ne_u32_e32 vcc, s92, v36
	v_mov_b32_e32 v9, 0x7f800001
	s_and_saveexec_b64 s[36:37], vcc
	s_cbranch_execz .LBB2_2928
; %bb.2927:                             ;   in Loop: Header=BB2_2678 Depth=3
	v_and_b32_e32 v32, 7, v8
	v_ffbh_u32_e32 v9, v32
	v_min_u32_e32 v34, 32, v9
	v_subrev_u32_e32 v9, 28, v34
	v_lshlrev_b64 v[8:9], v9, v[8:9]
	v_lshrrev_b32_e32 v33, 3, v36
	v_sub_u32_e32 v9, 29, v34
	v_and_b32_e32 v8, 7, v8
	v_cmp_gt_u32_e32 vcc, 8, v36
	v_cndmask_b32_e32 v9, v33, v9, vcc
	v_cndmask_b32_e32 v8, v32, v8, vcc
	v_lshlrev_b32_e32 v32, 8, v10
	v_lshlrev_b32_e32 v8, 20, v8
	v_and_b32_e32 v32, 0x80000000, v32
	v_lshl_add_u32 v9, v9, 23, v0
	v_or3_b32 v9, v32, v9, v8
.LBB2_2928:                             ;   in Loop: Header=BB2_2678 Depth=3
	s_or_b64 exec, exec, s[36:37]
.LBB2_2929:                             ;   in Loop: Header=BB2_2678 Depth=3
	s_or_b64 exec, exec, s[34:35]
.LBB2_2930:                             ;   in Loop: Header=BB2_2678 Depth=3
	s_or_b64 exec, exec, s[30:31]
	v_add_f32_e32 v8, v12, v9
	v_and_b32_sdwa v12, v8, s91 dst_sel:DWORD dst_unused:UNUSED_PAD src0_sel:BYTE_3 src1_sel:DWORD
	v_and_b32_e32 v32, 0x7f800000, v8
	v_mov_b32_e32 v33, v61
	v_and_b32_e32 v60, 0x7fffff, v8
	v_or_b32_e32 v36, 0x7e, v12
	v_cmp_ne_u64_e32 vcc, s[54:55], v[32:33]
	s_and_saveexec_b64 s[30:31], vcc
	s_xor_b64 s[34:35], exec, s[30:31]
	s_cbranch_execz .LBB2_2940
; %bb.2931:                             ;   in Loop: Header=BB2_2678 Depth=3
	v_and_b32_e32 v32, 0x7fffffff, v8
	v_mov_b32_e32 v33, v61
	v_cmp_gt_u64_e32 vcc, s[56:57], v[32:33]
	s_and_saveexec_b64 s[36:37], vcc
	s_cbranch_execz .LBB2_2939
; %bb.2932:                             ;   in Loop: Header=BB2_2678 Depth=3
	v_cmp_ne_u32_e32 vcc, 0, v8
	v_mov_b32_e32 v36, 0
	s_and_saveexec_b64 s[72:73], vcc
	s_cbranch_execz .LBB2_2938
; %bb.2933:                             ;   in Loop: Header=BB2_2678 Depth=3
	v_bfe_u32 v8, v8, 23, 8
	v_sub_u32_e32 v32, 0x79, v8
	v_cmp_gt_u32_e32 vcc, s93, v8
	v_add_u32_e32 v9, 0xffffff81, v8
	v_cndmask_b32_e32 v32, 0, v32, vcc
	v_cmp_eq_u32_e32 vcc, 0, v8
	v_mov_b32_e32 v8, 0xffffff82
	v_cndmask_b32_e32 v36, v9, v8, vcc
	v_mov_b32_e32 v8, 0x78
	v_or_b32_e32 v33, 0x800000, v60
	v_cndmask_b32_e32 v37, v32, v8, vcc
	v_cndmask_b32_e32 v60, v33, v60, vcc
	v_add_u32_e32 v8, 20, v37
	v_lshlrev_b64 v[8:9], v8, -1
	v_lshrrev_b64 v[34:35], v37, v[60:61]
	v_not_b32_e32 v9, v9
	v_not_b32_e32 v8, v8
	v_add_u32_e32 v32, 19, v37
	v_lshrrev_b32_e32 v38, 23, v34
	v_and_b32_e32 v9, 0, v9
	v_and_b32_e32 v8, v60, v8
	v_lshlrev_b64 v[32:33], v32, 1
	v_add3_u32 v38, v37, v36, v38
	v_bfe_u32 v36, v34, 20, 1
	v_add_u32_e32 v36, -1, v36
	v_cmp_eq_u64_e32 vcc, v[8:9], v[32:33]
	v_cndmask_b32_e32 v8, 0, v36, vcc
	v_add_u32_e32 v8, v8, v34
	v_and_b32_e32 v8, 0xfffff, v8
	v_add_co_u32_e32 v8, vcc, v8, v34
	v_add_u32_e32 v37, 6, v38
	v_addc_co_u32_e32 v9, vcc, 0, v35, vcc
	v_cmp_ne_u32_e32 vcc, 0, v37
                                        ; implicit-def: $vgpr36
	s_and_saveexec_b64 s[30:31], vcc
	s_xor_b64 s[30:31], exec, s[30:31]
; %bb.2934:                             ;   in Loop: Header=BB2_2678 Depth=3
	v_add_u32_e32 v32, 7, v38
	v_cmp_lt_u64_e32 vcc, s[58:59], v[8:9]
	v_cndmask_b32_e32 v36, v37, v32, vcc
	v_cndmask_b32_e64 v32, 0, 1, vcc
	v_lshrrev_b64 v[8:9], v32, v[8:9]
; %bb.2935:                             ;   in Loop: Header=BB2_2678 Depth=3
	s_andn2_saveexec_b64 vcc, s[30:31]
; %bb.2936:                             ;   in Loop: Header=BB2_2678 Depth=3
	v_bfe_u32 v36, v8, 23, 1
; %bb.2937:                             ;   in Loop: Header=BB2_2678 Depth=3
	s_or_b64 exec, exec, vcc
	v_lshrrev_b64 v[8:9], 20, v[8:9]
	v_cmp_gt_i32_e32 vcc, 16, v36
	v_cndmask_b32_e32 v9, 0, v9, vcc
	v_cndmask_b32_e32 v8, 7, v8, vcc
	v_cmp_eq_u64_e64 s[30:31], 0, v[8:9]
	v_min_i32_e32 v9, 15, v36
	v_cmp_eq_u32_e32 vcc, 0, v36
	v_lshlrev_b32_e32 v9, 3, v9
	v_and_or_b32 v8, v8, 7, v9
	s_and_b64 vcc, vcc, s[30:31]
	v_cndmask_b32_e64 v8, v8, 0, vcc
	v_or_b32_e32 v36, v8, v12
.LBB2_2938:                             ;   in Loop: Header=BB2_2678 Depth=3
	s_or_b64 exec, exec, s[72:73]
.LBB2_2939:                             ;   in Loop: Header=BB2_2678 Depth=3
	s_or_b64 exec, exec, s[36:37]
                                        ; implicit-def: $vgpr8
.LBB2_2940:                             ;   in Loop: Header=BB2_2678 Depth=3
	s_andn2_saveexec_b64 s[30:31], s[34:35]
; %bb.2941:                             ;   in Loop: Header=BB2_2678 Depth=3
	v_or_b32_sdwa v8, v8, s92 dst_sel:DWORD dst_unused:UNUSED_PAD src0_sel:BYTE_3 src1_sel:DWORD
	v_cmp_eq_u64_e32 vcc, 0, v[60:61]
	v_cndmask_b32_e32 v36, v8, v36, vcc
; %bb.2942:                             ;   in Loop: Header=BB2_2678 Depth=3
	s_or_b64 exec, exec, s[30:31]
	v_cmp_lt_u32_e32 vcc, s45, v14
	v_mov_b32_e32 v9, 0
	v_mov_b32_e32 v12, 0
	s_and_saveexec_b64 s[30:31], vcc
	s_cbranch_execz .LBB2_2948
; %bb.2943:                             ;   in Loop: Header=BB2_2678 Depth=3
	v_lshrrev_b32_e32 v8, 24, v14
	v_cmp_ne_u32_e32 vcc, s91, v8
	v_bfrev_b32_e32 v12, 1
	s_and_saveexec_b64 s[34:35], vcc
	s_cbranch_execz .LBB2_2947
; %bb.2944:                             ;   in Loop: Header=BB2_2678 Depth=3
	v_bfe_u32 v37, v14, 24, 7
	v_cmp_ne_u32_e32 vcc, s92, v37
	v_mov_b32_e32 v12, 0x7f800001
	s_and_saveexec_b64 s[36:37], vcc
	s_cbranch_execz .LBB2_2946
; %bb.2945:                             ;   in Loop: Header=BB2_2678 Depth=3
	v_and_b32_e32 v12, 7, v8
	v_ffbh_u32_e32 v32, v12
	v_min_u32_e32 v35, 32, v32
	v_subrev_u32_e32 v32, 28, v35
	v_lshlrev_b64 v[32:33], v32, v[8:9]
	v_lshrrev_b32_e32 v34, 3, v37
	v_sub_u32_e32 v33, 29, v35
	v_and_b32_e32 v32, 7, v32
	v_cmp_gt_u32_e32 vcc, 8, v37
	v_cndmask_b32_e32 v33, v34, v33, vcc
	v_cndmask_b32_e32 v12, v12, v32, vcc
	v_lshlrev_b32_e32 v8, 24, v8
	v_lshlrev_b32_e32 v12, 20, v12
	v_and_b32_e32 v8, 0x80000000, v8
	v_lshl_add_u32 v32, v33, 23, v0
	v_or3_b32 v12, v8, v32, v12
.LBB2_2946:                             ;   in Loop: Header=BB2_2678 Depth=3
	s_or_b64 exec, exec, s[36:37]
.LBB2_2947:                             ;   in Loop: Header=BB2_2678 Depth=3
	s_or_b64 exec, exec, s[34:35]
.LBB2_2948:                             ;   in Loop: Header=BB2_2678 Depth=3
	s_or_b64 exec, exec, s[30:31]
	v_cmp_lt_u32_e32 vcc, s45, v10
	s_and_saveexec_b64 s[30:31], vcc
	s_cbranch_execz .LBB2_2954
; %bb.2949:                             ;   in Loop: Header=BB2_2678 Depth=3
	v_lshrrev_b32_e32 v8, 24, v10
	v_cmp_ne_u32_e32 vcc, s91, v8
	v_bfrev_b32_e32 v9, 1
	s_and_saveexec_b64 s[34:35], vcc
	s_cbranch_execz .LBB2_2953
; %bb.2950:                             ;   in Loop: Header=BB2_2678 Depth=3
	v_bfe_u32 v37, v10, 24, 7
	v_cmp_ne_u32_e32 vcc, s92, v37
	v_mov_b32_e32 v9, 0x7f800001
	s_and_saveexec_b64 s[36:37], vcc
	s_cbranch_execz .LBB2_2952
; %bb.2951:                             ;   in Loop: Header=BB2_2678 Depth=3
	v_and_b32_e32 v9, 7, v8
	v_ffbh_u32_e32 v32, v9
	v_min_u32_e32 v35, 32, v32
	v_subrev_u32_e32 v32, 28, v35
	v_lshlrev_b64 v[32:33], v32, v[8:9]
	v_lshrrev_b32_e32 v34, 3, v37
	v_sub_u32_e32 v33, 29, v35
	v_and_b32_e32 v32, 7, v32
	v_cmp_gt_u32_e32 vcc, 8, v37
	v_cndmask_b32_e32 v33, v34, v33, vcc
	v_cndmask_b32_e32 v9, v9, v32, vcc
	v_lshlrev_b32_e32 v8, 24, v8
	v_lshlrev_b32_e32 v9, 20, v9
	v_and_b32_e32 v8, 0x80000000, v8
	v_lshl_add_u32 v32, v33, 23, v0
	v_or3_b32 v9, v8, v32, v9
.LBB2_2952:                             ;   in Loop: Header=BB2_2678 Depth=3
	s_or_b64 exec, exec, s[36:37]
.LBB2_2953:                             ;   in Loop: Header=BB2_2678 Depth=3
	s_or_b64 exec, exec, s[34:35]
.LBB2_2954:                             ;   in Loop: Header=BB2_2678 Depth=3
	s_or_b64 exec, exec, s[30:31]
	v_add_f32_e32 v8, v12, v9
	v_and_b32_sdwa v12, v8, s91 dst_sel:DWORD dst_unused:UNUSED_PAD src0_sel:BYTE_3 src1_sel:DWORD
	v_and_b32_e32 v32, 0x7f800000, v8
	v_mov_b32_e32 v33, v61
	v_and_b32_e32 v60, 0x7fffff, v8
	v_or_b32_e32 v37, 0x7e, v12
	v_cmp_ne_u64_e32 vcc, s[54:55], v[32:33]
	s_and_saveexec_b64 s[30:31], vcc
	s_xor_b64 s[34:35], exec, s[30:31]
	s_cbranch_execz .LBB2_2964
; %bb.2955:                             ;   in Loop: Header=BB2_2678 Depth=3
	v_and_b32_e32 v32, 0x7fffffff, v8
	v_mov_b32_e32 v33, v61
	v_cmp_gt_u64_e32 vcc, s[56:57], v[32:33]
	s_and_saveexec_b64 s[36:37], vcc
	s_cbranch_execz .LBB2_2963
; %bb.2956:                             ;   in Loop: Header=BB2_2678 Depth=3
	v_cmp_ne_u32_e32 vcc, 0, v8
	v_mov_b32_e32 v37, 0
	s_and_saveexec_b64 s[72:73], vcc
	s_cbranch_execz .LBB2_2962
; %bb.2957:                             ;   in Loop: Header=BB2_2678 Depth=3
	v_bfe_u32 v8, v8, 23, 8
	v_sub_u32_e32 v32, 0x79, v8
	v_cmp_gt_u32_e32 vcc, s93, v8
	v_add_u32_e32 v9, 0xffffff81, v8
	v_cndmask_b32_e32 v32, 0, v32, vcc
	v_cmp_eq_u32_e32 vcc, 0, v8
	v_mov_b32_e32 v8, 0xffffff82
	v_cndmask_b32_e32 v37, v9, v8, vcc
	v_mov_b32_e32 v8, 0x78
	v_or_b32_e32 v33, 0x800000, v60
	v_cndmask_b32_e32 v38, v32, v8, vcc
	v_cndmask_b32_e32 v60, v33, v60, vcc
	v_add_u32_e32 v8, 20, v38
	v_lshlrev_b64 v[8:9], v8, -1
	v_lshrrev_b64 v[34:35], v38, v[60:61]
	v_not_b32_e32 v9, v9
	v_not_b32_e32 v8, v8
	v_add_u32_e32 v32, 19, v38
	v_lshrrev_b32_e32 v39, 23, v34
	v_and_b32_e32 v9, 0, v9
	v_and_b32_e32 v8, v60, v8
	v_lshlrev_b64 v[32:33], v32, 1
	v_add3_u32 v39, v38, v37, v39
	v_bfe_u32 v37, v34, 20, 1
	v_add_u32_e32 v37, -1, v37
	v_cmp_eq_u64_e32 vcc, v[8:9], v[32:33]
	v_cndmask_b32_e32 v8, 0, v37, vcc
	v_add_u32_e32 v8, v8, v34
	v_and_b32_e32 v8, 0xfffff, v8
	v_add_co_u32_e32 v8, vcc, v8, v34
	v_add_u32_e32 v38, 6, v39
	v_addc_co_u32_e32 v9, vcc, 0, v35, vcc
	v_cmp_ne_u32_e32 vcc, 0, v38
                                        ; implicit-def: $vgpr37
	s_and_saveexec_b64 s[30:31], vcc
	s_xor_b64 s[30:31], exec, s[30:31]
; %bb.2958:                             ;   in Loop: Header=BB2_2678 Depth=3
	v_add_u32_e32 v32, 7, v39
	v_cmp_lt_u64_e32 vcc, s[58:59], v[8:9]
	v_cndmask_b32_e32 v37, v38, v32, vcc
	v_cndmask_b32_e64 v32, 0, 1, vcc
	v_lshrrev_b64 v[8:9], v32, v[8:9]
; %bb.2959:                             ;   in Loop: Header=BB2_2678 Depth=3
	s_andn2_saveexec_b64 vcc, s[30:31]
; %bb.2960:                             ;   in Loop: Header=BB2_2678 Depth=3
	v_bfe_u32 v37, v8, 23, 1
; %bb.2961:                             ;   in Loop: Header=BB2_2678 Depth=3
	s_or_b64 exec, exec, vcc
	v_lshrrev_b64 v[8:9], 20, v[8:9]
	v_cmp_gt_i32_e32 vcc, 16, v37
	v_cndmask_b32_e32 v9, 0, v9, vcc
	v_cndmask_b32_e32 v8, 7, v8, vcc
	v_cmp_eq_u64_e64 s[30:31], 0, v[8:9]
	v_min_i32_e32 v9, 15, v37
	v_cmp_eq_u32_e32 vcc, 0, v37
	v_lshlrev_b32_e32 v9, 3, v9
	v_and_or_b32 v8, v8, 7, v9
	s_and_b64 vcc, vcc, s[30:31]
	v_cndmask_b32_e64 v8, v8, 0, vcc
	v_or_b32_e32 v37, v8, v12
.LBB2_2962:                             ;   in Loop: Header=BB2_2678 Depth=3
	s_or_b64 exec, exec, s[72:73]
.LBB2_2963:                             ;   in Loop: Header=BB2_2678 Depth=3
	s_or_b64 exec, exec, s[36:37]
                                        ; implicit-def: $vgpr8
.LBB2_2964:                             ;   in Loop: Header=BB2_2678 Depth=3
	s_andn2_saveexec_b64 s[30:31], s[34:35]
; %bb.2965:                             ;   in Loop: Header=BB2_2678 Depth=3
	v_or_b32_sdwa v8, v8, s92 dst_sel:DWORD dst_unused:UNUSED_PAD src0_sel:BYTE_3 src1_sel:DWORD
	v_cmp_eq_u64_e32 vcc, 0, v[60:61]
	v_cndmask_b32_e32 v37, v8, v37, vcc
; %bb.2966:                             ;   in Loop: Header=BB2_2678 Depth=3
	s_or_b64 exec, exec, s[30:31]
	v_mov_b32_e32 v60, v15
	v_cmp_ne_u16_sdwa vcc, v15, v61 src0_sel:BYTE_0 src1_sel:DWORD
	v_mov_b32_e32 v9, 0
	v_mov_b32_e32 v8, 0
	s_and_saveexec_b64 s[30:31], vcc
	s_cbranch_execz .LBB2_2972
; %bb.2967:                             ;   in Loop: Header=BB2_2678 Depth=3
	v_cmp_ne_u16_sdwa vcc, v15, s91 src0_sel:BYTE_0 src1_sel:DWORD
	v_bfrev_b32_e32 v8, 1
	s_and_saveexec_b64 s[34:35], vcc
	s_cbranch_execz .LBB2_2971
; %bb.2968:                             ;   in Loop: Header=BB2_2678 Depth=3
	v_and_b32_e32 v12, 0x7f, v15
	v_cmp_ne_u32_e32 vcc, s92, v12
	v_mov_b32_e32 v8, 0x7f800001
	s_and_saveexec_b64 s[36:37], vcc
	s_cbranch_execz .LBB2_2970
; %bb.2969:                             ;   in Loop: Header=BB2_2678 Depth=3
	v_and_b32_e32 v8, 7, v15
	v_ffbh_u32_e32 v8, v8
	v_min_u32_e32 v8, 32, v8
	v_subrev_u32_e32 v33, 28, v8
	v_cmp_gt_u32_e32 vcc, 8, v12
	v_lshrrev_b32_e32 v32, 3, v12
	v_sub_u32_e32 v8, 29, v8
	v_cndmask_b32_e32 v12, 0, v33, vcc
	v_cndmask_b32_e32 v8, v32, v8, vcc
	v_lshlrev_b64 v[32:33], v12, v[60:61]
	v_lshlrev_b32_e32 v12, 20, v32
	v_lshlrev_b32_e32 v32, 24, v60
	v_and_b32_e32 v12, 0x700000, v12
	v_and_b32_e32 v32, 0x80000000, v32
	v_lshl_add_u32 v8, v8, 23, v0
	v_or3_b32 v8, v32, v8, v12
.LBB2_2970:                             ;   in Loop: Header=BB2_2678 Depth=3
	s_or_b64 exec, exec, s[36:37]
.LBB2_2971:                             ;   in Loop: Header=BB2_2678 Depth=3
	s_or_b64 exec, exec, s[34:35]
.LBB2_2972:                             ;   in Loop: Header=BB2_2678 Depth=3
	s_or_b64 exec, exec, s[30:31]
	v_cmp_ne_u16_sdwa vcc, v11, v61 src0_sel:BYTE_0 src1_sel:DWORD
	s_and_saveexec_b64 s[30:31], vcc
	s_cbranch_execz .LBB2_2978
; %bb.2973:                             ;   in Loop: Header=BB2_2678 Depth=3
	v_cmp_ne_u16_sdwa vcc, v11, s91 src0_sel:BYTE_0 src1_sel:DWORD
	v_bfrev_b32_e32 v9, 1
	s_and_saveexec_b64 s[34:35], vcc
	s_cbranch_execz .LBB2_2977
; %bb.2974:                             ;   in Loop: Header=BB2_2678 Depth=3
	v_and_b32_e32 v12, 0x7f, v11
	v_cmp_ne_u32_e32 vcc, s92, v12
	v_mov_b32_e32 v9, 0x7f800001
	s_and_saveexec_b64 s[36:37], vcc
	s_cbranch_execz .LBB2_2976
; %bb.2975:                             ;   in Loop: Header=BB2_2678 Depth=3
	v_and_b32_e32 v9, 7, v11
	v_ffbh_u32_e32 v9, v9
	v_min_u32_e32 v9, 32, v9
	v_subrev_u32_e32 v35, 28, v9
	v_cmp_gt_u32_e32 vcc, 8, v12
	v_mov_b32_e32 v32, v11
	v_mov_b32_e32 v33, v61
	v_lshrrev_b32_e32 v34, 3, v12
	v_sub_u32_e32 v9, 29, v9
	v_cndmask_b32_e32 v12, 0, v35, vcc
	v_cndmask_b32_e32 v9, v34, v9, vcc
	v_lshlrev_b64 v[34:35], v12, v[32:33]
	v_lshlrev_b32_e32 v12, 20, v34
	v_lshlrev_b32_e32 v32, 24, v32
	v_and_b32_e32 v12, 0x700000, v12
	v_and_b32_e32 v32, 0x80000000, v32
	v_lshl_add_u32 v9, v9, 23, v0
	v_or3_b32 v9, v32, v9, v12
.LBB2_2976:                             ;   in Loop: Header=BB2_2678 Depth=3
	s_or_b64 exec, exec, s[36:37]
.LBB2_2977:                             ;   in Loop: Header=BB2_2678 Depth=3
	s_or_b64 exec, exec, s[34:35]
.LBB2_2978:                             ;   in Loop: Header=BB2_2678 Depth=3
	s_or_b64 exec, exec, s[30:31]
	v_add_f32_e32 v39, v8, v9
	v_and_b32_sdwa v12, v39, s91 dst_sel:DWORD dst_unused:UNUSED_PAD src0_sel:BYTE_3 src1_sel:DWORD
	v_and_b32_e32 v32, 0x7f800000, v39
	v_mov_b32_e32 v33, v61
	v_and_b32_e32 v8, 0x7fffff, v39
	v_mov_b32_e32 v9, v61
	v_or_b32_e32 v38, 0x7e, v12
	v_cmp_ne_u64_e32 vcc, s[54:55], v[32:33]
	s_and_saveexec_b64 s[30:31], vcc
	s_xor_b64 s[34:35], exec, s[30:31]
	s_cbranch_execz .LBB2_2988
; %bb.2979:                             ;   in Loop: Header=BB2_2678 Depth=3
	v_and_b32_e32 v32, 0x7fffffff, v39
	v_mov_b32_e32 v33, v61
	v_cmp_gt_u64_e32 vcc, s[56:57], v[32:33]
	s_and_saveexec_b64 s[36:37], vcc
	s_cbranch_execz .LBB2_2987
; %bb.2980:                             ;   in Loop: Header=BB2_2678 Depth=3
	v_cmp_ne_u32_e32 vcc, 0, v39
	v_mov_b32_e32 v38, 0
	s_and_saveexec_b64 s[72:73], vcc
	s_cbranch_execz .LBB2_2986
; %bb.2981:                             ;   in Loop: Header=BB2_2678 Depth=3
	v_bfe_u32 v32, v39, 23, 8
	v_sub_u32_e32 v34, 0x79, v32
	v_cmp_gt_u32_e32 vcc, s93, v32
	v_add_u32_e32 v33, 0xffffff81, v32
	v_cndmask_b32_e32 v34, 0, v34, vcc
	v_cmp_eq_u32_e32 vcc, 0, v32
	v_mov_b32_e32 v32, 0xffffff82
	v_cndmask_b32_e32 v38, v33, v32, vcc
	v_mov_b32_e32 v32, 0x78
	v_cndmask_b32_e32 v39, v34, v32, vcc
	v_add_u32_e32 v32, 20, v39
	v_or_b32_e32 v35, 0x800000, v8
	v_lshlrev_b64 v[32:33], v32, -1
	v_cndmask_b32_e32 v8, v35, v8, vcc
	v_not_b32_e32 v32, v32
	v_and_b32_e32 v32, v8, v32
	v_lshrrev_b64 v[8:9], v39, v[8:9]
	v_not_b32_e32 v33, v33
	v_add_u32_e32 v34, 19, v39
	v_lshrrev_b32_e32 v52, 23, v8
	v_and_b32_e32 v33, 0, v33
	v_lshlrev_b64 v[34:35], v34, 1
	v_add3_u32 v52, v39, v38, v52
	v_bfe_u32 v38, v8, 20, 1
	v_add_u32_e32 v38, -1, v38
	v_cmp_eq_u64_e32 vcc, v[32:33], v[34:35]
	v_cndmask_b32_e32 v32, 0, v38, vcc
	v_add_u32_e32 v32, v32, v8
	v_and_b32_e32 v32, 0xfffff, v32
	v_add_co_u32_e32 v8, vcc, v32, v8
	v_add_u32_e32 v39, 6, v52
	v_addc_co_u32_e32 v9, vcc, 0, v9, vcc
	v_cmp_ne_u32_e32 vcc, 0, v39
                                        ; implicit-def: $vgpr38
	s_and_saveexec_b64 s[30:31], vcc
	s_xor_b64 s[30:31], exec, s[30:31]
; %bb.2982:                             ;   in Loop: Header=BB2_2678 Depth=3
	v_add_u32_e32 v32, 7, v52
	v_cmp_lt_u64_e32 vcc, s[58:59], v[8:9]
	v_cndmask_b32_e32 v38, v39, v32, vcc
	v_cndmask_b32_e64 v32, 0, 1, vcc
	v_lshrrev_b64 v[8:9], v32, v[8:9]
; %bb.2983:                             ;   in Loop: Header=BB2_2678 Depth=3
	s_andn2_saveexec_b64 vcc, s[30:31]
; %bb.2984:                             ;   in Loop: Header=BB2_2678 Depth=3
	v_bfe_u32 v38, v8, 23, 1
; %bb.2985:                             ;   in Loop: Header=BB2_2678 Depth=3
	s_or_b64 exec, exec, vcc
	v_lshrrev_b64 v[8:9], 20, v[8:9]
	v_cmp_gt_i32_e32 vcc, 16, v38
	v_cndmask_b32_e32 v9, 0, v9, vcc
	v_cndmask_b32_e32 v8, 7, v8, vcc
	v_cmp_eq_u64_e64 s[30:31], 0, v[8:9]
	v_min_i32_e32 v9, 15, v38
	v_cmp_eq_u32_e32 vcc, 0, v38
	v_lshlrev_b32_e32 v9, 3, v9
	v_and_or_b32 v8, v8, 7, v9
	s_and_b64 vcc, vcc, s[30:31]
	v_cndmask_b32_e64 v8, v8, 0, vcc
	v_or_b32_e32 v38, v8, v12
.LBB2_2986:                             ;   in Loop: Header=BB2_2678 Depth=3
	s_or_b64 exec, exec, s[72:73]
.LBB2_2987:                             ;   in Loop: Header=BB2_2678 Depth=3
	s_or_b64 exec, exec, s[36:37]
                                        ; implicit-def: $vgpr39
                                        ; implicit-def: $vgpr8_vgpr9
.LBB2_2988:                             ;   in Loop: Header=BB2_2678 Depth=3
	s_andn2_saveexec_b64 s[30:31], s[34:35]
; %bb.2989:                             ;   in Loop: Header=BB2_2678 Depth=3
	v_or_b32_sdwa v12, v39, s92 dst_sel:DWORD dst_unused:UNUSED_PAD src0_sel:BYTE_3 src1_sel:DWORD
	v_cmp_eq_u64_e32 vcc, 0, v[8:9]
	v_cndmask_b32_e32 v38, v12, v38, vcc
; %bb.2990:                             ;   in Loop: Header=BB2_2678 Depth=3
	s_or_b64 exec, exec, s[30:31]
	v_lshrrev_b16_e32 v8, 8, v60
	v_cmp_ne_u16_e32 vcc, 0, v8
	v_mov_b32_e32 v9, 0
	v_mov_b32_e32 v39, 0
	s_and_saveexec_b64 s[30:31], vcc
	s_cbranch_execz .LBB2_2996
; %bb.2991:                             ;   in Loop: Header=BB2_2678 Depth=3
	v_cmp_ne_u16_e32 vcc, s91, v8
	v_bfrev_b32_e32 v39, 1
	s_and_saveexec_b64 s[34:35], vcc
	s_cbranch_execz .LBB2_2995
; %bb.2992:                             ;   in Loop: Header=BB2_2678 Depth=3
	v_and_b32_e32 v12, 0x7f, v8
	v_cmp_ne_u32_e32 vcc, s92, v12
	v_mov_b32_e32 v39, 0x7f800001
	s_and_saveexec_b64 s[36:37], vcc
	s_cbranch_execz .LBB2_2994
; %bb.2993:                             ;   in Loop: Header=BB2_2678 Depth=3
	v_and_b32_e32 v34, 7, v8
	v_ffbh_u32_e32 v32, v34
	v_min_u32_e32 v39, 32, v32
	v_subrev_u32_e32 v32, 28, v39
	v_lshlrev_b64 v[32:33], v32, v[8:9]
	v_lshrrev_b32_e32 v35, 3, v12
	v_sub_u32_e32 v8, 29, v39
	v_and_b32_e32 v32, 7, v32
	v_cmp_gt_u32_e32 vcc, 8, v12
	v_cndmask_b32_e32 v8, v35, v8, vcc
	v_cndmask_b32_e32 v12, v34, v32, vcc
	v_lshlrev_b32_e32 v32, 16, v60
	v_lshlrev_b32_e32 v12, 20, v12
	v_and_b32_e32 v32, 0x80000000, v32
	v_lshl_add_u32 v8, v8, 23, v0
	v_or3_b32 v39, v32, v8, v12
.LBB2_2994:                             ;   in Loop: Header=BB2_2678 Depth=3
	s_or_b64 exec, exec, s[36:37]
.LBB2_2995:                             ;   in Loop: Header=BB2_2678 Depth=3
	s_or_b64 exec, exec, s[34:35]
.LBB2_2996:                             ;   in Loop: Header=BB2_2678 Depth=3
	s_or_b64 exec, exec, s[30:31]
	v_mov_b32_e32 v8, v11
	v_lshrrev_b16_e32 v12, 8, v8
	v_cmp_ne_u16_e32 vcc, 0, v12
	s_and_saveexec_b64 s[30:31], vcc
	s_cbranch_execz .LBB2_3002
; %bb.2997:                             ;   in Loop: Header=BB2_2678 Depth=3
	v_cmp_ne_u16_e32 vcc, s91, v12
	v_bfrev_b32_e32 v9, 1
	s_and_saveexec_b64 s[34:35], vcc
	s_cbranch_execz .LBB2_3001
; %bb.2998:                             ;   in Loop: Header=BB2_2678 Depth=3
	v_and_b32_e32 v52, 0x7f, v12
	v_cmp_ne_u32_e32 vcc, s92, v52
	v_mov_b32_e32 v9, 0x7f800001
	s_and_saveexec_b64 s[36:37], vcc
	s_cbranch_execz .LBB2_3000
; %bb.2999:                             ;   in Loop: Header=BB2_2678 Depth=3
	v_and_b32_e32 v9, 7, v12
	v_ffbh_u32_e32 v32, v9
	v_min_u32_e32 v35, 32, v32
	v_subrev_u32_e32 v32, 28, v35
	v_lshlrev_b64 v[32:33], v32, v[12:13]
	v_lshrrev_b32_e32 v34, 3, v52
	v_sub_u32_e32 v12, 29, v35
	v_and_b32_e32 v32, 7, v32
	v_cmp_gt_u32_e32 vcc, 8, v52
	v_cndmask_b32_e32 v12, v34, v12, vcc
	v_cndmask_b32_e32 v9, v9, v32, vcc
	v_lshlrev_b32_e32 v8, 16, v8
	v_lshlrev_b32_e32 v9, 20, v9
	v_and_b32_e32 v8, 0x80000000, v8
	v_lshl_add_u32 v12, v12, 23, v0
	v_or3_b32 v9, v8, v12, v9
.LBB2_3000:                             ;   in Loop: Header=BB2_2678 Depth=3
	s_or_b64 exec, exec, s[36:37]
.LBB2_3001:                             ;   in Loop: Header=BB2_2678 Depth=3
	s_or_b64 exec, exec, s[34:35]
.LBB2_3002:                             ;   in Loop: Header=BB2_2678 Depth=3
	s_or_b64 exec, exec, s[30:31]
	v_add_f32_e32 v8, v39, v9
	v_and_b32_sdwa v39, v8, s91 dst_sel:DWORD dst_unused:UNUSED_PAD src0_sel:BYTE_3 src1_sel:DWORD
	v_and_b32_e32 v32, 0x7f800000, v8
	v_mov_b32_e32 v33, v61
	v_and_b32_e32 v60, 0x7fffff, v8
	v_or_b32_e32 v12, 0x7e, v39
	v_cmp_ne_u64_e32 vcc, s[54:55], v[32:33]
	s_and_saveexec_b64 s[30:31], vcc
	s_xor_b64 s[34:35], exec, s[30:31]
	s_cbranch_execz .LBB2_3012
; %bb.3003:                             ;   in Loop: Header=BB2_2678 Depth=3
	v_and_b32_e32 v32, 0x7fffffff, v8
	v_mov_b32_e32 v33, v61
	v_cmp_gt_u64_e32 vcc, s[56:57], v[32:33]
	s_and_saveexec_b64 s[36:37], vcc
	s_cbranch_execz .LBB2_3011
; %bb.3004:                             ;   in Loop: Header=BB2_2678 Depth=3
	v_cmp_ne_u32_e32 vcc, 0, v8
	v_mov_b32_e32 v12, 0
	s_and_saveexec_b64 s[72:73], vcc
	s_cbranch_execz .LBB2_3010
; %bb.3005:                             ;   in Loop: Header=BB2_2678 Depth=3
	v_bfe_u32 v8, v8, 23, 8
	v_sub_u32_e32 v12, 0x79, v8
	v_cmp_gt_u32_e32 vcc, s93, v8
	v_add_u32_e32 v9, 0xffffff81, v8
	v_cndmask_b32_e32 v12, 0, v12, vcc
	v_cmp_eq_u32_e32 vcc, 0, v8
	v_mov_b32_e32 v8, 0xffffff82
	v_cndmask_b32_e32 v52, v9, v8, vcc
	v_mov_b32_e32 v8, 0x78
	v_or_b32_e32 v32, 0x800000, v60
	v_cndmask_b32_e32 v12, v12, v8, vcc
	v_cndmask_b32_e32 v60, v32, v60, vcc
	v_add_u32_e32 v8, 20, v12
	v_lshlrev_b64 v[8:9], v8, -1
	v_lshrrev_b64 v[34:35], v12, v[60:61]
	v_not_b32_e32 v9, v9
	v_not_b32_e32 v8, v8
	v_add_u32_e32 v32, 19, v12
	v_lshrrev_b32_e32 v53, 23, v34
	v_and_b32_e32 v9, 0, v9
	v_and_b32_e32 v8, v60, v8
	v_lshlrev_b64 v[32:33], v32, 1
	v_add3_u32 v53, v12, v52, v53
	v_bfe_u32 v12, v34, 20, 1
	v_add_u32_e32 v12, -1, v12
	v_cmp_eq_u64_e32 vcc, v[8:9], v[32:33]
	v_cndmask_b32_e32 v8, 0, v12, vcc
	v_add_u32_e32 v8, v8, v34
	v_and_b32_e32 v8, 0xfffff, v8
	v_add_co_u32_e32 v8, vcc, v8, v34
	v_add_u32_e32 v52, 6, v53
	v_addc_co_u32_e32 v9, vcc, 0, v35, vcc
	v_cmp_ne_u32_e32 vcc, 0, v52
                                        ; implicit-def: $vgpr12
	s_and_saveexec_b64 s[30:31], vcc
	s_xor_b64 s[30:31], exec, s[30:31]
; %bb.3006:                             ;   in Loop: Header=BB2_2678 Depth=3
	v_cmp_lt_u64_e32 vcc, s[58:59], v[8:9]
	v_add_u32_e32 v12, 7, v53
	v_cndmask_b32_e64 v32, 0, 1, vcc
	v_cndmask_b32_e32 v12, v52, v12, vcc
	v_lshrrev_b64 v[8:9], v32, v[8:9]
; %bb.3007:                             ;   in Loop: Header=BB2_2678 Depth=3
	s_andn2_saveexec_b64 vcc, s[30:31]
; %bb.3008:                             ;   in Loop: Header=BB2_2678 Depth=3
	v_bfe_u32 v12, v8, 23, 1
; %bb.3009:                             ;   in Loop: Header=BB2_2678 Depth=3
	s_or_b64 exec, exec, vcc
	v_lshrrev_b64 v[8:9], 20, v[8:9]
	v_cmp_gt_i32_e32 vcc, 16, v12
	v_cndmask_b32_e32 v9, 0, v9, vcc
	v_cndmask_b32_e32 v8, 7, v8, vcc
	v_cmp_eq_u64_e64 s[30:31], 0, v[8:9]
	v_min_i32_e32 v9, 15, v12
	v_cmp_eq_u32_e32 vcc, 0, v12
	v_lshlrev_b32_e32 v9, 3, v9
	v_and_or_b32 v8, v8, 7, v9
	s_and_b64 vcc, vcc, s[30:31]
	v_cndmask_b32_e64 v8, v8, 0, vcc
	v_or_b32_e32 v12, v8, v39
.LBB2_3010:                             ;   in Loop: Header=BB2_2678 Depth=3
	s_or_b64 exec, exec, s[72:73]
.LBB2_3011:                             ;   in Loop: Header=BB2_2678 Depth=3
	s_or_b64 exec, exec, s[36:37]
                                        ; implicit-def: $vgpr8
.LBB2_3012:                             ;   in Loop: Header=BB2_2678 Depth=3
	s_andn2_saveexec_b64 s[30:31], s[34:35]
; %bb.3013:                             ;   in Loop: Header=BB2_2678 Depth=3
	v_or_b32_sdwa v8, v8, s92 dst_sel:DWORD dst_unused:UNUSED_PAD src0_sel:BYTE_3 src1_sel:DWORD
	v_cmp_eq_u64_e32 vcc, 0, v[60:61]
	v_cndmask_b32_e32 v12, v8, v12, vcc
; %bb.3014:                             ;   in Loop: Header=BB2_2678 Depth=3
	s_or_b64 exec, exec, s[30:31]
	v_lshrrev_b32_e32 v8, 16, v15
	v_cmp_ne_u16_sdwa vcc, v8, v61 src0_sel:BYTE_0 src1_sel:DWORD
	v_mov_b32_e32 v9, 0
	v_mov_b32_e32 v39, 0
	s_and_saveexec_b64 s[30:31], vcc
	s_cbranch_execz .LBB2_3020
; %bb.3015:                             ;   in Loop: Header=BB2_2678 Depth=3
	v_cmp_ne_u16_sdwa vcc, v8, s91 src0_sel:BYTE_0 src1_sel:DWORD
	v_bfrev_b32_e32 v39, 1
	s_and_saveexec_b64 s[34:35], vcc
	s_cbranch_execz .LBB2_3019
; %bb.3016:                             ;   in Loop: Header=BB2_2678 Depth=3
	v_bfe_u32 v52, v15, 16, 7
	v_cmp_ne_u32_e32 vcc, s92, v52
	v_mov_b32_e32 v39, 0x7f800001
	s_and_saveexec_b64 s[36:37], vcc
	s_cbranch_execz .LBB2_3018
; %bb.3017:                             ;   in Loop: Header=BB2_2678 Depth=3
	v_and_b32_e32 v34, 7, v8
	v_ffbh_u32_e32 v32, v34
	v_min_u32_e32 v39, 32, v32
	v_subrev_u32_e32 v32, 28, v39
	v_lshlrev_b64 v[32:33], v32, v[8:9]
	v_lshrrev_b32_e32 v35, 3, v52
	v_sub_u32_e32 v33, 29, v39
	v_and_b32_e32 v32, 7, v32
	v_cmp_gt_u32_e32 vcc, 8, v52
	v_cndmask_b32_e32 v33, v35, v33, vcc
	v_cndmask_b32_e32 v32, v34, v32, vcc
	v_lshlrev_b32_e32 v8, 24, v8
	v_lshlrev_b32_e32 v32, 20, v32
	v_and_b32_e32 v8, 0x80000000, v8
	v_lshl_add_u32 v33, v33, 23, v0
	v_or3_b32 v39, v8, v33, v32
.LBB2_3018:                             ;   in Loop: Header=BB2_2678 Depth=3
	s_or_b64 exec, exec, s[36:37]
.LBB2_3019:                             ;   in Loop: Header=BB2_2678 Depth=3
	s_or_b64 exec, exec, s[34:35]
.LBB2_3020:                             ;   in Loop: Header=BB2_2678 Depth=3
	s_or_b64 exec, exec, s[30:31]
	v_lshrrev_b32_e32 v8, 16, v11
	v_cmp_ne_u16_sdwa vcc, v8, v61 src0_sel:BYTE_0 src1_sel:DWORD
	s_and_saveexec_b64 s[30:31], vcc
	s_cbranch_execz .LBB2_3026
; %bb.3021:                             ;   in Loop: Header=BB2_2678 Depth=3
	v_cmp_ne_u16_sdwa vcc, v8, s91 src0_sel:BYTE_0 src1_sel:DWORD
	v_bfrev_b32_e32 v9, 1
	s_and_saveexec_b64 s[34:35], vcc
	s_cbranch_execz .LBB2_3025
; %bb.3022:                             ;   in Loop: Header=BB2_2678 Depth=3
	v_bfe_u32 v52, v11, 16, 7
	v_cmp_ne_u32_e32 vcc, s92, v52
	v_mov_b32_e32 v9, 0x7f800001
	s_and_saveexec_b64 s[36:37], vcc
	s_cbranch_execz .LBB2_3024
; %bb.3023:                             ;   in Loop: Header=BB2_2678 Depth=3
	v_and_b32_e32 v32, 7, v8
	v_ffbh_u32_e32 v9, v32
	v_min_u32_e32 v34, 32, v9
	v_subrev_u32_e32 v9, 28, v34
	v_lshlrev_b64 v[8:9], v9, v[8:9]
	v_lshrrev_b32_e32 v33, 3, v52
	v_sub_u32_e32 v9, 29, v34
	v_and_b32_e32 v8, 7, v8
	v_cmp_gt_u32_e32 vcc, 8, v52
	v_cndmask_b32_e32 v9, v33, v9, vcc
	v_cndmask_b32_e32 v8, v32, v8, vcc
	v_lshlrev_b32_e32 v32, 8, v11
	v_lshlrev_b32_e32 v8, 20, v8
	v_and_b32_e32 v32, 0x80000000, v32
	v_lshl_add_u32 v9, v9, 23, v0
	v_or3_b32 v9, v32, v9, v8
.LBB2_3024:                             ;   in Loop: Header=BB2_2678 Depth=3
	s_or_b64 exec, exec, s[36:37]
.LBB2_3025:                             ;   in Loop: Header=BB2_2678 Depth=3
	s_or_b64 exec, exec, s[34:35]
.LBB2_3026:                             ;   in Loop: Header=BB2_2678 Depth=3
	s_or_b64 exec, exec, s[30:31]
	v_add_f32_e32 v8, v39, v9
	v_and_b32_sdwa v52, v8, s91 dst_sel:DWORD dst_unused:UNUSED_PAD src0_sel:BYTE_3 src1_sel:DWORD
	v_and_b32_e32 v32, 0x7f800000, v8
	v_mov_b32_e32 v33, v61
	v_and_b32_e32 v60, 0x7fffff, v8
	v_or_b32_e32 v39, 0x7e, v52
	v_cmp_ne_u64_e32 vcc, s[54:55], v[32:33]
	s_and_saveexec_b64 s[30:31], vcc
	s_xor_b64 s[34:35], exec, s[30:31]
	s_cbranch_execz .LBB2_3036
; %bb.3027:                             ;   in Loop: Header=BB2_2678 Depth=3
	v_and_b32_e32 v32, 0x7fffffff, v8
	v_mov_b32_e32 v33, v61
	v_cmp_gt_u64_e32 vcc, s[56:57], v[32:33]
	s_and_saveexec_b64 s[36:37], vcc
	s_cbranch_execz .LBB2_3035
; %bb.3028:                             ;   in Loop: Header=BB2_2678 Depth=3
	v_cmp_ne_u32_e32 vcc, 0, v8
	v_mov_b32_e32 v39, 0
	s_and_saveexec_b64 s[72:73], vcc
	s_cbranch_execz .LBB2_3034
; %bb.3029:                             ;   in Loop: Header=BB2_2678 Depth=3
	v_bfe_u32 v8, v8, 23, 8
	v_sub_u32_e32 v32, 0x79, v8
	v_cmp_gt_u32_e32 vcc, s93, v8
	v_add_u32_e32 v9, 0xffffff81, v8
	v_cndmask_b32_e32 v32, 0, v32, vcc
	v_cmp_eq_u32_e32 vcc, 0, v8
	v_mov_b32_e32 v8, 0xffffff82
	v_cndmask_b32_e32 v39, v9, v8, vcc
	v_mov_b32_e32 v8, 0x78
	v_or_b32_e32 v33, 0x800000, v60
	v_cndmask_b32_e32 v53, v32, v8, vcc
	v_cndmask_b32_e32 v60, v33, v60, vcc
	v_add_u32_e32 v8, 20, v53
	v_lshlrev_b64 v[8:9], v8, -1
	v_lshrrev_b64 v[34:35], v53, v[60:61]
	v_not_b32_e32 v9, v9
	v_not_b32_e32 v8, v8
	v_add_u32_e32 v32, 19, v53
	v_lshrrev_b32_e32 v54, 23, v34
	v_and_b32_e32 v9, 0, v9
	v_and_b32_e32 v8, v60, v8
	v_lshlrev_b64 v[32:33], v32, 1
	v_add3_u32 v54, v53, v39, v54
	v_bfe_u32 v39, v34, 20, 1
	v_add_u32_e32 v39, -1, v39
	v_cmp_eq_u64_e32 vcc, v[8:9], v[32:33]
	v_cndmask_b32_e32 v8, 0, v39, vcc
	v_add_u32_e32 v8, v8, v34
	v_and_b32_e32 v8, 0xfffff, v8
	v_add_co_u32_e32 v8, vcc, v8, v34
	v_add_u32_e32 v53, 6, v54
	v_addc_co_u32_e32 v9, vcc, 0, v35, vcc
	v_cmp_ne_u32_e32 vcc, 0, v53
                                        ; implicit-def: $vgpr39
	s_and_saveexec_b64 s[30:31], vcc
	s_xor_b64 s[30:31], exec, s[30:31]
; %bb.3030:                             ;   in Loop: Header=BB2_2678 Depth=3
	v_add_u32_e32 v32, 7, v54
	v_cmp_lt_u64_e32 vcc, s[58:59], v[8:9]
	v_cndmask_b32_e32 v39, v53, v32, vcc
	v_cndmask_b32_e64 v32, 0, 1, vcc
	v_lshrrev_b64 v[8:9], v32, v[8:9]
; %bb.3031:                             ;   in Loop: Header=BB2_2678 Depth=3
	s_andn2_saveexec_b64 vcc, s[30:31]
; %bb.3032:                             ;   in Loop: Header=BB2_2678 Depth=3
	v_bfe_u32 v39, v8, 23, 1
; %bb.3033:                             ;   in Loop: Header=BB2_2678 Depth=3
	s_or_b64 exec, exec, vcc
	v_lshrrev_b64 v[8:9], 20, v[8:9]
	v_cmp_gt_i32_e32 vcc, 16, v39
	v_cndmask_b32_e32 v9, 0, v9, vcc
	v_cndmask_b32_e32 v8, 7, v8, vcc
	v_cmp_eq_u64_e64 s[30:31], 0, v[8:9]
	v_min_i32_e32 v9, 15, v39
	v_lshlrev_b32_e32 v9, 3, v9
	v_cmp_eq_u32_e32 vcc, 0, v39
	v_and_b32_e32 v9, 0xf8, v9
	v_and_or_b32 v8, v8, 7, v9
	s_and_b64 vcc, vcc, s[30:31]
	v_cndmask_b32_e64 v8, v8, 0, vcc
	v_or_b32_e32 v39, v8, v52
.LBB2_3034:                             ;   in Loop: Header=BB2_2678 Depth=3
	s_or_b64 exec, exec, s[72:73]
.LBB2_3035:                             ;   in Loop: Header=BB2_2678 Depth=3
	s_or_b64 exec, exec, s[36:37]
                                        ; implicit-def: $vgpr8
.LBB2_3036:                             ;   in Loop: Header=BB2_2678 Depth=3
	s_andn2_saveexec_b64 s[30:31], s[34:35]
; %bb.3037:                             ;   in Loop: Header=BB2_2678 Depth=3
	v_or_b32_sdwa v8, v8, s92 dst_sel:DWORD dst_unused:UNUSED_PAD src0_sel:BYTE_3 src1_sel:DWORD
	v_cmp_eq_u64_e32 vcc, 0, v[60:61]
	v_cndmask_b32_e32 v39, v8, v39, vcc
; %bb.3038:                             ;   in Loop: Header=BB2_2678 Depth=3
	s_or_b64 exec, exec, s[30:31]
	v_cmp_lt_u64_e32 vcc, s[44:45], v[14:15]
	v_mov_b32_e32 v9, 0
	v_mov_b32_e32 v14, 0
	s_and_saveexec_b64 s[30:31], vcc
	s_cbranch_execz .LBB2_3044
; %bb.3039:                             ;   in Loop: Header=BB2_2678 Depth=3
	v_lshrrev_b32_e32 v8, 24, v15
	v_cmp_ne_u32_e32 vcc, s91, v8
	v_bfrev_b32_e32 v14, 1
	s_and_saveexec_b64 s[34:35], vcc
	s_cbranch_execz .LBB2_3043
; %bb.3040:                             ;   in Loop: Header=BB2_2678 Depth=3
	v_bfe_u32 v15, v15, 24, 7
	v_cmp_ne_u32_e32 vcc, s92, v15
	v_mov_b32_e32 v14, 0x7f800001
	s_and_saveexec_b64 s[36:37], vcc
	s_cbranch_execz .LBB2_3042
; %bb.3041:                             ;   in Loop: Header=BB2_2678 Depth=3
	v_and_b32_e32 v14, 7, v8
	v_ffbh_u32_e32 v32, v14
	v_min_u32_e32 v35, 32, v32
	v_subrev_u32_e32 v32, 28, v35
	v_lshlrev_b64 v[32:33], v32, v[8:9]
	v_lshrrev_b32_e32 v34, 3, v15
	v_sub_u32_e32 v33, 29, v35
	v_and_b32_e32 v32, 7, v32
	v_cmp_gt_u32_e32 vcc, 8, v15
	v_cndmask_b32_e32 v15, v34, v33, vcc
	v_cndmask_b32_e32 v14, v14, v32, vcc
	v_lshlrev_b32_e32 v8, 24, v8
	v_lshlrev_b32_e32 v14, 20, v14
	v_and_b32_e32 v8, 0x80000000, v8
	v_lshl_add_u32 v15, v15, 23, v0
	v_or3_b32 v14, v8, v15, v14
.LBB2_3042:                             ;   in Loop: Header=BB2_2678 Depth=3
	s_or_b64 exec, exec, s[36:37]
.LBB2_3043:                             ;   in Loop: Header=BB2_2678 Depth=3
	s_or_b64 exec, exec, s[34:35]
.LBB2_3044:                             ;   in Loop: Header=BB2_2678 Depth=3
	s_or_b64 exec, exec, s[30:31]
	v_cmp_lt_u64_e32 vcc, s[44:45], v[10:11]
	s_and_saveexec_b64 s[30:31], vcc
	s_cbranch_execz .LBB2_3050
; %bb.3045:                             ;   in Loop: Header=BB2_2678 Depth=3
	v_lshrrev_b32_e32 v8, 24, v11
	v_cmp_ne_u32_e32 vcc, s91, v8
	v_bfrev_b32_e32 v9, 1
	s_and_saveexec_b64 s[34:35], vcc
	s_cbranch_execz .LBB2_3049
; %bb.3046:                             ;   in Loop: Header=BB2_2678 Depth=3
	v_bfe_u32 v10, v11, 24, 7
	v_cmp_ne_u32_e32 vcc, s92, v10
	v_mov_b32_e32 v9, 0x7f800001
	s_and_saveexec_b64 s[36:37], vcc
	s_cbranch_execz .LBB2_3048
; %bb.3047:                             ;   in Loop: Header=BB2_2678 Depth=3
	v_and_b32_e32 v9, 7, v8
	v_ffbh_u32_e32 v15, v9
	v_min_u32_e32 v15, 32, v15
	v_subrev_u32_e32 v32, 28, v15
	v_lshlrev_b64 v[32:33], v32, v[8:9]
	v_lshrrev_b32_e32 v11, 3, v10
	v_sub_u32_e32 v15, 29, v15
	v_and_b32_e32 v32, 7, v32
	v_cmp_gt_u32_e32 vcc, 8, v10
	v_cndmask_b32_e32 v10, v11, v15, vcc
	v_cndmask_b32_e32 v9, v9, v32, vcc
	v_lshlrev_b32_e32 v8, 24, v8
	v_lshlrev_b32_e32 v9, 20, v9
	v_and_b32_e32 v8, 0x80000000, v8
	v_lshl_add_u32 v10, v10, 23, v0
	v_or3_b32 v9, v8, v10, v9
.LBB2_3048:                             ;   in Loop: Header=BB2_2678 Depth=3
	s_or_b64 exec, exec, s[36:37]
.LBB2_3049:                             ;   in Loop: Header=BB2_2678 Depth=3
	s_or_b64 exec, exec, s[34:35]
.LBB2_3050:                             ;   in Loop: Header=BB2_2678 Depth=3
	s_or_b64 exec, exec, s[30:31]
	v_add_f32_e32 v8, v14, v9
	v_and_b32_sdwa v10, v8, s91 dst_sel:DWORD dst_unused:UNUSED_PAD src0_sel:BYTE_3 src1_sel:DWORD
	v_and_b32_e32 v14, 0x7f800000, v8
	v_mov_b32_e32 v15, v61
	v_and_b32_e32 v60, 0x7fffff, v8
	v_or_b32_e32 v11, 0x7e, v10
	v_cmp_ne_u64_e32 vcc, s[54:55], v[14:15]
	s_and_saveexec_b64 s[30:31], vcc
	s_xor_b64 s[34:35], exec, s[30:31]
	s_cbranch_execz .LBB2_3060
; %bb.3051:                             ;   in Loop: Header=BB2_2678 Depth=3
	v_and_b32_e32 v14, 0x7fffffff, v8
	v_mov_b32_e32 v15, v61
	v_cmp_gt_u64_e32 vcc, s[56:57], v[14:15]
	s_and_saveexec_b64 s[36:37], vcc
	s_cbranch_execz .LBB2_3059
; %bb.3052:                             ;   in Loop: Header=BB2_2678 Depth=3
	v_cmp_ne_u32_e32 vcc, 0, v8
	v_mov_b32_e32 v11, 0
	s_and_saveexec_b64 s[72:73], vcc
	s_cbranch_execz .LBB2_3058
; %bb.3053:                             ;   in Loop: Header=BB2_2678 Depth=3
	v_bfe_u32 v8, v8, 23, 8
	v_sub_u32_e32 v11, 0x79, v8
	v_cmp_gt_u32_e32 vcc, s93, v8
	v_add_u32_e32 v9, 0xffffff81, v8
	v_cndmask_b32_e32 v11, 0, v11, vcc
	v_cmp_eq_u32_e32 vcc, 0, v8
	v_mov_b32_e32 v8, 0xffffff82
	v_cndmask_b32_e32 v15, v9, v8, vcc
	v_mov_b32_e32 v8, 0x78
	v_or_b32_e32 v14, 0x800000, v60
	v_cndmask_b32_e32 v11, v11, v8, vcc
	v_cndmask_b32_e32 v60, v14, v60, vcc
	v_add_u32_e32 v8, 20, v11
	v_lshlrev_b64 v[8:9], v8, -1
	v_add_u32_e32 v14, 19, v11
	v_lshrrev_b64 v[34:35], v11, v[60:61]
	v_not_b32_e32 v9, v9
	v_not_b32_e32 v8, v8
	v_lshlrev_b64 v[32:33], v14, 1
	v_lshrrev_b32_e32 v14, 23, v34
	v_and_b32_e32 v9, 0, v9
	v_and_b32_e32 v8, v60, v8
	v_add3_u32 v15, v11, v15, v14
	v_bfe_u32 v11, v34, 20, 1
	v_add_u32_e32 v11, -1, v11
	v_cmp_eq_u64_e32 vcc, v[8:9], v[32:33]
	v_cndmask_b32_e32 v8, 0, v11, vcc
	v_add_u32_e32 v8, v8, v34
	v_and_b32_e32 v8, 0xfffff, v8
	v_add_co_u32_e32 v8, vcc, v8, v34
	v_add_u32_e32 v14, 6, v15
	v_addc_co_u32_e32 v9, vcc, 0, v35, vcc
	v_cmp_ne_u32_e32 vcc, 0, v14
                                        ; implicit-def: $vgpr11
	s_and_saveexec_b64 s[30:31], vcc
	s_xor_b64 s[30:31], exec, s[30:31]
; %bb.3054:                             ;   in Loop: Header=BB2_2678 Depth=3
	v_add_u32_e32 v11, 7, v15
	v_cmp_lt_u64_e32 vcc, s[58:59], v[8:9]
	v_cndmask_b32_e32 v11, v14, v11, vcc
	v_cndmask_b32_e64 v14, 0, 1, vcc
	v_lshrrev_b64 v[8:9], v14, v[8:9]
; %bb.3055:                             ;   in Loop: Header=BB2_2678 Depth=3
	s_andn2_saveexec_b64 vcc, s[30:31]
; %bb.3056:                             ;   in Loop: Header=BB2_2678 Depth=3
	v_bfe_u32 v11, v8, 23, 1
; %bb.3057:                             ;   in Loop: Header=BB2_2678 Depth=3
	s_or_b64 exec, exec, vcc
	v_lshrrev_b64 v[8:9], 20, v[8:9]
	v_cmp_gt_i32_e32 vcc, 16, v11
	v_cndmask_b32_e32 v9, 0, v9, vcc
	v_cndmask_b32_e32 v8, 7, v8, vcc
	v_cmp_eq_u64_e64 s[30:31], 0, v[8:9]
	v_min_i32_e32 v9, 15, v11
	v_lshlrev_b32_e32 v9, 3, v9
	v_cmp_eq_u32_e32 vcc, 0, v11
	v_and_b32_e32 v9, 0xf8, v9
	v_and_or_b32 v8, v8, 7, v9
	s_and_b64 vcc, vcc, s[30:31]
	v_cndmask_b32_e64 v8, v8, 0, vcc
	v_or_b32_e32 v11, v8, v10
.LBB2_3058:                             ;   in Loop: Header=BB2_2678 Depth=3
	s_or_b64 exec, exec, s[72:73]
.LBB2_3059:                             ;   in Loop: Header=BB2_2678 Depth=3
	s_or_b64 exec, exec, s[36:37]
                                        ; implicit-def: $vgpr8
.LBB2_3060:                             ;   in Loop: Header=BB2_2678 Depth=3
	s_andn2_saveexec_b64 s[30:31], s[34:35]
; %bb.3061:                             ;   in Loop: Header=BB2_2678 Depth=3
	v_or_b32_sdwa v8, v8, s92 dst_sel:DWORD dst_unused:UNUSED_PAD src0_sel:BYTE_3 src1_sel:DWORD
	v_cmp_eq_u64_e32 vcc, 0, v[60:61]
	v_cndmask_b32_e32 v11, v8, v11, vcc
; %bb.3062:                             ;   in Loop: Header=BB2_2678 Depth=3
	s_or_b64 exec, exec, s[30:31]
	v_lshlrev_b32_e32 v8, 8, v24
	v_perm_b32 v8, v8, v31, s94
	v_lshl_or_b32 v8, v22, 16, v8
	v_lshl_or_b32 v9, v13, 24, v8
	v_and_b32_e32 v8, 0xff, v29
	v_lshlrev_b32_e32 v13, 8, v28
	v_lshlrev_b32_e32 v10, 24, v30
	;; [unrolled: 1-line block ×3, first 2 shown]
	v_perm_b32 v13, v13, v27, s94
	v_or3_b32 v8, v10, v8, v13
	v_and_b32_e32 v10, 0xff, v36
	v_lshlrev_b32_e32 v1, 8, v1
	v_lshlrev_b32_e32 v13, 24, v37
	;; [unrolled: 1-line block ×3, first 2 shown]
	v_perm_b32 v1, v1, v23, s94
	v_or3_b32 v10, v13, v10, v1
	v_lshlrev_b32_e32 v1, 8, v12
	v_perm_b32 v1, v1, v38, s94
	v_lshl_or_b32 v1, v39, 16, v1
	v_lshl_or_b32 v11, v11, 24, v1
	s_mov_b64 s[72:73], 0
	s_mov_b64 s[74:75], -1
.LBB2_3063:                             ;   Parent Loop BB2_47 Depth=1
                                        ;     Parent Loop BB2_1783 Depth=2
                                        ;       Parent Loop BB2_2678 Depth=3
                                        ; =>      This Inner Loop Header: Depth=4
	s_cmp_eq_u32 s72, 0
	s_cselect_b64 s[30:31], -1, 0
	s_cmp_eq_u32 s72, 1
	s_cselect_b64 s[36:37], -1, 0
	v_cndmask_b32_e64 v1, 0, 1, s[74:75]
	v_cndmask_b32_e64 v12, v4, v16, s[36:37]
	v_cmp_ne_u32_e64 s[34:35], 1, v1
	v_cndmask_b32_e64 v13, v5, v17, s[36:37]
	v_add_co_u32_e32 v1, vcc, 0x400, v12
	global_store_dwordx4 v[12:13], v[8:11], off glc slc
	v_addc_co_u32_e32 v12, vcc, 0, v13, vcc
	s_mov_b64 s[74:75], 0
	s_mov_b64 s[72:73], 1
	v_cndmask_b32_e64 v16, v16, v1, s[36:37]
	s_and_b64 vcc, exec, s[34:35]
	v_cndmask_b32_e64 v17, v17, v12, s[36:37]
	v_cndmask_b32_e64 v5, v5, v12, s[30:31]
	;; [unrolled: 1-line block ×3, first 2 shown]
	s_cbranch_vccz .LBB2_3063
; %bb.3064:                             ;   in Loop: Header=BB2_2678 Depth=3
	v_accvgpr_read_b32 v1, a42
	v_add_co_u32_e32 v18, vcc, v18, v1
	v_accvgpr_read_b32 v8, a43
	v_addc_co_u32_e32 v19, vcc, v19, v8, vcc
	v_add_co_u32_e32 v20, vcc, v20, v1
	v_addc_co_u32_e32 v21, vcc, v21, v8, vcc
	v_accvgpr_read_b32 v8, a32
	v_add_co_u32_e32 v4, vcc, v4, v8
	v_accvgpr_read_b32 v1, a33
	v_addc_co_u32_e32 v5, vcc, v5, v1, vcc
	v_add_co_u32_e32 v16, vcc, v16, v8
	v_addc_co_u32_e32 v17, vcc, v17, v1, vcc
	v_accvgpr_read_b32 v1, a28
	v_sub_u32_e32 v26, v26, v1
	v_cmp_gt_i32_e32 vcc, 16, v26
	v_accvgpr_read_b32 v8, a22
	s_or_b64 s[70:71], vcc, s[70:71]
	v_sub_u32_e32 v7, v7, v8
	s_andn2_b64 exec, exec, s[70:71]
	s_cbranch_execnz .LBB2_2678
; %bb.3065:                             ;   in Loop: Header=BB2_1783 Depth=2
	s_or_b64 exec, exec, s[70:71]
.LBB2_3066:                             ;   in Loop: Header=BB2_1783 Depth=2
	s_or_b64 exec, exec, s[68:69]
	buffer_load_dword v1, off, s[0:3], s33 offset:184 ; 4-byte Folded Reload
	s_mov_b64 s[30:31], 0
                                        ; implicit-def: $vgpr17
                                        ; implicit-def: $vgpr4
	s_waitcnt vmcnt(0)
	v_and_b32_e32 v5, 15, v1
	v_cndmask_b32_e64 v16, v25, v5, s[28:29]
	v_cmp_ne_u32_e32 vcc, 0, v16
	v_mov_b32_e32 v1, 0
	s_and_saveexec_b64 s[34:35], vcc
	s_cbranch_execz .LBB2_3068
; %bb.3067:                             ;   in Loop: Header=BB2_1783 Depth=2
	v_sub_u32_e32 v1, v25, v5
	v_cndmask_b32_e64 v1, 0, v1, s[28:29]
	v_add3_u32 v1, v6, v2, v1
	v_cmp_lt_i32_e32 vcc, 0, v7
	v_accvgpr_read_b32 v2, a22
	v_cndmask_b32_e32 v2, 0, v2, vcc
	v_sub_u32_e32 v2, v2, v7
	v_lshl_add_u32 v17, v2, 6, v3
	v_ashrrev_i32_e32 v2, 31, v17
	v_lshrrev_b32_e32 v2, 26, v2
	v_add_u32_e32 v2, v17, v2
	s_mov_b64 s[30:31], exec
	v_ashrrev_i32_e32 v4, 6, v2
.LBB2_3068:                             ;   in Loop: Header=BB2_1783 Depth=2
	s_or_b64 exec, exec, s[34:35]
	s_and_b64 s[28:29], s[30:31], exec
.LBB2_3069:                             ;   in Loop: Header=BB2_1783 Depth=2
	s_or_b64 exec, exec, s[66:67]
	v_accvgpr_read_b32 v6, a22
	s_and_saveexec_b64 s[34:35], s[28:29]
	s_cbranch_execz .LBB2_1855
.LBB2_3070:                             ;   in Loop: Header=BB2_1783 Depth=2
	s_waitcnt vmcnt(0)
	v_ashrrev_i32_e32 v2, 31, v16
	v_add_u32_sdwa v2, v16, v2 dst_sel:DWORD dst_unused:UNUSED_PAD src0_sel:DWORD src1_sel:BYTE_3
	v_ashrrev_i32_e32 v6, 8, v2
	v_sub_u32_e32 v2, v6, v4
	v_ashrrev_i32_e32 v3, 31, v17
	v_cmp_lt_i32_e32 vcc, 0, v2
	v_lshrrev_b32_e32 v3, 26, v3
	s_and_saveexec_b64 s[30:31], vcc
	s_cbranch_execz .LBB2_3186
; %bb.3071:                             ;   in Loop: Header=BB2_1783 Depth=2
	s_trap 2
	ds_read_b128 v[8:11], v0
	v_add_u32_e32 v5, v17, v3
	v_and_b32_e32 v5, 0xffffffc0, v5
	v_sub_u32_e32 v5, v17, v5
	v_lshlrev_b32_e32 v4, 8, v4
	v_add3_u32 v7, v1, v5, v4
	v_ashrrev_i32_e32 v12, 31, v7
	s_waitcnt lgkmcnt(0)
	v_add_co_u32_e32 v4, vcc, v8, v7
	v_addc_co_u32_e32 v5, vcc, v9, v12, vcc
	v_add_co_u32_e32 v8, vcc, v10, v7
	v_addc_co_u32_e32 v9, vcc, v11, v12, vcc
	s_mov_b64 s[36:37], 0
	v_pk_mov_b32 v[10:11], v[4:5], v[4:5] op_sel:[0,1]
	v_pk_mov_b32 v[12:13], v[8:9], v[8:9] op_sel:[0,1]
	s_branch .LBB2_3073
.LBB2_3072:                             ;   in Loop: Header=BB2_3073 Depth=3
	s_or_b64 exec, exec, s[28:29]
	flat_store_byte v[10:11], v7 glc slc
	flat_store_byte v[10:11], v20 offset:64 glc slc
	flat_store_byte v[10:11], v21 offset:128 glc slc
	;; [unrolled: 1-line block ×3, first 2 shown]
	flat_store_byte v[12:13], v7 glc slc
	flat_store_byte v[12:13], v20 offset:64 glc slc
	flat_store_byte v[12:13], v21 offset:128 glc slc
	flat_store_byte v[12:13], v15 offset:192 glc slc
	v_accvgpr_read_b32 v7, a46
	v_add_co_u32_e32 v4, vcc, v4, v7
	v_accvgpr_read_b32 v15, a47
	v_addc_co_u32_e32 v5, vcc, v5, v15, vcc
	v_add_co_u32_e32 v8, vcc, v8, v7
	v_addc_co_u32_e32 v9, vcc, v9, v15, vcc
	v_add_co_u32_e32 v10, vcc, v10, v7
	v_accvgpr_read_b32 v14, a22
	v_addc_co_u32_e32 v11, vcc, v11, v15, vcc
	v_sub_u32_e32 v2, v2, v14
	v_cmp_gt_i32_e32 vcc, 1, v2
	s_or_b64 s[36:37], vcc, s[36:37]
	v_add_co_u32_e32 v12, vcc, v12, v7
	v_addc_co_u32_e32 v13, vcc, v13, v15, vcc
	s_andn2_b64 exec, exec, s[36:37]
	s_cbranch_execz .LBB2_3185
.LBB2_3073:                             ;   Parent Loop BB2_47 Depth=1
                                        ;     Parent Loop BB2_1783 Depth=2
                                        ; =>    This Inner Loop Header: Depth=3
	flat_load_ubyte v25, v[4:5] glc slc
	flat_load_ubyte v23, v[4:5] offset:64 glc slc
	flat_load_ubyte v22, v[4:5] offset:128 glc slc
	;; [unrolled: 1-line block ×3, first 2 shown]
	flat_load_ubyte v7, v[8:9] glc slc
	flat_load_ubyte v20, v[8:9] offset:64 glc slc
	flat_load_ubyte v21, v[8:9] offset:128 glc slc
	;; [unrolled: 1-line block ×3, first 2 shown]
	v_mov_b32_e32 v15, 0
	v_mov_b32_e32 v24, 0
	s_waitcnt vmcnt(0) lgkmcnt(0)
	v_cmp_ne_u16_e32 vcc, 0, v25
	s_and_saveexec_b64 s[28:29], vcc
	s_cbranch_execz .LBB2_3079
; %bb.3074:                             ;   in Loop: Header=BB2_3073 Depth=3
	v_cmp_ne_u16_e32 vcc, s91, v25
	v_bfrev_b32_e32 v24, 1
	s_and_saveexec_b64 s[66:67], vcc
	s_cbranch_execz .LBB2_3078
; %bb.3075:                             ;   in Loop: Header=BB2_3073 Depth=3
	v_and_b32_e32 v14, 0xffff, v25
	v_and_b32_e32 v26, 0x7f, v14
	v_cmp_ne_u32_e32 vcc, s92, v26
	v_mov_b32_e32 v24, 0x7f800001
	s_and_saveexec_b64 s[68:69], vcc
	s_cbranch_execz .LBB2_3077
; %bb.3076:                             ;   in Loop: Header=BB2_3073 Depth=3
	v_and_b32_e32 v24, 7, v14
	v_ffbh_u32_e32 v28, v24
	v_min_u32_e32 v30, 32, v28
	v_subrev_u32_e32 v28, 28, v30
	v_lshlrev_b64 v[28:29], v28, v[14:15]
	v_lshrrev_b32_e32 v27, 3, v26
	v_sub_u32_e32 v14, 29, v30
	v_and_b32_e32 v28, 7, v28
	v_cmp_gt_u32_e32 vcc, 8, v26
	v_cndmask_b32_e32 v14, v27, v14, vcc
	v_cndmask_b32_e32 v24, v24, v28, vcc
	v_lshlrev_b32_e32 v25, 24, v25
	v_lshlrev_b32_e32 v24, 20, v24
	v_and_b32_e32 v25, 0x80000000, v25
	v_lshl_add_u32 v14, v14, 23, v0
	v_or3_b32 v24, v25, v14, v24
.LBB2_3077:                             ;   in Loop: Header=BB2_3073 Depth=3
	s_or_b64 exec, exec, s[68:69]
.LBB2_3078:                             ;   in Loop: Header=BB2_3073 Depth=3
	s_or_b64 exec, exec, s[66:67]
.LBB2_3079:                             ;   in Loop: Header=BB2_3073 Depth=3
	s_or_b64 exec, exec, s[28:29]
	v_and_b32_e32 v14, 0xff, v7
	v_cmp_ne_u16_e32 vcc, 0, v14
	s_and_saveexec_b64 s[28:29], vcc
	s_cbranch_execz .LBB2_3085
; %bb.3080:                             ;   in Loop: Header=BB2_3073 Depth=3
	v_cmp_ne_u16_e32 vcc, s91, v14
	v_bfrev_b32_e32 v15, 1
	s_and_saveexec_b64 s[66:67], vcc
	s_cbranch_execz .LBB2_3084
; %bb.3081:                             ;   in Loop: Header=BB2_3073 Depth=3
	v_and_b32_e32 v25, 0x7f, v7
	v_cmp_ne_u32_e32 vcc, s92, v25
	v_mov_b32_e32 v15, 0x7f800001
	s_and_saveexec_b64 s[68:69], vcc
	s_cbranch_execz .LBB2_3083
; %bb.3082:                             ;   in Loop: Header=BB2_3073 Depth=3
	v_and_b32_e32 v26, 7, v14
	v_ffbh_u32_e32 v15, v26
	v_min_u32_e32 v28, 32, v15
	v_subrev_u32_e32 v15, 28, v28
	v_lshlrev_b64 v[14:15], v15, v[14:15]
	v_lshrrev_b32_e32 v27, 3, v25
	v_sub_u32_e32 v15, 29, v28
	v_and_b32_e32 v14, 7, v14
	v_cmp_gt_u32_e32 vcc, 8, v25
	v_cndmask_b32_e32 v15, v27, v15, vcc
	v_cndmask_b32_e32 v14, v26, v14, vcc
	v_lshlrev_b32_e32 v7, 24, v7
	v_lshlrev_b32_e32 v14, 20, v14
	v_and_b32_e32 v7, 0x80000000, v7
	v_lshl_add_u32 v15, v15, 23, v0
	v_or3_b32 v15, v7, v15, v14
.LBB2_3083:                             ;   in Loop: Header=BB2_3073 Depth=3
	s_or_b64 exec, exec, s[68:69]
.LBB2_3084:                             ;   in Loop: Header=BB2_3073 Depth=3
	s_or_b64 exec, exec, s[66:67]
.LBB2_3085:                             ;   in Loop: Header=BB2_3073 Depth=3
	s_or_b64 exec, exec, s[28:29]
	v_add_f32_e32 v14, v24, v15
	v_and_b32_sdwa v24, v14, s91 dst_sel:DWORD dst_unused:UNUSED_PAD src0_sel:BYTE_3 src1_sel:DWORD
	v_and_b32_e32 v26, 0x7f800000, v14
	v_mov_b32_e32 v27, v61
	v_and_b32_e32 v60, 0x7fffff, v14
	v_or_b32_e32 v7, 0x7e, v24
	v_cmp_ne_u64_e32 vcc, s[54:55], v[26:27]
	s_and_saveexec_b64 s[28:29], vcc
	s_xor_b64 s[66:67], exec, s[28:29]
	s_cbranch_execz .LBB2_3099
; %bb.3086:                             ;   in Loop: Header=BB2_3073 Depth=3
	v_and_b32_e32 v26, 0x7fffffff, v14
	v_mov_b32_e32 v27, v61
	v_cmp_gt_u64_e32 vcc, s[56:57], v[26:27]
	s_and_saveexec_b64 s[28:29], vcc
	s_xor_b64 s[68:69], exec, s[28:29]
	s_cbranch_execz .LBB2_3098
; %bb.3087:                             ;   in Loop: Header=BB2_3073 Depth=3
	v_cmp_ne_u32_e32 vcc, 0, v14
	v_mov_b32_e32 v7, 0
	s_and_saveexec_b64 s[70:71], vcc
	s_cbranch_execz .LBB2_3097
; %bb.3088:                             ;   in Loop: Header=BB2_3073 Depth=3
	v_bfe_u32 v7, v14, 23, 8
	v_sub_u32_e32 v15, 0x79, v7
	v_cmp_gt_u32_e32 vcc, s93, v7
	v_add_u32_e32 v14, 0xffffff81, v7
	v_cndmask_b32_e32 v15, 0, v15, vcc
	v_cmp_eq_u32_e32 vcc, 0, v7
	v_mov_b32_e32 v7, 0xffffff82
	v_cndmask_b32_e32 v7, v14, v7, vcc
	v_mov_b32_e32 v14, 0x78
	v_or_b32_e32 v25, 0x800000, v60
	v_cndmask_b32_e32 v26, v15, v14, vcc
	v_cndmask_b32_e32 v60, v25, v60, vcc
	v_add_u32_e32 v14, 20, v26
	v_lshlrev_b64 v[14:15], v14, -1
	v_add_u32_e32 v25, 19, v26
	v_lshrrev_b64 v[30:31], v26, v[60:61]
	v_not_b32_e32 v15, v15
	v_not_b32_e32 v14, v14
	v_lshlrev_b64 v[28:29], v25, 1
	v_lshrrev_b32_e32 v25, 23, v30
	v_and_b32_e32 v15, 0, v15
	v_and_b32_e32 v14, v60, v14
	v_add3_u32 v26, v26, v7, v25
	v_bfe_u32 v25, v30, 20, 1
	v_add_u32_e32 v25, -1, v25
	v_cmp_eq_u64_e32 vcc, v[14:15], v[28:29]
	v_cndmask_b32_e32 v14, 0, v25, vcc
	v_add_u32_e32 v14, v14, v30
	v_and_b32_e32 v14, 0xfffff, v14
	v_add_co_u32_e32 v14, vcc, v14, v30
	v_add_u32_e32 v7, 6, v26
	v_addc_co_u32_e32 v15, vcc, 0, v31, vcc
	v_cmp_ne_u32_e32 vcc, 0, v7
                                        ; implicit-def: $vgpr25
	s_and_saveexec_b64 s[28:29], vcc
	s_xor_b64 s[28:29], exec, s[28:29]
; %bb.3089:                             ;   in Loop: Header=BB2_3073 Depth=3
	v_add_u32_e32 v25, 7, v26
	v_cmp_lt_u64_e32 vcc, s[58:59], v[14:15]
	v_cndmask_b32_e32 v25, v7, v25, vcc
	v_cndmask_b32_e64 v7, 0, 1, vcc
	v_lshrrev_b64 v[14:15], v7, v[14:15]
; %bb.3090:                             ;   in Loop: Header=BB2_3073 Depth=3
	s_andn2_saveexec_b64 s[28:29], s[28:29]
; %bb.3091:                             ;   in Loop: Header=BB2_3073 Depth=3
	v_bfe_u32 v25, v14, 23, 1
; %bb.3092:                             ;   in Loop: Header=BB2_3073 Depth=3
	s_or_b64 exec, exec, s[28:29]
	v_lshrrev_b64 v[14:15], 20, v[14:15]
	v_cmp_gt_i32_e32 vcc, 16, v25
	v_cndmask_b32_e32 v15, 0, v15, vcc
	v_cndmask_b32_e32 v14, 7, v14, vcc
	v_cmp_ne_u32_e32 vcc, 0, v25
	v_cmp_ne_u64_e64 s[28:29], 0, v[14:15]
	s_or_b64 s[28:29], vcc, s[28:29]
                                        ; implicit-def: $vgpr7
	s_and_saveexec_b64 vcc, s[28:29]
	s_xor_b64 s[28:29], exec, vcc
; %bb.3093:                             ;   in Loop: Header=BB2_3073 Depth=3
	v_min_i32_e32 v7, 15, v25
	v_lshl_or_b32 v7, v7, 3, v24
	v_and_or_b32 v7, v14, 7, v7
                                        ; implicit-def: $vgpr24
; %bb.3094:                             ;   in Loop: Header=BB2_3073 Depth=3
	s_andn2_saveexec_b64 s[28:29], s[28:29]
; %bb.3095:                             ;   in Loop: Header=BB2_3073 Depth=3
	v_mov_b32_e32 v7, v24
; %bb.3096:                             ;   in Loop: Header=BB2_3073 Depth=3
	s_or_b64 exec, exec, s[28:29]
.LBB2_3097:                             ;   in Loop: Header=BB2_3073 Depth=3
	s_or_b64 exec, exec, s[70:71]
.LBB2_3098:                             ;   in Loop: Header=BB2_3073 Depth=3
	s_andn2_saveexec_b64 s[28:29], s[68:69]
	s_or_b64 exec, exec, s[28:29]
                                        ; implicit-def: $vgpr14
.LBB2_3099:                             ;   in Loop: Header=BB2_3073 Depth=3
	s_andn2_saveexec_b64 s[28:29], s[66:67]
; %bb.3100:                             ;   in Loop: Header=BB2_3073 Depth=3
	v_or_b32_sdwa v14, v14, s92 dst_sel:DWORD dst_unused:UNUSED_PAD src0_sel:BYTE_3 src1_sel:DWORD
	v_cmp_eq_u64_e32 vcc, 0, v[60:61]
	v_cndmask_b32_e32 v7, v14, v7, vcc
; %bb.3101:                             ;   in Loop: Header=BB2_3073 Depth=3
	s_or_b64 exec, exec, s[28:29]
	v_and_b32_e32 v14, 0xff, v23
	v_cmp_ne_u16_e32 vcc, 0, v14
	v_mov_b32_e32 v15, 0
	v_mov_b32_e32 v24, 0
	s_and_saveexec_b64 s[28:29], vcc
	s_cbranch_execz .LBB2_3107
; %bb.3102:                             ;   in Loop: Header=BB2_3073 Depth=3
	v_cmp_ne_u16_e32 vcc, s91, v14
	v_bfrev_b32_e32 v24, 1
	s_and_saveexec_b64 s[66:67], vcc
	s_cbranch_execz .LBB2_3106
; %bb.3103:                             ;   in Loop: Header=BB2_3073 Depth=3
	v_and_b32_e32 v25, 0x7f, v23
	v_cmp_ne_u32_e32 vcc, s92, v25
	v_mov_b32_e32 v24, 0x7f800001
	s_and_saveexec_b64 s[68:69], vcc
	s_cbranch_execz .LBB2_3105
; %bb.3104:                             ;   in Loop: Header=BB2_3073 Depth=3
	v_and_b32_e32 v24, 7, v14
	v_ffbh_u32_e32 v26, v24
	v_min_u32_e32 v29, 32, v26
	v_subrev_u32_e32 v26, 28, v29
	v_lshlrev_b64 v[26:27], v26, v[14:15]
	v_lshrrev_b32_e32 v28, 3, v25
	v_sub_u32_e32 v14, 29, v29
	v_and_b32_e32 v26, 7, v26
	v_cmp_gt_u32_e32 vcc, 8, v25
	v_cndmask_b32_e32 v14, v28, v14, vcc
	v_cndmask_b32_e32 v24, v24, v26, vcc
	v_lshlrev_b32_e32 v23, 24, v23
	v_lshlrev_b32_e32 v24, 20, v24
	v_and_b32_e32 v23, 0x80000000, v23
	v_lshl_add_u32 v14, v14, 23, v0
	v_or3_b32 v24, v23, v14, v24
.LBB2_3105:                             ;   in Loop: Header=BB2_3073 Depth=3
	s_or_b64 exec, exec, s[68:69]
.LBB2_3106:                             ;   in Loop: Header=BB2_3073 Depth=3
	s_or_b64 exec, exec, s[66:67]
.LBB2_3107:                             ;   in Loop: Header=BB2_3073 Depth=3
	s_or_b64 exec, exec, s[28:29]
	v_and_b32_e32 v14, 0xff, v20
	v_cmp_ne_u16_e32 vcc, 0, v14
	s_and_saveexec_b64 s[28:29], vcc
	s_cbranch_execz .LBB2_3113
; %bb.3108:                             ;   in Loop: Header=BB2_3073 Depth=3
	v_cmp_ne_u16_e32 vcc, s91, v14
	v_bfrev_b32_e32 v15, 1
	s_and_saveexec_b64 s[66:67], vcc
	s_cbranch_execz .LBB2_3112
; %bb.3109:                             ;   in Loop: Header=BB2_3073 Depth=3
	v_and_b32_e32 v23, 0x7f, v20
	v_cmp_ne_u32_e32 vcc, s92, v23
	v_mov_b32_e32 v15, 0x7f800001
	s_and_saveexec_b64 s[68:69], vcc
	s_cbranch_execz .LBB2_3111
; %bb.3110:                             ;   in Loop: Header=BB2_3073 Depth=3
	v_and_b32_e32 v25, 7, v14
	v_ffbh_u32_e32 v15, v25
	v_min_u32_e32 v27, 32, v15
	v_subrev_u32_e32 v15, 28, v27
	v_lshlrev_b64 v[14:15], v15, v[14:15]
	v_lshrrev_b32_e32 v26, 3, v23
	v_sub_u32_e32 v15, 29, v27
	v_and_b32_e32 v14, 7, v14
	v_cmp_gt_u32_e32 vcc, 8, v23
	v_cndmask_b32_e32 v15, v26, v15, vcc
	v_cndmask_b32_e32 v14, v25, v14, vcc
	v_lshlrev_b32_e32 v20, 24, v20
	v_lshlrev_b32_e32 v14, 20, v14
	v_and_b32_e32 v20, 0x80000000, v20
	v_lshl_add_u32 v15, v15, 23, v0
	v_or3_b32 v15, v20, v15, v14
.LBB2_3111:                             ;   in Loop: Header=BB2_3073 Depth=3
	s_or_b64 exec, exec, s[68:69]
.LBB2_3112:                             ;   in Loop: Header=BB2_3073 Depth=3
	s_or_b64 exec, exec, s[66:67]
.LBB2_3113:                             ;   in Loop: Header=BB2_3073 Depth=3
	s_or_b64 exec, exec, s[28:29]
	v_add_f32_e32 v14, v24, v15
	v_and_b32_sdwa v23, v14, s91 dst_sel:DWORD dst_unused:UNUSED_PAD src0_sel:BYTE_3 src1_sel:DWORD
	v_and_b32_e32 v24, 0x7f800000, v14
	v_mov_b32_e32 v25, v61
	v_and_b32_e32 v60, 0x7fffff, v14
	v_or_b32_e32 v20, 0x7e, v23
	v_cmp_ne_u64_e32 vcc, s[54:55], v[24:25]
	s_and_saveexec_b64 s[28:29], vcc
	s_xor_b64 s[66:67], exec, s[28:29]
	s_cbranch_execz .LBB2_3127
; %bb.3114:                             ;   in Loop: Header=BB2_3073 Depth=3
	v_and_b32_e32 v24, 0x7fffffff, v14
	v_mov_b32_e32 v25, v61
	v_cmp_gt_u64_e32 vcc, s[56:57], v[24:25]
	s_and_saveexec_b64 s[28:29], vcc
	s_xor_b64 s[68:69], exec, s[28:29]
	s_cbranch_execz .LBB2_3126
; %bb.3115:                             ;   in Loop: Header=BB2_3073 Depth=3
	v_cmp_ne_u32_e32 vcc, 0, v14
	v_mov_b32_e32 v20, 0
	s_and_saveexec_b64 s[70:71], vcc
	s_cbranch_execz .LBB2_3125
; %bb.3116:                             ;   in Loop: Header=BB2_3073 Depth=3
	v_bfe_u32 v14, v14, 23, 8
	v_sub_u32_e32 v20, 0x79, v14
	v_cmp_gt_u32_e32 vcc, s93, v14
	v_add_u32_e32 v15, 0xffffff81, v14
	v_cndmask_b32_e32 v20, 0, v20, vcc
	v_cmp_eq_u32_e32 vcc, 0, v14
	v_mov_b32_e32 v14, 0xffffff82
	v_cndmask_b32_e32 v25, v15, v14, vcc
	v_mov_b32_e32 v14, 0x78
	v_or_b32_e32 v24, 0x800000, v60
	v_cndmask_b32_e32 v20, v20, v14, vcc
	v_cndmask_b32_e32 v60, v24, v60, vcc
	v_add_u32_e32 v14, 20, v20
	v_lshlrev_b64 v[14:15], v14, -1
	v_add_u32_e32 v24, 19, v20
	v_lshrrev_b64 v[28:29], v20, v[60:61]
	v_not_b32_e32 v15, v15
	v_not_b32_e32 v14, v14
	v_lshlrev_b64 v[26:27], v24, 1
	v_lshrrev_b32_e32 v24, 23, v28
	v_and_b32_e32 v15, 0, v15
	v_and_b32_e32 v14, v60, v14
	v_add3_u32 v25, v20, v25, v24
	v_bfe_u32 v24, v28, 20, 1
	v_add_u32_e32 v24, -1, v24
	v_cmp_eq_u64_e32 vcc, v[14:15], v[26:27]
	v_cndmask_b32_e32 v14, 0, v24, vcc
	v_add_u32_e32 v14, v14, v28
	v_and_b32_e32 v14, 0xfffff, v14
	v_add_co_u32_e32 v14, vcc, v14, v28
	v_add_u32_e32 v20, 6, v25
	v_addc_co_u32_e32 v15, vcc, 0, v29, vcc
	v_cmp_ne_u32_e32 vcc, 0, v20
                                        ; implicit-def: $vgpr24
	s_and_saveexec_b64 s[28:29], vcc
	s_xor_b64 s[28:29], exec, s[28:29]
; %bb.3117:                             ;   in Loop: Header=BB2_3073 Depth=3
	v_add_u32_e32 v24, 7, v25
	v_cmp_lt_u64_e32 vcc, s[58:59], v[14:15]
	v_cndmask_b32_e32 v24, v20, v24, vcc
	v_cndmask_b32_e64 v20, 0, 1, vcc
	v_lshrrev_b64 v[14:15], v20, v[14:15]
; %bb.3118:                             ;   in Loop: Header=BB2_3073 Depth=3
	s_andn2_saveexec_b64 s[28:29], s[28:29]
; %bb.3119:                             ;   in Loop: Header=BB2_3073 Depth=3
	v_bfe_u32 v24, v14, 23, 1
; %bb.3120:                             ;   in Loop: Header=BB2_3073 Depth=3
	s_or_b64 exec, exec, s[28:29]
	v_lshrrev_b64 v[14:15], 20, v[14:15]
	v_cmp_gt_i32_e32 vcc, 16, v24
	v_cndmask_b32_e32 v15, 0, v15, vcc
	v_cndmask_b32_e32 v14, 7, v14, vcc
	v_cmp_ne_u32_e32 vcc, 0, v24
	v_cmp_ne_u64_e64 s[28:29], 0, v[14:15]
	s_or_b64 s[28:29], vcc, s[28:29]
                                        ; implicit-def: $vgpr20
	s_and_saveexec_b64 vcc, s[28:29]
	s_xor_b64 s[28:29], exec, vcc
; %bb.3121:                             ;   in Loop: Header=BB2_3073 Depth=3
	v_min_i32_e32 v15, 15, v24
	v_lshl_or_b32 v15, v15, 3, v23
	v_and_or_b32 v20, v14, 7, v15
                                        ; implicit-def: $vgpr23
; %bb.3122:                             ;   in Loop: Header=BB2_3073 Depth=3
	s_andn2_saveexec_b64 s[28:29], s[28:29]
; %bb.3123:                             ;   in Loop: Header=BB2_3073 Depth=3
	v_mov_b32_e32 v20, v23
; %bb.3124:                             ;   in Loop: Header=BB2_3073 Depth=3
	s_or_b64 exec, exec, s[28:29]
.LBB2_3125:                             ;   in Loop: Header=BB2_3073 Depth=3
	s_or_b64 exec, exec, s[70:71]
.LBB2_3126:                             ;   in Loop: Header=BB2_3073 Depth=3
	s_andn2_saveexec_b64 s[28:29], s[68:69]
	s_or_b64 exec, exec, s[28:29]
                                        ; implicit-def: $vgpr14
.LBB2_3127:                             ;   in Loop: Header=BB2_3073 Depth=3
	s_andn2_saveexec_b64 s[28:29], s[66:67]
; %bb.3128:                             ;   in Loop: Header=BB2_3073 Depth=3
	v_or_b32_sdwa v14, v14, s92 dst_sel:DWORD dst_unused:UNUSED_PAD src0_sel:BYTE_3 src1_sel:DWORD
	v_cmp_eq_u64_e32 vcc, 0, v[60:61]
	v_cndmask_b32_e32 v20, v14, v20, vcc
; %bb.3129:                             ;   in Loop: Header=BB2_3073 Depth=3
	s_or_b64 exec, exec, s[28:29]
	v_and_b32_e32 v14, 0xff, v22
	v_cmp_ne_u16_e32 vcc, 0, v14
	v_mov_b32_e32 v15, 0
	v_mov_b32_e32 v23, 0
	s_and_saveexec_b64 s[28:29], vcc
	s_cbranch_execz .LBB2_3135
; %bb.3130:                             ;   in Loop: Header=BB2_3073 Depth=3
	v_cmp_ne_u16_e32 vcc, s91, v14
	v_bfrev_b32_e32 v23, 1
	s_and_saveexec_b64 s[66:67], vcc
	s_cbranch_execz .LBB2_3134
; %bb.3131:                             ;   in Loop: Header=BB2_3073 Depth=3
	v_and_b32_e32 v24, 0x7f, v22
	v_cmp_ne_u32_e32 vcc, s92, v24
	v_mov_b32_e32 v23, 0x7f800001
	s_and_saveexec_b64 s[68:69], vcc
	s_cbranch_execz .LBB2_3133
; %bb.3132:                             ;   in Loop: Header=BB2_3073 Depth=3
	v_and_b32_e32 v23, 7, v14
	v_ffbh_u32_e32 v26, v23
	v_min_u32_e32 v28, 32, v26
	v_subrev_u32_e32 v26, 28, v28
	v_lshlrev_b64 v[26:27], v26, v[14:15]
	v_lshrrev_b32_e32 v25, 3, v24
	v_sub_u32_e32 v14, 29, v28
	v_and_b32_e32 v26, 7, v26
	v_cmp_gt_u32_e32 vcc, 8, v24
	v_cndmask_b32_e32 v14, v25, v14, vcc
	v_cndmask_b32_e32 v23, v23, v26, vcc
	v_lshlrev_b32_e32 v22, 24, v22
	v_lshlrev_b32_e32 v23, 20, v23
	v_and_b32_e32 v22, 0x80000000, v22
	v_lshl_add_u32 v14, v14, 23, v0
	v_or3_b32 v23, v22, v14, v23
.LBB2_3133:                             ;   in Loop: Header=BB2_3073 Depth=3
	s_or_b64 exec, exec, s[68:69]
.LBB2_3134:                             ;   in Loop: Header=BB2_3073 Depth=3
	s_or_b64 exec, exec, s[66:67]
.LBB2_3135:                             ;   in Loop: Header=BB2_3073 Depth=3
	s_or_b64 exec, exec, s[28:29]
	v_and_b32_e32 v14, 0xff, v21
	v_cmp_ne_u16_e32 vcc, 0, v14
	s_and_saveexec_b64 s[28:29], vcc
	s_cbranch_execz .LBB2_3141
; %bb.3136:                             ;   in Loop: Header=BB2_3073 Depth=3
	v_cmp_ne_u16_e32 vcc, s91, v14
	v_bfrev_b32_e32 v15, 1
	s_and_saveexec_b64 s[66:67], vcc
	s_cbranch_execz .LBB2_3140
; %bb.3137:                             ;   in Loop: Header=BB2_3073 Depth=3
	v_and_b32_e32 v22, 0x7f, v21
	v_cmp_ne_u32_e32 vcc, s92, v22
	v_mov_b32_e32 v15, 0x7f800001
	s_and_saveexec_b64 s[68:69], vcc
	s_cbranch_execz .LBB2_3139
; %bb.3138:                             ;   in Loop: Header=BB2_3073 Depth=3
	v_and_b32_e32 v24, 7, v14
	v_ffbh_u32_e32 v15, v24
	v_min_u32_e32 v26, 32, v15
	v_subrev_u32_e32 v15, 28, v26
	v_lshlrev_b64 v[14:15], v15, v[14:15]
	v_lshrrev_b32_e32 v25, 3, v22
	v_sub_u32_e32 v15, 29, v26
	v_and_b32_e32 v14, 7, v14
	v_cmp_gt_u32_e32 vcc, 8, v22
	v_cndmask_b32_e32 v15, v25, v15, vcc
	v_cndmask_b32_e32 v14, v24, v14, vcc
	v_lshlrev_b32_e32 v21, 24, v21
	v_lshlrev_b32_e32 v14, 20, v14
	v_and_b32_e32 v21, 0x80000000, v21
	v_lshl_add_u32 v15, v15, 23, v0
	v_or3_b32 v15, v21, v15, v14
.LBB2_3139:                             ;   in Loop: Header=BB2_3073 Depth=3
	s_or_b64 exec, exec, s[68:69]
.LBB2_3140:                             ;   in Loop: Header=BB2_3073 Depth=3
	s_or_b64 exec, exec, s[66:67]
.LBB2_3141:                             ;   in Loop: Header=BB2_3073 Depth=3
	s_or_b64 exec, exec, s[28:29]
	v_add_f32_e32 v14, v23, v15
	v_and_b32_sdwa v22, v14, s91 dst_sel:DWORD dst_unused:UNUSED_PAD src0_sel:BYTE_3 src1_sel:DWORD
	v_and_b32_e32 v24, 0x7f800000, v14
	v_mov_b32_e32 v25, v61
	v_and_b32_e32 v60, 0x7fffff, v14
	v_or_b32_e32 v21, 0x7e, v22
	v_cmp_ne_u64_e32 vcc, s[54:55], v[24:25]
	s_and_saveexec_b64 s[28:29], vcc
	s_xor_b64 s[66:67], exec, s[28:29]
	s_cbranch_execz .LBB2_3155
; %bb.3142:                             ;   in Loop: Header=BB2_3073 Depth=3
	v_and_b32_e32 v24, 0x7fffffff, v14
	v_mov_b32_e32 v25, v61
	v_cmp_gt_u64_e32 vcc, s[56:57], v[24:25]
	s_and_saveexec_b64 s[28:29], vcc
	s_xor_b64 s[68:69], exec, s[28:29]
	s_cbranch_execz .LBB2_3154
; %bb.3143:                             ;   in Loop: Header=BB2_3073 Depth=3
	v_cmp_ne_u32_e32 vcc, 0, v14
	v_mov_b32_e32 v21, 0
	s_and_saveexec_b64 s[70:71], vcc
	s_cbranch_execz .LBB2_3153
; %bb.3144:                             ;   in Loop: Header=BB2_3073 Depth=3
	v_bfe_u32 v14, v14, 23, 8
	v_sub_u32_e32 v21, 0x79, v14
	v_cmp_gt_u32_e32 vcc, s93, v14
	v_add_u32_e32 v15, 0xffffff81, v14
	v_cndmask_b32_e32 v21, 0, v21, vcc
	v_cmp_eq_u32_e32 vcc, 0, v14
	v_mov_b32_e32 v14, 0xffffff82
	v_cndmask_b32_e32 v24, v15, v14, vcc
	v_mov_b32_e32 v14, 0x78
	v_or_b32_e32 v23, 0x800000, v60
	v_cndmask_b32_e32 v21, v21, v14, vcc
	v_cndmask_b32_e32 v60, v23, v60, vcc
	v_add_u32_e32 v14, 20, v21
	v_lshlrev_b64 v[14:15], v14, -1
	v_add_u32_e32 v23, 19, v21
	v_lshrrev_b64 v[28:29], v21, v[60:61]
	v_not_b32_e32 v15, v15
	v_not_b32_e32 v14, v14
	v_lshlrev_b64 v[26:27], v23, 1
	v_lshrrev_b32_e32 v23, 23, v28
	v_and_b32_e32 v15, 0, v15
	v_and_b32_e32 v14, v60, v14
	v_add3_u32 v24, v21, v24, v23
	v_bfe_u32 v23, v28, 20, 1
	v_add_u32_e32 v23, -1, v23
	v_cmp_eq_u64_e32 vcc, v[14:15], v[26:27]
	v_cndmask_b32_e32 v14, 0, v23, vcc
	v_add_u32_e32 v14, v14, v28
	v_and_b32_e32 v14, 0xfffff, v14
	v_add_co_u32_e32 v14, vcc, v14, v28
	v_add_u32_e32 v21, 6, v24
	v_addc_co_u32_e32 v15, vcc, 0, v29, vcc
	v_cmp_ne_u32_e32 vcc, 0, v21
                                        ; implicit-def: $vgpr23
	s_and_saveexec_b64 s[28:29], vcc
	s_xor_b64 s[28:29], exec, s[28:29]
; %bb.3145:                             ;   in Loop: Header=BB2_3073 Depth=3
	v_add_u32_e32 v23, 7, v24
	v_cmp_lt_u64_e32 vcc, s[58:59], v[14:15]
	v_cndmask_b32_e32 v23, v21, v23, vcc
	v_cndmask_b32_e64 v21, 0, 1, vcc
	v_lshrrev_b64 v[14:15], v21, v[14:15]
; %bb.3146:                             ;   in Loop: Header=BB2_3073 Depth=3
	s_andn2_saveexec_b64 s[28:29], s[28:29]
; %bb.3147:                             ;   in Loop: Header=BB2_3073 Depth=3
	v_bfe_u32 v23, v14, 23, 1
; %bb.3148:                             ;   in Loop: Header=BB2_3073 Depth=3
	s_or_b64 exec, exec, s[28:29]
	v_lshrrev_b64 v[14:15], 20, v[14:15]
	v_cmp_gt_i32_e32 vcc, 16, v23
	v_cndmask_b32_e32 v15, 0, v15, vcc
	v_cndmask_b32_e32 v14, 7, v14, vcc
	v_cmp_ne_u32_e32 vcc, 0, v23
	v_cmp_ne_u64_e64 s[28:29], 0, v[14:15]
	s_or_b64 s[28:29], vcc, s[28:29]
                                        ; implicit-def: $vgpr21
	s_and_saveexec_b64 vcc, s[28:29]
	s_xor_b64 s[28:29], exec, vcc
; %bb.3149:                             ;   in Loop: Header=BB2_3073 Depth=3
	v_min_i32_e32 v15, 15, v23
	v_lshl_or_b32 v15, v15, 3, v22
	v_and_or_b32 v21, v14, 7, v15
                                        ; implicit-def: $vgpr22
; %bb.3150:                             ;   in Loop: Header=BB2_3073 Depth=3
	s_andn2_saveexec_b64 s[28:29], s[28:29]
; %bb.3151:                             ;   in Loop: Header=BB2_3073 Depth=3
	v_mov_b32_e32 v21, v22
; %bb.3152:                             ;   in Loop: Header=BB2_3073 Depth=3
	s_or_b64 exec, exec, s[28:29]
.LBB2_3153:                             ;   in Loop: Header=BB2_3073 Depth=3
	s_or_b64 exec, exec, s[70:71]
.LBB2_3154:                             ;   in Loop: Header=BB2_3073 Depth=3
	s_andn2_saveexec_b64 s[28:29], s[68:69]
	s_or_b64 exec, exec, s[28:29]
                                        ; implicit-def: $vgpr14
.LBB2_3155:                             ;   in Loop: Header=BB2_3073 Depth=3
	s_andn2_saveexec_b64 s[28:29], s[66:67]
; %bb.3156:                             ;   in Loop: Header=BB2_3073 Depth=3
	v_or_b32_sdwa v14, v14, s92 dst_sel:DWORD dst_unused:UNUSED_PAD src0_sel:BYTE_3 src1_sel:DWORD
	v_cmp_eq_u64_e32 vcc, 0, v[60:61]
	v_cndmask_b32_e32 v21, v14, v21, vcc
; %bb.3157:                             ;   in Loop: Header=BB2_3073 Depth=3
	s_or_b64 exec, exec, s[28:29]
	v_and_b32_e32 v14, 0xff, v19
	v_cmp_ne_u16_e32 vcc, 0, v14
	v_mov_b32_e32 v15, 0
	v_mov_b32_e32 v22, 0
	s_and_saveexec_b64 s[28:29], vcc
	s_cbranch_execz .LBB2_3163
; %bb.3158:                             ;   in Loop: Header=BB2_3073 Depth=3
	v_cmp_ne_u16_e32 vcc, s91, v14
	v_bfrev_b32_e32 v22, 1
	s_and_saveexec_b64 s[66:67], vcc
	s_cbranch_execz .LBB2_3162
; %bb.3159:                             ;   in Loop: Header=BB2_3073 Depth=3
	v_and_b32_e32 v23, 0x7f, v19
	v_cmp_ne_u32_e32 vcc, s92, v23
	v_mov_b32_e32 v22, 0x7f800001
	s_and_saveexec_b64 s[68:69], vcc
	s_cbranch_execz .LBB2_3161
; %bb.3160:                             ;   in Loop: Header=BB2_3073 Depth=3
	v_and_b32_e32 v22, 7, v14
	v_ffbh_u32_e32 v24, v22
	v_min_u32_e32 v27, 32, v24
	v_subrev_u32_e32 v24, 28, v27
	v_lshlrev_b64 v[24:25], v24, v[14:15]
	v_lshrrev_b32_e32 v26, 3, v23
	v_sub_u32_e32 v14, 29, v27
	v_and_b32_e32 v24, 7, v24
	v_cmp_gt_u32_e32 vcc, 8, v23
	v_cndmask_b32_e32 v14, v26, v14, vcc
	v_cndmask_b32_e32 v22, v22, v24, vcc
	v_lshlrev_b32_e32 v19, 24, v19
	v_lshlrev_b32_e32 v22, 20, v22
	v_and_b32_e32 v19, 0x80000000, v19
	v_lshl_add_u32 v14, v14, 23, v0
	v_or3_b32 v22, v19, v14, v22
.LBB2_3161:                             ;   in Loop: Header=BB2_3073 Depth=3
	s_or_b64 exec, exec, s[68:69]
.LBB2_3162:                             ;   in Loop: Header=BB2_3073 Depth=3
	s_or_b64 exec, exec, s[66:67]
.LBB2_3163:                             ;   in Loop: Header=BB2_3073 Depth=3
	s_or_b64 exec, exec, s[28:29]
	v_and_b32_e32 v14, 0xff, v18
	v_cmp_ne_u16_e32 vcc, 0, v14
	s_and_saveexec_b64 s[28:29], vcc
	s_cbranch_execz .LBB2_3169
; %bb.3164:                             ;   in Loop: Header=BB2_3073 Depth=3
	v_cmp_ne_u16_e32 vcc, s91, v14
	v_bfrev_b32_e32 v15, 1
	s_and_saveexec_b64 s[66:67], vcc
	s_cbranch_execz .LBB2_3168
; %bb.3165:                             ;   in Loop: Header=BB2_3073 Depth=3
	v_and_b32_e32 v19, 0x7f, v18
	v_cmp_ne_u32_e32 vcc, s92, v19
	v_mov_b32_e32 v15, 0x7f800001
	s_and_saveexec_b64 s[68:69], vcc
	s_cbranch_execz .LBB2_3167
; %bb.3166:                             ;   in Loop: Header=BB2_3073 Depth=3
	v_and_b32_e32 v23, 7, v14
	v_ffbh_u32_e32 v15, v23
	v_min_u32_e32 v25, 32, v15
	v_subrev_u32_e32 v15, 28, v25
	v_lshlrev_b64 v[14:15], v15, v[14:15]
	v_lshrrev_b32_e32 v24, 3, v19
	v_sub_u32_e32 v15, 29, v25
	v_and_b32_e32 v14, 7, v14
	v_cmp_gt_u32_e32 vcc, 8, v19
	v_cndmask_b32_e32 v15, v24, v15, vcc
	v_cndmask_b32_e32 v14, v23, v14, vcc
	v_lshlrev_b32_e32 v18, 24, v18
	v_lshlrev_b32_e32 v14, 20, v14
	v_and_b32_e32 v18, 0x80000000, v18
	v_lshl_add_u32 v15, v15, 23, v0
	v_or3_b32 v15, v18, v15, v14
.LBB2_3167:                             ;   in Loop: Header=BB2_3073 Depth=3
	s_or_b64 exec, exec, s[68:69]
.LBB2_3168:                             ;   in Loop: Header=BB2_3073 Depth=3
	s_or_b64 exec, exec, s[66:67]
.LBB2_3169:                             ;   in Loop: Header=BB2_3073 Depth=3
	s_or_b64 exec, exec, s[28:29]
	v_add_f32_e32 v14, v22, v15
	v_and_b32_sdwa v18, v14, s91 dst_sel:DWORD dst_unused:UNUSED_PAD src0_sel:BYTE_3 src1_sel:DWORD
	v_and_b32_e32 v22, 0x7f800000, v14
	v_mov_b32_e32 v23, v61
	v_and_b32_e32 v60, 0x7fffff, v14
	v_or_b32_e32 v15, 0x7e, v18
	v_cmp_ne_u64_e32 vcc, s[54:55], v[22:23]
	s_and_saveexec_b64 s[28:29], vcc
	s_xor_b64 s[66:67], exec, s[28:29]
	s_cbranch_execz .LBB2_3183
; %bb.3170:                             ;   in Loop: Header=BB2_3073 Depth=3
	v_and_b32_e32 v22, 0x7fffffff, v14
	v_mov_b32_e32 v23, v61
	v_cmp_gt_u64_e32 vcc, s[56:57], v[22:23]
	s_and_saveexec_b64 s[28:29], vcc
	s_xor_b64 s[68:69], exec, s[28:29]
	s_cbranch_execz .LBB2_3182
; %bb.3171:                             ;   in Loop: Header=BB2_3073 Depth=3
	v_cmp_ne_u32_e32 vcc, 0, v14
	v_mov_b32_e32 v15, 0
	s_and_saveexec_b64 s[70:71], vcc
	s_cbranch_execz .LBB2_3181
; %bb.3172:                             ;   in Loop: Header=BB2_3073 Depth=3
	v_bfe_u32 v14, v14, 23, 8
	v_sub_u32_e32 v19, 0x79, v14
	v_cmp_gt_u32_e32 vcc, s93, v14
	v_add_u32_e32 v15, 0xffffff81, v14
	v_cndmask_b32_e32 v19, 0, v19, vcc
	v_cmp_eq_u32_e32 vcc, 0, v14
	v_mov_b32_e32 v14, 0xffffff82
	v_cndmask_b32_e32 v23, v15, v14, vcc
	v_mov_b32_e32 v14, 0x78
	v_or_b32_e32 v22, 0x800000, v60
	v_cndmask_b32_e32 v19, v19, v14, vcc
	v_cndmask_b32_e32 v60, v22, v60, vcc
	v_add_u32_e32 v14, 20, v19
	v_lshlrev_b64 v[14:15], v14, -1
	v_add_u32_e32 v22, 19, v19
	v_lshrrev_b64 v[26:27], v19, v[60:61]
	v_not_b32_e32 v15, v15
	v_not_b32_e32 v14, v14
	v_lshlrev_b64 v[24:25], v22, 1
	v_lshrrev_b32_e32 v22, 23, v26
	v_and_b32_e32 v15, 0, v15
	v_and_b32_e32 v14, v60, v14
	v_add3_u32 v23, v19, v23, v22
	v_bfe_u32 v19, v26, 20, 1
	v_add_u32_e32 v19, -1, v19
	v_cmp_eq_u64_e32 vcc, v[14:15], v[24:25]
	v_cndmask_b32_e32 v14, 0, v19, vcc
	v_add_u32_e32 v14, v14, v26
	v_and_b32_e32 v14, 0xfffff, v14
	v_add_co_u32_e32 v14, vcc, v14, v26
	v_add_u32_e32 v22, 6, v23
	v_addc_co_u32_e32 v15, vcc, 0, v27, vcc
	v_cmp_ne_u32_e32 vcc, 0, v22
                                        ; implicit-def: $vgpr19
	s_and_saveexec_b64 s[28:29], vcc
	s_xor_b64 s[28:29], exec, s[28:29]
; %bb.3173:                             ;   in Loop: Header=BB2_3073 Depth=3
	v_add_u32_e32 v19, 7, v23
	v_cmp_lt_u64_e32 vcc, s[58:59], v[14:15]
	v_cndmask_b32_e32 v19, v22, v19, vcc
	v_cndmask_b32_e64 v22, 0, 1, vcc
	v_lshrrev_b64 v[14:15], v22, v[14:15]
; %bb.3174:                             ;   in Loop: Header=BB2_3073 Depth=3
	s_andn2_saveexec_b64 s[28:29], s[28:29]
; %bb.3175:                             ;   in Loop: Header=BB2_3073 Depth=3
	v_bfe_u32 v19, v14, 23, 1
; %bb.3176:                             ;   in Loop: Header=BB2_3073 Depth=3
	s_or_b64 exec, exec, s[28:29]
	v_lshrrev_b64 v[14:15], 20, v[14:15]
	v_cmp_gt_i32_e32 vcc, 16, v19
	v_cndmask_b32_e32 v15, 0, v15, vcc
	v_cndmask_b32_e32 v14, 7, v14, vcc
	v_cmp_ne_u32_e32 vcc, 0, v19
	v_cmp_ne_u64_e64 s[28:29], 0, v[14:15]
	s_or_b64 s[28:29], vcc, s[28:29]
                                        ; implicit-def: $vgpr15
	s_and_saveexec_b64 vcc, s[28:29]
	s_xor_b64 s[28:29], exec, vcc
; %bb.3177:                             ;   in Loop: Header=BB2_3073 Depth=3
	v_min_i32_e32 v15, 15, v19
	v_lshl_or_b32 v15, v15, 3, v18
	v_and_or_b32 v15, v14, 7, v15
                                        ; implicit-def: $vgpr18
; %bb.3178:                             ;   in Loop: Header=BB2_3073 Depth=3
	s_andn2_saveexec_b64 s[28:29], s[28:29]
; %bb.3179:                             ;   in Loop: Header=BB2_3073 Depth=3
	v_mov_b32_e32 v15, v18
; %bb.3180:                             ;   in Loop: Header=BB2_3073 Depth=3
	s_or_b64 exec, exec, s[28:29]
.LBB2_3181:                             ;   in Loop: Header=BB2_3073 Depth=3
	s_or_b64 exec, exec, s[70:71]
.LBB2_3182:                             ;   in Loop: Header=BB2_3073 Depth=3
	s_andn2_saveexec_b64 s[28:29], s[68:69]
	s_or_b64 exec, exec, s[28:29]
                                        ; implicit-def: $vgpr14
.LBB2_3183:                             ;   in Loop: Header=BB2_3073 Depth=3
	s_andn2_saveexec_b64 s[28:29], s[66:67]
	s_cbranch_execz .LBB2_3072
; %bb.3184:                             ;   in Loop: Header=BB2_3073 Depth=3
	v_or_b32_sdwa v14, v14, s92 dst_sel:DWORD dst_unused:UNUSED_PAD src0_sel:BYTE_3 src1_sel:DWORD
	v_cmp_eq_u64_e32 vcc, 0, v[60:61]
	v_cndmask_b32_e32 v15, v14, v15, vcc
	s_branch .LBB2_3072
.LBB2_3185:                             ;   in Loop: Header=BB2_1783 Depth=2
	s_or_b64 exec, exec, s[36:37]
.LBB2_3186:                             ;   in Loop: Header=BB2_1783 Depth=2
	s_or_b64 exec, exec, s[30:31]
	v_lshlrev_b32_e32 v4, 8, v6
	v_cmp_ne_u32_e32 vcc, v16, v4
	s_and_saveexec_b64 s[36:37], vcc
	s_cbranch_execz .LBB2_3220
; %bb.3187:                             ;   in Loop: Header=BB2_1783 Depth=2
	v_add_u32_e32 v3, v17, v3
	v_and_b32_e32 v3, 0xffffffc0, v3
	v_sub_u32_e32 v3, v17, v3
	v_lshlrev_b32_e32 v2, 6, v2
	v_sub_u32_e32 v2, v3, v2
	v_add_u32_e32 v3, v4, v2
	v_sub_u32_e32 v2, v16, v3
	v_cmp_lt_i32_e32 vcc, 0, v2
	s_and_b64 exec, exec, vcc
	s_cbranch_execz .LBB2_3220
; %bb.3188:                             ;   in Loop: Header=BB2_1783 Depth=2
	s_trap 2
	ds_read_b128 v[4:7], v0
	v_add_u32_e32 v1, v3, v1
	v_ashrrev_i32_e32 v3, 31, v1
	s_mov_b64 s[66:67], 0
	s_waitcnt lgkmcnt(0)
	v_add_co_u32_e32 v4, vcc, v4, v1
	v_addc_co_u32_e32 v5, vcc, v5, v3, vcc
	v_add_co_u32_e32 v8, vcc, v6, v1
	v_addc_co_u32_e32 v9, vcc, v7, v3, vcc
	v_pk_mov_b32 v[10:11], v[4:5], v[4:5] op_sel:[0,1]
	v_pk_mov_b32 v[12:13], v[8:9], v[8:9] op_sel:[0,1]
.LBB2_3189:                             ;   Parent Loop BB2_47 Depth=1
                                        ;     Parent Loop BB2_1783 Depth=2
                                        ; =>    This Loop Header: Depth=3
                                        ;         Child Loop BB2_3218 Depth 4
	flat_load_ubyte v7, v[10:11] glc slc
	flat_load_ubyte v3, v[12:13] glc slc
	v_mov_b32_e32 v1, 0
	v_mov_b32_e32 v6, 0
	s_waitcnt vmcnt(0) lgkmcnt(0)
	v_cmp_ne_u16_e32 vcc, 0, v7
	s_and_saveexec_b64 s[28:29], vcc
	s_cbranch_execz .LBB2_3195
; %bb.3190:                             ;   in Loop: Header=BB2_3189 Depth=3
	v_cmp_ne_u16_e32 vcc, s91, v7
	v_bfrev_b32_e32 v6, 1
	s_and_saveexec_b64 s[30:31], vcc
	s_cbranch_execz .LBB2_3194
; %bb.3191:                             ;   in Loop: Header=BB2_3189 Depth=3
	v_and_b32_e32 v14, 0xffff, v7
	v_and_b32_e32 v15, 0x7f, v14
	v_cmp_ne_u32_e32 vcc, s92, v15
	v_mov_b32_e32 v6, 0x7f800001
	s_and_saveexec_b64 s[68:69], vcc
	s_cbranch_execz .LBB2_3193
; %bb.3192:                             ;   in Loop: Header=BB2_3189 Depth=3
	v_and_b32_e32 v6, 7, v14
	v_ffbh_u32_e32 v16, v6
	v_min_u32_e32 v19, 32, v16
	v_subrev_u32_e32 v16, 28, v19
	v_lshlrev_b64 v[16:17], v16, v[14:15]
	v_lshrrev_b32_e32 v18, 3, v15
	v_sub_u32_e32 v14, 29, v19
	v_and_b32_e32 v16, 7, v16
	v_cmp_gt_u32_e32 vcc, 8, v15
	v_cndmask_b32_e32 v14, v18, v14, vcc
	v_cndmask_b32_e32 v6, v6, v16, vcc
	v_lshlrev_b32_e32 v7, 24, v7
	v_lshlrev_b32_e32 v6, 20, v6
	v_and_b32_e32 v7, 0x80000000, v7
	v_lshl_add_u32 v14, v14, 23, v0
	v_or3_b32 v6, v7, v14, v6
.LBB2_3193:                             ;   in Loop: Header=BB2_3189 Depth=3
	s_or_b64 exec, exec, s[68:69]
.LBB2_3194:                             ;   in Loop: Header=BB2_3189 Depth=3
	s_or_b64 exec, exec, s[30:31]
.LBB2_3195:                             ;   in Loop: Header=BB2_3189 Depth=3
	s_or_b64 exec, exec, s[28:29]
	v_and_b32_e32 v14, 0xff, v3
	v_cmp_ne_u16_e32 vcc, 0, v14
	s_and_saveexec_b64 s[28:29], vcc
	s_cbranch_execz .LBB2_3201
; %bb.3196:                             ;   in Loop: Header=BB2_3189 Depth=3
	v_cmp_ne_u16_e32 vcc, s91, v14
	v_bfrev_b32_e32 v1, 1
	s_and_saveexec_b64 s[30:31], vcc
	s_cbranch_execz .LBB2_3200
; %bb.3197:                             ;   in Loop: Header=BB2_3189 Depth=3
	v_and_b32_e32 v7, 0x7f, v3
	v_cmp_ne_u32_e32 vcc, s92, v7
	v_mov_b32_e32 v1, 0x7f800001
	s_and_saveexec_b64 s[68:69], vcc
	s_cbranch_execz .LBB2_3199
; %bb.3198:                             ;   in Loop: Header=BB2_3189 Depth=3
	v_and_b32_e32 v1, 7, v14
	v_ffbh_u32_e32 v15, v1
	v_min_u32_e32 v17, 32, v15
	v_subrev_u32_e32 v15, 28, v17
	v_lshlrev_b64 v[14:15], v15, v[14:15]
	v_lshrrev_b32_e32 v16, 3, v7
	v_sub_u32_e32 v15, 29, v17
	v_and_b32_e32 v14, 7, v14
	v_cmp_gt_u32_e32 vcc, 8, v7
	v_lshlrev_b32_e32 v3, 24, v3
	v_cndmask_b32_e32 v7, v16, v15, vcc
	v_cndmask_b32_e32 v1, v1, v14, vcc
	v_and_b32_e32 v3, 0x80000000, v3
	v_lshlrev_b32_e32 v1, 20, v1
	v_lshl_add_u32 v7, v7, 23, v0
	v_or3_b32 v1, v3, v7, v1
.LBB2_3199:                             ;   in Loop: Header=BB2_3189 Depth=3
	s_or_b64 exec, exec, s[68:69]
.LBB2_3200:                             ;   in Loop: Header=BB2_3189 Depth=3
	s_or_b64 exec, exec, s[30:31]
.LBB2_3201:                             ;   in Loop: Header=BB2_3189 Depth=3
	s_or_b64 exec, exec, s[28:29]
	v_add_f32_e32 v6, v6, v1
	v_and_b32_sdwa v3, v6, s91 dst_sel:DWORD dst_unused:UNUSED_PAD src0_sel:BYTE_3 src1_sel:DWORD
	v_and_b32_e32 v14, 0x7f800000, v6
	v_mov_b32_e32 v15, v61
	v_and_b32_e32 v60, 0x7fffff, v6
	v_or_b32_e32 v1, 0x7e, v3
	v_cmp_ne_u64_e32 vcc, s[54:55], v[14:15]
	s_and_saveexec_b64 s[28:29], vcc
	s_xor_b64 s[30:31], exec, s[28:29]
	s_cbranch_execz .LBB2_3215
; %bb.3202:                             ;   in Loop: Header=BB2_3189 Depth=3
	v_and_b32_e32 v14, 0x7fffffff, v6
	v_mov_b32_e32 v15, v61
	v_cmp_gt_u64_e32 vcc, s[56:57], v[14:15]
	s_and_saveexec_b64 s[28:29], vcc
	s_xor_b64 s[68:69], exec, s[28:29]
	s_cbranch_execz .LBB2_3214
; %bb.3203:                             ;   in Loop: Header=BB2_3189 Depth=3
	v_cmp_ne_u32_e32 vcc, 0, v6
	v_mov_b32_e32 v1, 0
	s_and_saveexec_b64 s[70:71], vcc
	s_cbranch_execz .LBB2_3213
; %bb.3204:                             ;   in Loop: Header=BB2_3189 Depth=3
	v_bfe_u32 v1, v6, 23, 8
	v_sub_u32_e32 v7, 0x79, v1
	v_cmp_gt_u32_e32 vcc, s93, v1
	v_add_u32_e32 v6, 0xffffff81, v1
	v_cndmask_b32_e32 v7, 0, v7, vcc
	v_cmp_eq_u32_e32 vcc, 0, v1
	v_mov_b32_e32 v1, 0xffffff82
	v_cndmask_b32_e32 v1, v6, v1, vcc
	v_mov_b32_e32 v6, 0x78
	v_cndmask_b32_e32 v20, v7, v6, vcc
	v_add_u32_e32 v6, 20, v20
	v_or_b32_e32 v14, 0x800000, v60
	v_lshlrev_b64 v[6:7], v6, -1
	v_cndmask_b32_e32 v60, v14, v60, vcc
	v_not_b32_e32 v6, v6
	v_and_b32_e32 v14, v60, v6
	v_add_u32_e32 v6, 19, v20
	v_lshrrev_b64 v[18:19], v20, v[60:61]
	v_not_b32_e32 v7, v7
	v_lshlrev_b64 v[16:17], v6, 1
	v_lshrrev_b32_e32 v6, 23, v18
	v_and_b32_e32 v15, 0, v7
	v_add3_u32 v7, v20, v1, v6
	v_bfe_u32 v6, v18, 20, 1
	v_add_u32_e32 v6, -1, v6
	v_cmp_eq_u64_e32 vcc, v[14:15], v[16:17]
	v_cndmask_b32_e32 v6, 0, v6, vcc
	v_add_u32_e32 v6, v6, v18
	v_and_b32_e32 v6, 0xfffff, v6
	v_add_co_u32_e32 v14, vcc, v6, v18
	v_add_u32_e32 v1, 6, v7
	v_addc_co_u32_e32 v15, vcc, 0, v19, vcc
	v_cmp_ne_u32_e32 vcc, 0, v1
                                        ; implicit-def: $vgpr6
	s_and_saveexec_b64 s[28:29], vcc
	s_xor_b64 s[28:29], exec, s[28:29]
; %bb.3205:                             ;   in Loop: Header=BB2_3189 Depth=3
	v_add_u32_e32 v6, 7, v7
	v_cmp_lt_u64_e32 vcc, s[58:59], v[14:15]
	v_cndmask_b32_e32 v6, v1, v6, vcc
	v_cndmask_b32_e64 v1, 0, 1, vcc
	v_lshrrev_b64 v[14:15], v1, v[14:15]
; %bb.3206:                             ;   in Loop: Header=BB2_3189 Depth=3
	s_andn2_saveexec_b64 s[28:29], s[28:29]
; %bb.3207:                             ;   in Loop: Header=BB2_3189 Depth=3
	v_bfe_u32 v6, v14, 23, 1
; %bb.3208:                             ;   in Loop: Header=BB2_3189 Depth=3
	s_or_b64 exec, exec, s[28:29]
	v_lshrrev_b64 v[14:15], 20, v[14:15]
	v_cmp_gt_i32_e32 vcc, 16, v6
	v_cndmask_b32_e32 v15, 0, v15, vcc
	v_cndmask_b32_e32 v14, 7, v14, vcc
	v_cmp_ne_u32_e32 vcc, 0, v6
	v_cmp_ne_u64_e64 s[28:29], 0, v[14:15]
	s_or_b64 s[28:29], vcc, s[28:29]
                                        ; implicit-def: $vgpr1
	s_and_saveexec_b64 vcc, s[28:29]
	s_xor_b64 s[28:29], exec, vcc
; %bb.3209:                             ;   in Loop: Header=BB2_3189 Depth=3
	v_min_i32_e32 v1, 15, v6
	v_lshl_or_b32 v1, v1, 3, v3
	v_and_or_b32 v1, v14, 7, v1
                                        ; implicit-def: $vgpr3
; %bb.3210:                             ;   in Loop: Header=BB2_3189 Depth=3
	s_andn2_saveexec_b64 s[28:29], s[28:29]
; %bb.3211:                             ;   in Loop: Header=BB2_3189 Depth=3
	v_mov_b32_e32 v1, v3
; %bb.3212:                             ;   in Loop: Header=BB2_3189 Depth=3
	s_or_b64 exec, exec, s[28:29]
.LBB2_3213:                             ;   in Loop: Header=BB2_3189 Depth=3
	s_or_b64 exec, exec, s[70:71]
.LBB2_3214:                             ;   in Loop: Header=BB2_3189 Depth=3
	s_andn2_saveexec_b64 s[28:29], s[68:69]
	s_or_b64 exec, exec, s[28:29]
                                        ; implicit-def: $vgpr6
.LBB2_3215:                             ;   in Loop: Header=BB2_3189 Depth=3
	s_andn2_saveexec_b64 s[28:29], s[30:31]
; %bb.3216:                             ;   in Loop: Header=BB2_3189 Depth=3
	v_or_b32_sdwa v3, v6, s92 dst_sel:DWORD dst_unused:UNUSED_PAD src0_sel:BYTE_3 src1_sel:DWORD
	v_cmp_eq_u64_e32 vcc, 0, v[60:61]
	v_cndmask_b32_e32 v1, v3, v1, vcc
; %bb.3217:                             ;   in Loop: Header=BB2_3189 Depth=3
	s_or_b64 exec, exec, s[28:29]
	s_mov_b64 s[70:71], 0
	s_mov_b64 s[68:69], -1
.LBB2_3218:                             ;   Parent Loop BB2_47 Depth=1
                                        ;     Parent Loop BB2_1783 Depth=2
                                        ;       Parent Loop BB2_3189 Depth=3
                                        ; =>      This Inner Loop Header: Depth=4
	s_cmp_eq_u32 s70, 1
	s_cselect_b64 vcc, -1, 0
	v_cndmask_b32_e32 v6, v4, v8, vcc
	v_cndmask_b32_e32 v7, v5, v9, vcc
	v_add_co_u32_e64 v3, s[28:29], 64, v6
	s_cmp_eq_u32 s70, 0
	flat_store_byte v[6:7], v1 glc slc
	v_addc_co_u32_e64 v6, s[28:29], 0, v7, s[28:29]
	s_cselect_b64 s[28:29], -1, 0
	s_and_b64 s[30:31], exec, s[68:69]
	s_mov_b64 s[70:71], 1
	s_mov_b64 s[68:69], 0
	v_cndmask_b32_e32 v9, v9, v6, vcc
	v_cndmask_b32_e32 v8, v8, v3, vcc
	v_cndmask_b32_e64 v5, v5, v6, s[28:29]
	v_cndmask_b32_e64 v4, v4, v3, s[28:29]
	s_mov_b64 vcc, s[30:31]
	s_cbranch_vccnz .LBB2_3218
; %bb.3219:                             ;   in Loop: Header=BB2_3189 Depth=3
	v_accvgpr_read_b32 v1, a36
	v_add_co_u32_e32 v10, vcc, v10, v1
	v_accvgpr_read_b32 v3, a37
	v_addc_co_u32_e32 v11, vcc, v11, v3, vcc
	v_add_co_u32_e32 v12, vcc, v12, v1
	v_addc_co_u32_e32 v13, vcc, v13, v3, vcc
	v_accvgpr_read_b32 v6, a30
	v_add_co_u32_e32 v4, vcc, v4, v6
	v_accvgpr_read_b32 v3, a29
	v_accvgpr_read_b32 v1, a23
	v_addc_co_u32_e32 v5, vcc, v5, v3, vcc
	v_sub_u32_e32 v2, v2, v1
	v_cmp_gt_i32_e32 vcc, 1, v2
	s_or_b64 s[66:67], vcc, s[66:67]
	v_add_co_u32_e32 v8, vcc, v8, v6
	v_addc_co_u32_e32 v9, vcc, v9, v3, vcc
	s_andn2_b64 exec, exec, s[66:67]
	s_cbranch_execnz .LBB2_3189
.LBB2_3220:                             ;   in Loop: Header=BB2_1783 Depth=2
	s_or_b64 exec, exec, s[36:37]
	v_accvgpr_read_b32 v6, a22
	s_or_b64 exec, exec, s[34:35]
	s_branch .LBB2_1856
.LBB2_3221:                             ;   in Loop: Header=BB2_1783 Depth=2
	s_mov_b64 s[30:31], -1
	s_and_saveexec_b64 s[28:29], s[22:23]
	s_cbranch_execz .LBB2_3223
; %bb.3222:                             ;   in Loop: Header=BB2_1783 Depth=2
	ds_read_b32 v1, v0 offset:720
	s_waitcnt lgkmcnt(0)
	v_and_b32_e32 v1, 15, v1
	v_cmp_eq_u32_e32 vcc, 0, v1
	s_orn2_b64 s[30:31], vcc, exec
.LBB2_3223:                             ;   in Loop: Header=BB2_1783 Depth=2
	s_or_b64 exec, exec, s[28:29]
	s_and_saveexec_b64 s[28:29], s[18:19]
	s_cbranch_execz .LBB2_3225
; %bb.3224:                             ;   in Loop: Header=BB2_1783 Depth=2
	ds_read_b32 v1, v0 offset:784
	s_waitcnt lgkmcnt(0)
	v_and_b32_e32 v1, 15, v1
	v_cmp_eq_u32_e32 vcc, 0, v1
	s_and_b64 vcc, s[30:31], vcc
	s_andn2_b64 s[30:31], s[30:31], exec
	s_and_b64 vcc, vcc, exec
	s_or_b64 s[30:31], s[30:31], vcc
.LBB2_3225:                             ;   in Loop: Header=BB2_1783 Depth=2
	s_or_b64 exec, exec, s[28:29]
	s_xor_b64 vcc, s[30:31], -1
	v_cndmask_b32_e64 v1, 0, 1, vcc
	;;#ASMSTART
	;;#ASMEND
	buffer_load_dword v14, off, s[0:3], s33 offset:184 ; 4-byte Folded Reload
	s_mov_b64 s[28:29], -1
	v_cmp_ne_u32_e32 vcc, 0, v1
	v_mov_b32_e32 v1, 0
	v_accvgpr_read_b32 v15, a3
	v_accvgpr_read_b32 v4, a31
	s_cbranch_vccz .LBB2_3228
; %bb.3226:                             ;   in Loop: Header=BB2_1783 Depth=2
	s_and_saveexec_b64 s[30:31], s[28:29]
	s_cbranch_execnz .LBB2_4393
.LBB2_3227:                             ;   in Loop: Header=BB2_1783 Depth=2
	s_or_b64 exec, exec, s[30:31]
	s_and_saveexec_b64 s[28:29], s[10:11]
	s_cbranch_execnz .LBB2_1857
	s_branch .LBB2_2647
.LBB2_3228:                             ;   in Loop: Header=BB2_1783 Depth=2
	buffer_load_dword v2, off, s[0:3], s33 offset:184 ; 4-byte Folded Reload
	s_waitcnt vmcnt(0)
	v_ashrrev_i32_e32 v1, 31, v2
	v_lshrrev_b32_e32 v1, 21, v1
	v_add_u32_e32 v1, v2, v1
	v_ashrrev_i32_e32 v7, 11, v1
	v_accvgpr_read_b32 v1, a31
	v_sub_u32_e32 v6, v7, v1
	v_cmp_lt_i32_e32 vcc, 0, v6
	s_and_saveexec_b64 s[30:31], vcc
	s_cbranch_execz .LBB2_4000
; %bb.3229:                             ;   in Loop: Header=BB2_1783 Depth=2
	s_trap 2
	ds_read_b128 v[8:11], v0
	ds_read_b64 v[2:3], v0
	v_accvgpr_read_b32 v12, a44
	v_accvgpr_read_b32 v1, a45
	s_mov_b64 s[34:35], 0
	s_waitcnt lgkmcnt(0)
	v_add_co_u32_e32 v4, vcc, v8, v12
	v_addc_co_u32_e32 v5, vcc, v9, v1, vcc
	v_add_co_u32_e32 v24, vcc, v10, v12
	v_addc_co_u32_e32 v25, vcc, v11, v1, vcc
	;; [unrolled: 2-line block ×3, first 2 shown]
	s_branch .LBB2_3231
.LBB2_3230:                             ;   in Loop: Header=BB2_3231 Depth=3
	s_or_b64 exec, exec, s[28:29]
	v_lshlrev_b32_e32 v9, 8, v36
	v_perm_b32 v9, v9, v26, s94
	v_lshl_or_b32 v9, v37, 16, v9
	v_lshl_or_b32 v41, v21, 24, v9
	v_and_b32_e32 v9, 0xff, v46
	v_lshlrev_b32_e32 v11, 8, v43
	v_lshlrev_b32_e32 v10, 24, v47
	;; [unrolled: 1-line block ×3, first 2 shown]
	v_perm_b32 v11, v11, v30, s94
	v_or3_b32 v40, v10, v9, v11
	v_and_b32_e32 v9, 0xff, v42
	v_lshlrev_b32_e32 v10, 8, v53
	v_lshlrev_b32_e32 v3, 24, v3
	;; [unrolled: 1-line block ×3, first 2 shown]
	v_perm_b32 v10, v10, v52, s94
	v_or3_b32 v42, v3, v9, v10
	v_lshlrev_b32_e32 v3, 8, v20
	v_perm_b32 v2, v3, v2, s94
	v_lshl_or_b32 v2, v55, 16, v2
	v_lshl_or_b32 v43, v19, 24, v2
	v_lshlrev_b32_e32 v2, 8, v18
	v_perm_b32 v2, v2, v39, s94
	v_lshl_or_b32 v2, v16, 16, v2
	v_lshl_or_b32 v15, v13, 24, v2
	v_and_b32_e32 v2, 0xff, v27
	v_lshlrev_b32_e32 v9, 8, v23
	v_lshlrev_b32_e32 v3, 24, v38
	v_lshlrev_b32_e32 v2, 16, v2
	v_perm_b32 v9, v9, v22, s94
	v_or3_b32 v14, v3, v2, v9
	v_and_b32_e32 v1, 0xff, v1
	v_lshlrev_b32_e32 v3, 8, v31
	v_lshlrev_b32_e32 v2, 24, v56
	;; [unrolled: 1-line block ×3, first 2 shown]
	v_perm_b32 v3, v3, v17, s94
	v_or3_b32 v16, v2, v1, v3
	v_lshlrev_b32_e32 v1, 8, v12
	v_perm_b32 v1, v1, v58, s94
	v_lshl_or_b32 v1, v54, 16, v1
	v_lshl_or_b32 v17, v8, 24, v1
	v_accvgpr_read_b32 v1, a38
	v_add_co_u32_e32 v4, vcc, v4, v1
	v_accvgpr_read_b32 v3, a39
	v_addc_co_u32_e32 v5, vcc, v5, v3, vcc
	v_add_co_u32_e32 v24, vcc, v24, v1
	v_accvgpr_read_b32 v2, a22
	v_addc_co_u32_e32 v25, vcc, v25, v3, vcc
	v_sub_u32_e32 v6, v6, v2
	v_cmp_gt_i32_e32 vcc, 1, v6
	global_store_dwordx4 v[28:29], v[40:43], off glc slc
	global_store_dwordx4 v[28:29], v[14:17], off offset:1024 glc slc
	s_or_b64 s[34:35], vcc, s[34:35]
	v_add_co_u32_e32 v28, vcc, v28, v1
	v_addc_co_u32_e32 v29, vcc, v29, v3, vcc
	s_andn2_b64 exec, exec, s[34:35]
	s_cbranch_execz .LBB2_3999
.LBB2_3231:                             ;   Parent Loop BB2_47 Depth=1
                                        ;     Parent Loop BB2_1783 Depth=2
                                        ; =>    This Inner Loop Header: Depth=3
	global_load_dwordx4 v[20:23], v[4:5], off glc slc
	global_load_dwordx4 v[12:15], v[4:5], off offset:1024 glc slc
	global_load_dwordx4 v[16:19], v[24:25], off glc slc
	global_load_dwordx4 v[8:11], v[24:25], off offset:1024 glc slc
	v_mov_b32_e32 v1, 0
	v_mov_b32_e32 v2, 0
	s_waitcnt vmcnt(3)
	v_cmp_ne_u16_sdwa vcc, v20, v61 src0_sel:BYTE_0 src1_sel:DWORD
	s_and_saveexec_b64 s[28:29], vcc
	s_cbranch_execz .LBB2_3237
; %bb.3232:                             ;   in Loop: Header=BB2_3231 Depth=3
	v_cmp_ne_u16_sdwa vcc, v20, s91 src0_sel:BYTE_0 src1_sel:DWORD
	v_bfrev_b32_e32 v2, 1
	s_and_saveexec_b64 s[36:37], vcc
	s_cbranch_execz .LBB2_3236
; %bb.3233:                             ;   in Loop: Header=BB2_3231 Depth=3
	v_and_b32_e32 v3, 0x7f, v20
	v_cmp_ne_u32_e32 vcc, s92, v3
	v_mov_b32_e32 v2, 0x7f800001
	s_and_saveexec_b64 s[66:67], vcc
	s_cbranch_execz .LBB2_3235
; %bb.3234:                             ;   in Loop: Header=BB2_3231 Depth=3
	v_and_b32_e32 v2, 7, v20
	v_ffbh_u32_e32 v2, v2
	v_min_u32_e32 v2, 32, v2
	v_lshrrev_b32_e32 v26, 3, v3
	v_subrev_u32_e32 v27, 28, v2
	v_sub_u32_e32 v2, 29, v2
	v_cmp_gt_u32_e32 vcc, 8, v3
	v_cndmask_b32_e32 v26, v26, v2, vcc
	v_cndmask_b32_e32 v2, 0, v27, vcc
	v_lshlrev_b64 v[2:3], v2, v[20:21]
	v_lshlrev_b32_e32 v2, 20, v2
	v_lshlrev_b32_e32 v3, 24, v20
	v_and_b32_e32 v2, 0x700000, v2
	v_and_b32_e32 v3, 0x80000000, v3
	v_lshl_add_u32 v26, v26, 23, v0
	v_or3_b32 v2, v3, v26, v2
.LBB2_3235:                             ;   in Loop: Header=BB2_3231 Depth=3
	s_or_b64 exec, exec, s[66:67]
.LBB2_3236:                             ;   in Loop: Header=BB2_3231 Depth=3
	s_or_b64 exec, exec, s[36:37]
.LBB2_3237:                             ;   in Loop: Header=BB2_3231 Depth=3
	s_or_b64 exec, exec, s[28:29]
	s_waitcnt vmcnt(1)
	v_cmp_ne_u16_sdwa vcc, v16, v61 src0_sel:BYTE_0 src1_sel:DWORD
	s_and_saveexec_b64 s[28:29], vcc
	s_cbranch_execz .LBB2_3243
; %bb.3238:                             ;   in Loop: Header=BB2_3231 Depth=3
	v_cmp_ne_u16_sdwa vcc, v16, s91 src0_sel:BYTE_0 src1_sel:DWORD
	v_bfrev_b32_e32 v1, 1
	s_and_saveexec_b64 s[36:37], vcc
	s_cbranch_execz .LBB2_3242
; %bb.3239:                             ;   in Loop: Header=BB2_3231 Depth=3
	v_and_b32_e32 v3, 0x7f, v16
	v_cmp_ne_u32_e32 vcc, s92, v3
	v_mov_b32_e32 v1, 0x7f800001
	s_and_saveexec_b64 s[66:67], vcc
	s_cbranch_execz .LBB2_3241
; %bb.3240:                             ;   in Loop: Header=BB2_3231 Depth=3
	v_and_b32_e32 v1, 7, v16
	v_ffbh_u32_e32 v1, v1
	v_min_u32_e32 v1, 32, v1
	v_subrev_u32_e32 v27, 28, v1
	v_cmp_gt_u32_e32 vcc, 8, v3
	v_lshrrev_b32_e32 v26, 3, v3
	v_sub_u32_e32 v1, 29, v1
	v_cndmask_b32_e32 v3, 0, v27, vcc
	v_cndmask_b32_e32 v1, v26, v1, vcc
	v_lshlrev_b64 v[26:27], v3, v[16:17]
	v_lshlrev_b32_e32 v3, 20, v26
	v_lshlrev_b32_e32 v26, 24, v16
	v_and_b32_e32 v3, 0x700000, v3
	v_and_b32_e32 v26, 0x80000000, v26
	v_lshl_add_u32 v1, v1, 23, v0
	v_or3_b32 v1, v26, v1, v3
.LBB2_3241:                             ;   in Loop: Header=BB2_3231 Depth=3
	s_or_b64 exec, exec, s[66:67]
.LBB2_3242:                             ;   in Loop: Header=BB2_3231 Depth=3
	s_or_b64 exec, exec, s[36:37]
.LBB2_3243:                             ;   in Loop: Header=BB2_3231 Depth=3
	s_or_b64 exec, exec, s[28:29]
	v_add_f32_e32 v2, v2, v1
	v_and_b32_sdwa v1, v2, s91 dst_sel:DWORD dst_unused:UNUSED_PAD src0_sel:BYTE_3 src1_sel:DWORD
	v_and_b32_e32 v26, 0x7f800000, v2
	v_mov_b32_e32 v27, v61
	v_and_b32_e32 v60, 0x7fffff, v2
	v_or_b32_e32 v30, 0x7e, v1
	v_cmp_ne_u64_e32 vcc, s[54:55], v[26:27]
	s_and_saveexec_b64 s[28:29], vcc
	s_xor_b64 s[36:37], exec, s[28:29]
	s_cbranch_execz .LBB2_3253
; %bb.3244:                             ;   in Loop: Header=BB2_3231 Depth=3
	v_and_b32_e32 v26, 0x7fffffff, v2
	v_mov_b32_e32 v27, v61
	v_cmp_gt_u64_e32 vcc, s[56:57], v[26:27]
	s_and_saveexec_b64 s[66:67], vcc
	s_cbranch_execz .LBB2_3252
; %bb.3245:                             ;   in Loop: Header=BB2_3231 Depth=3
	v_cmp_ne_u32_e32 vcc, 0, v2
	v_mov_b32_e32 v30, 0
	s_and_saveexec_b64 s[68:69], vcc
	s_cbranch_execz .LBB2_3251
; %bb.3246:                             ;   in Loop: Header=BB2_3231 Depth=3
	v_bfe_u32 v2, v2, 23, 8
	v_sub_u32_e32 v26, 0x79, v2
	v_cmp_gt_u32_e32 vcc, s93, v2
	v_add_u32_e32 v3, 0xffffff81, v2
	v_cndmask_b32_e32 v26, 0, v26, vcc
	v_cmp_eq_u32_e32 vcc, 0, v2
	v_mov_b32_e32 v2, 0xffffff82
	v_cndmask_b32_e32 v36, v3, v2, vcc
	v_mov_b32_e32 v2, 0x78
	v_cndmask_b32_e32 v26, v26, v2, vcc
	v_add_u32_e32 v2, 20, v26
	v_or_b32_e32 v27, 0x800000, v60
	v_lshlrev_b64 v[2:3], v2, -1
	v_cndmask_b32_e32 v60, v27, v60, vcc
	v_not_b32_e32 v2, v2
	v_and_b32_e32 v30, v60, v2
	v_add_u32_e32 v2, 19, v26
	v_lshrrev_b64 v[34:35], v26, v[60:61]
	v_not_b32_e32 v3, v3
	v_lshlrev_b64 v[32:33], v2, 1
	v_lshrrev_b32_e32 v2, 23, v34
	v_and_b32_e32 v31, 0, v3
	v_add3_u32 v26, v26, v36, v2
	v_bfe_u32 v2, v34, 20, 1
	v_add_u32_e32 v2, -1, v2
	v_cmp_eq_u64_e32 vcc, v[30:31], v[32:33]
	v_cndmask_b32_e32 v2, 0, v2, vcc
	v_add_u32_e32 v2, v2, v34
	v_and_b32_e32 v2, 0xfffff, v2
	v_add_co_u32_e32 v52, vcc, v2, v34
	v_add_u32_e32 v3, 6, v26
	v_addc_co_u32_e32 v53, vcc, 0, v35, vcc
	v_cmp_ne_u32_e32 vcc, 0, v3
                                        ; implicit-def: $vgpr2
	s_and_saveexec_b64 s[28:29], vcc
	s_xor_b64 s[28:29], exec, s[28:29]
; %bb.3247:                             ;   in Loop: Header=BB2_3231 Depth=3
	v_add_u32_e32 v2, 7, v26
	v_cmp_lt_u64_e32 vcc, s[58:59], v[52:53]
	v_cndmask_b32_e32 v2, v3, v2, vcc
	v_cndmask_b32_e64 v3, 0, 1, vcc
	v_lshrrev_b64 v[52:53], v3, v[52:53]
; %bb.3248:                             ;   in Loop: Header=BB2_3231 Depth=3
	s_andn2_saveexec_b64 s[28:29], s[28:29]
; %bb.3249:                             ;   in Loop: Header=BB2_3231 Depth=3
	v_bfe_u32 v2, v52, 23, 1
; %bb.3250:                             ;   in Loop: Header=BB2_3231 Depth=3
	s_or_b64 exec, exec, s[28:29]
	v_lshrrev_b64 v[26:27], 20, v[52:53]
	v_cmp_gt_i32_e32 vcc, 16, v2
	v_cndmask_b32_e32 v27, 0, v27, vcc
	v_cndmask_b32_e32 v26, 7, v26, vcc
	v_cmp_eq_u32_e32 vcc, 0, v2
	v_min_i32_e32 v2, 15, v2
	v_cmp_eq_u64_e64 s[28:29], 0, v[26:27]
	v_lshlrev_b32_e32 v2, 3, v2
	v_and_or_b32 v2, v26, 7, v2
	s_and_b64 s[28:29], vcc, s[28:29]
	v_cndmask_b32_e64 v2, v2, 0, s[28:29]
	v_or_b32_e32 v30, v2, v1
.LBB2_3251:                             ;   in Loop: Header=BB2_3231 Depth=3
	s_or_b64 exec, exec, s[68:69]
.LBB2_3252:                             ;   in Loop: Header=BB2_3231 Depth=3
	s_or_b64 exec, exec, s[66:67]
                                        ; implicit-def: $vgpr2
.LBB2_3253:                             ;   in Loop: Header=BB2_3231 Depth=3
	s_andn2_saveexec_b64 s[28:29], s[36:37]
; %bb.3254:                             ;   in Loop: Header=BB2_3231 Depth=3
	v_or_b32_sdwa v1, v2, s92 dst_sel:DWORD dst_unused:UNUSED_PAD src0_sel:BYTE_3 src1_sel:DWORD
	v_cmp_eq_u64_e32 vcc, 0, v[60:61]
	v_cndmask_b32_e32 v30, v1, v30, vcc
; %bb.3255:                             ;   in Loop: Header=BB2_3231 Depth=3
	s_or_b64 exec, exec, s[28:29]
	v_lshrrev_b16_e32 v52, 8, v20
	v_cmp_ne_u16_e32 vcc, 0, v52
	v_mov_b32_e32 v1, 0
	v_mov_b32_e32 v2, 0
	s_and_saveexec_b64 s[28:29], vcc
	s_cbranch_execz .LBB2_3261
; %bb.3256:                             ;   in Loop: Header=BB2_3231 Depth=3
	v_cmp_ne_u16_e32 vcc, s91, v52
	v_bfrev_b32_e32 v2, 1
	s_and_saveexec_b64 s[36:37], vcc
	s_cbranch_execz .LBB2_3260
; %bb.3257:                             ;   in Loop: Header=BB2_3231 Depth=3
	v_and_b32_e32 v3, 0x7f, v52
	v_cmp_ne_u32_e32 vcc, s92, v3
	v_mov_b32_e32 v2, 0x7f800001
	s_and_saveexec_b64 s[66:67], vcc
	s_cbranch_execz .LBB2_3259
; %bb.3258:                             ;   in Loop: Header=BB2_3231 Depth=3
	v_and_b32_e32 v2, 7, v52
	v_ffbh_u32_e32 v26, v2
	v_min_u32_e32 v32, 32, v26
	v_subrev_u32_e32 v26, 28, v32
	v_lshlrev_b64 v[26:27], v26, v[52:53]
	v_lshrrev_b32_e32 v31, 3, v3
	v_sub_u32_e32 v27, 29, v32
	v_and_b32_e32 v26, 7, v26
	v_cmp_gt_u32_e32 vcc, 8, v3
	v_cndmask_b32_e32 v3, v31, v27, vcc
	v_cndmask_b32_e32 v2, v2, v26, vcc
	v_lshlrev_b32_e32 v26, 16, v20
	v_lshlrev_b32_e32 v2, 20, v2
	v_and_b32_e32 v26, 0x80000000, v26
	v_lshl_add_u32 v3, v3, 23, v0
	v_or3_b32 v2, v26, v3, v2
.LBB2_3259:                             ;   in Loop: Header=BB2_3231 Depth=3
	s_or_b64 exec, exec, s[66:67]
.LBB2_3260:                             ;   in Loop: Header=BB2_3231 Depth=3
	s_or_b64 exec, exec, s[36:37]
.LBB2_3261:                             ;   in Loop: Header=BB2_3231 Depth=3
	s_or_b64 exec, exec, s[28:29]
	v_lshrrev_b16_e32 v52, 8, v16
	v_cmp_ne_u16_e32 vcc, 0, v52
	s_and_saveexec_b64 s[28:29], vcc
	s_cbranch_execz .LBB2_3267
; %bb.3262:                             ;   in Loop: Header=BB2_3231 Depth=3
	v_cmp_ne_u16_e32 vcc, s91, v52
	v_bfrev_b32_e32 v1, 1
	s_and_saveexec_b64 s[36:37], vcc
	s_cbranch_execz .LBB2_3266
; %bb.3263:                             ;   in Loop: Header=BB2_3231 Depth=3
	v_and_b32_e32 v3, 0x7f, v52
	v_cmp_ne_u32_e32 vcc, s92, v3
	v_mov_b32_e32 v1, 0x7f800001
	s_and_saveexec_b64 s[66:67], vcc
	s_cbranch_execz .LBB2_3265
; %bb.3264:                             ;   in Loop: Header=BB2_3231 Depth=3
	v_and_b32_e32 v1, 7, v52
	v_ffbh_u32_e32 v26, v1
	v_min_u32_e32 v32, 32, v26
	v_subrev_u32_e32 v26, 28, v32
	v_lshlrev_b64 v[26:27], v26, v[52:53]
	v_lshrrev_b32_e32 v31, 3, v3
	v_sub_u32_e32 v27, 29, v32
	v_and_b32_e32 v26, 7, v26
	v_cmp_gt_u32_e32 vcc, 8, v3
	v_cndmask_b32_e32 v3, v31, v27, vcc
	v_cndmask_b32_e32 v1, v1, v26, vcc
	v_lshlrev_b32_e32 v26, 16, v16
	v_lshlrev_b32_e32 v1, 20, v1
	v_and_b32_e32 v26, 0x80000000, v26
	v_lshl_add_u32 v3, v3, 23, v0
	v_or3_b32 v1, v26, v3, v1
.LBB2_3265:                             ;   in Loop: Header=BB2_3231 Depth=3
	s_or_b64 exec, exec, s[66:67]
.LBB2_3266:                             ;   in Loop: Header=BB2_3231 Depth=3
	s_or_b64 exec, exec, s[36:37]
.LBB2_3267:                             ;   in Loop: Header=BB2_3231 Depth=3
	s_or_b64 exec, exec, s[28:29]
	v_add_f32_e32 v2, v2, v1
	v_and_b32_sdwa v1, v2, s91 dst_sel:DWORD dst_unused:UNUSED_PAD src0_sel:BYTE_3 src1_sel:DWORD
	v_and_b32_e32 v26, 0x7f800000, v2
	v_mov_b32_e32 v27, v61
	v_and_b32_e32 v60, 0x7fffff, v2
	v_or_b32_e32 v43, 0x7e, v1
	v_cmp_ne_u64_e32 vcc, s[54:55], v[26:27]
	s_and_saveexec_b64 s[28:29], vcc
	s_xor_b64 s[36:37], exec, s[28:29]
	s_cbranch_execz .LBB2_3277
; %bb.3268:                             ;   in Loop: Header=BB2_3231 Depth=3
	v_and_b32_e32 v26, 0x7fffffff, v2
	v_mov_b32_e32 v27, v61
	v_cmp_gt_u64_e32 vcc, s[56:57], v[26:27]
	s_and_saveexec_b64 s[66:67], vcc
	s_cbranch_execz .LBB2_3276
; %bb.3269:                             ;   in Loop: Header=BB2_3231 Depth=3
	v_cmp_ne_u32_e32 vcc, 0, v2
	v_mov_b32_e32 v43, 0
	s_and_saveexec_b64 s[68:69], vcc
	s_cbranch_execz .LBB2_3275
; %bb.3270:                             ;   in Loop: Header=BB2_3231 Depth=3
	v_bfe_u32 v2, v2, 23, 8
	v_sub_u32_e32 v26, 0x79, v2
	v_cmp_gt_u32_e32 vcc, s93, v2
	v_add_u32_e32 v3, 0xffffff81, v2
	v_cndmask_b32_e32 v26, 0, v26, vcc
	v_cmp_eq_u32_e32 vcc, 0, v2
	v_mov_b32_e32 v2, 0xffffff82
	v_cndmask_b32_e32 v31, v3, v2, vcc
	v_mov_b32_e32 v2, 0x78
	v_cndmask_b32_e32 v26, v26, v2, vcc
	v_add_u32_e32 v2, 20, v26
	v_or_b32_e32 v27, 0x800000, v60
	v_lshlrev_b64 v[2:3], v2, -1
	v_cndmask_b32_e32 v60, v27, v60, vcc
	v_not_b32_e32 v2, v2
	v_and_b32_e32 v32, v60, v2
	v_add_u32_e32 v2, 19, v26
	v_lshrrev_b64 v[36:37], v26, v[60:61]
	v_not_b32_e32 v3, v3
	v_lshlrev_b64 v[34:35], v2, 1
	v_lshrrev_b32_e32 v2, 23, v36
	v_and_b32_e32 v33, 0, v3
	v_add3_u32 v26, v26, v31, v2
	v_bfe_u32 v2, v36, 20, 1
	v_add_u32_e32 v2, -1, v2
	v_cmp_eq_u64_e32 vcc, v[32:33], v[34:35]
	v_cndmask_b32_e32 v2, 0, v2, vcc
	v_add_u32_e32 v2, v2, v36
	v_and_b32_e32 v2, 0xfffff, v2
	v_add_co_u32_e32 v52, vcc, v2, v36
	v_add_u32_e32 v3, 6, v26
	v_addc_co_u32_e32 v53, vcc, 0, v37, vcc
	v_cmp_ne_u32_e32 vcc, 0, v3
                                        ; implicit-def: $vgpr2
	s_and_saveexec_b64 s[28:29], vcc
	s_xor_b64 s[28:29], exec, s[28:29]
; %bb.3271:                             ;   in Loop: Header=BB2_3231 Depth=3
	v_add_u32_e32 v2, 7, v26
	v_cmp_lt_u64_e32 vcc, s[58:59], v[52:53]
	v_cndmask_b32_e32 v2, v3, v2, vcc
	v_cndmask_b32_e64 v3, 0, 1, vcc
	v_lshrrev_b64 v[52:53], v3, v[52:53]
; %bb.3272:                             ;   in Loop: Header=BB2_3231 Depth=3
	s_andn2_saveexec_b64 s[28:29], s[28:29]
; %bb.3273:                             ;   in Loop: Header=BB2_3231 Depth=3
	v_bfe_u32 v2, v52, 23, 1
; %bb.3274:                             ;   in Loop: Header=BB2_3231 Depth=3
	s_or_b64 exec, exec, s[28:29]
	v_lshrrev_b64 v[26:27], 20, v[52:53]
	v_cmp_gt_i32_e32 vcc, 16, v2
	v_cndmask_b32_e32 v27, 0, v27, vcc
	v_cndmask_b32_e32 v26, 7, v26, vcc
	v_cmp_eq_u32_e32 vcc, 0, v2
	v_min_i32_e32 v2, 15, v2
	v_cmp_eq_u64_e64 s[28:29], 0, v[26:27]
	v_lshlrev_b32_e32 v2, 3, v2
	v_and_or_b32 v2, v26, 7, v2
	s_and_b64 s[28:29], vcc, s[28:29]
	v_cndmask_b32_e64 v2, v2, 0, s[28:29]
	v_or_b32_e32 v43, v2, v1
.LBB2_3275:                             ;   in Loop: Header=BB2_3231 Depth=3
	s_or_b64 exec, exec, s[68:69]
.LBB2_3276:                             ;   in Loop: Header=BB2_3231 Depth=3
	s_or_b64 exec, exec, s[66:67]
                                        ; implicit-def: $vgpr2
.LBB2_3277:                             ;   in Loop: Header=BB2_3231 Depth=3
	s_andn2_saveexec_b64 s[28:29], s[36:37]
; %bb.3278:                             ;   in Loop: Header=BB2_3231 Depth=3
	v_or_b32_sdwa v1, v2, s92 dst_sel:DWORD dst_unused:UNUSED_PAD src0_sel:BYTE_3 src1_sel:DWORD
	v_cmp_eq_u64_e32 vcc, 0, v[60:61]
	v_cndmask_b32_e32 v43, v1, v43, vcc
; %bb.3279:                             ;   in Loop: Header=BB2_3231 Depth=3
	s_or_b64 exec, exec, s[28:29]
	v_lshrrev_b32_e32 v52, 16, v20
	v_cmp_ne_u16_sdwa vcc, v52, v61 src0_sel:BYTE_0 src1_sel:DWORD
	v_mov_b32_e32 v1, 0
	v_mov_b32_e32 v2, 0
	s_and_saveexec_b64 s[28:29], vcc
	s_cbranch_execz .LBB2_3285
; %bb.3280:                             ;   in Loop: Header=BB2_3231 Depth=3
	v_cmp_ne_u16_sdwa vcc, v52, s91 src0_sel:BYTE_0 src1_sel:DWORD
	v_bfrev_b32_e32 v2, 1
	s_and_saveexec_b64 s[36:37], vcc
	s_cbranch_execz .LBB2_3284
; %bb.3281:                             ;   in Loop: Header=BB2_3231 Depth=3
	v_bfe_u32 v3, v20, 16, 7
	v_cmp_ne_u32_e32 vcc, s92, v3
	v_mov_b32_e32 v2, 0x7f800001
	s_and_saveexec_b64 s[66:67], vcc
	s_cbranch_execz .LBB2_3283
; %bb.3282:                             ;   in Loop: Header=BB2_3231 Depth=3
	v_and_b32_e32 v2, 7, v52
	v_ffbh_u32_e32 v26, v2
	v_min_u32_e32 v32, 32, v26
	v_subrev_u32_e32 v26, 28, v32
	v_lshlrev_b64 v[26:27], v26, v[52:53]
	v_lshrrev_b32_e32 v31, 3, v3
	v_sub_u32_e32 v27, 29, v32
	v_and_b32_e32 v26, 7, v26
	v_cmp_gt_u32_e32 vcc, 8, v3
	v_cndmask_b32_e32 v3, v31, v27, vcc
	v_cndmask_b32_e32 v2, v2, v26, vcc
	v_lshlrev_b32_e32 v26, 24, v52
	v_lshlrev_b32_e32 v2, 20, v2
	v_and_b32_e32 v26, 0x80000000, v26
	v_lshl_add_u32 v3, v3, 23, v0
	v_or3_b32 v2, v26, v3, v2
.LBB2_3283:                             ;   in Loop: Header=BB2_3231 Depth=3
	s_or_b64 exec, exec, s[66:67]
.LBB2_3284:                             ;   in Loop: Header=BB2_3231 Depth=3
	s_or_b64 exec, exec, s[36:37]
.LBB2_3285:                             ;   in Loop: Header=BB2_3231 Depth=3
	s_or_b64 exec, exec, s[28:29]
	v_lshrrev_b32_e32 v52, 16, v16
	v_cmp_ne_u16_sdwa vcc, v52, v61 src0_sel:BYTE_0 src1_sel:DWORD
	s_and_saveexec_b64 s[28:29], vcc
	s_cbranch_execz .LBB2_3291
; %bb.3286:                             ;   in Loop: Header=BB2_3231 Depth=3
	v_cmp_ne_u16_sdwa vcc, v52, s91 src0_sel:BYTE_0 src1_sel:DWORD
	v_bfrev_b32_e32 v1, 1
	s_and_saveexec_b64 s[36:37], vcc
	s_cbranch_execz .LBB2_3290
; %bb.3287:                             ;   in Loop: Header=BB2_3231 Depth=3
	v_bfe_u32 v3, v16, 16, 7
	v_cmp_ne_u32_e32 vcc, s92, v3
	v_mov_b32_e32 v1, 0x7f800001
	s_and_saveexec_b64 s[66:67], vcc
	s_cbranch_execz .LBB2_3289
; %bb.3288:                             ;   in Loop: Header=BB2_3231 Depth=3
	v_and_b32_e32 v1, 7, v52
	v_ffbh_u32_e32 v26, v1
	v_min_u32_e32 v32, 32, v26
	v_subrev_u32_e32 v26, 28, v32
	v_lshlrev_b64 v[26:27], v26, v[52:53]
	v_lshrrev_b32_e32 v31, 3, v3
	v_sub_u32_e32 v27, 29, v32
	v_and_b32_e32 v26, 7, v26
	v_cmp_gt_u32_e32 vcc, 8, v3
	v_cndmask_b32_e32 v3, v31, v27, vcc
	v_cndmask_b32_e32 v1, v1, v26, vcc
	v_lshlrev_b32_e32 v26, 8, v16
	v_lshlrev_b32_e32 v1, 20, v1
	v_and_b32_e32 v26, 0x80000000, v26
	v_lshl_add_u32 v3, v3, 23, v0
	v_or3_b32 v1, v26, v3, v1
.LBB2_3289:                             ;   in Loop: Header=BB2_3231 Depth=3
	s_or_b64 exec, exec, s[66:67]
.LBB2_3290:                             ;   in Loop: Header=BB2_3231 Depth=3
	s_or_b64 exec, exec, s[36:37]
.LBB2_3291:                             ;   in Loop: Header=BB2_3231 Depth=3
	s_or_b64 exec, exec, s[28:29]
	v_add_f32_e32 v2, v2, v1
	v_and_b32_sdwa v1, v2, s91 dst_sel:DWORD dst_unused:UNUSED_PAD src0_sel:BYTE_3 src1_sel:DWORD
	v_and_b32_e32 v26, 0x7f800000, v2
	v_mov_b32_e32 v27, v61
	v_and_b32_e32 v60, 0x7fffff, v2
	v_or_b32_e32 v46, 0x7e, v1
	v_cmp_ne_u64_e32 vcc, s[54:55], v[26:27]
	s_and_saveexec_b64 s[28:29], vcc
	s_xor_b64 s[36:37], exec, s[28:29]
	s_cbranch_execz .LBB2_3301
; %bb.3292:                             ;   in Loop: Header=BB2_3231 Depth=3
	v_and_b32_e32 v26, 0x7fffffff, v2
	v_mov_b32_e32 v27, v61
	v_cmp_gt_u64_e32 vcc, s[56:57], v[26:27]
	s_and_saveexec_b64 s[66:67], vcc
	s_cbranch_execz .LBB2_3300
; %bb.3293:                             ;   in Loop: Header=BB2_3231 Depth=3
	v_cmp_ne_u32_e32 vcc, 0, v2
	v_mov_b32_e32 v46, 0
	s_and_saveexec_b64 s[68:69], vcc
	s_cbranch_execz .LBB2_3299
; %bb.3294:                             ;   in Loop: Header=BB2_3231 Depth=3
	v_bfe_u32 v2, v2, 23, 8
	v_sub_u32_e32 v26, 0x79, v2
	v_cmp_gt_u32_e32 vcc, s93, v2
	v_add_u32_e32 v3, 0xffffff81, v2
	v_cndmask_b32_e32 v26, 0, v26, vcc
	v_cmp_eq_u32_e32 vcc, 0, v2
	v_mov_b32_e32 v2, 0xffffff82
	v_cndmask_b32_e32 v31, v3, v2, vcc
	v_mov_b32_e32 v2, 0x78
	v_cndmask_b32_e32 v26, v26, v2, vcc
	v_add_u32_e32 v2, 20, v26
	v_or_b32_e32 v27, 0x800000, v60
	v_lshlrev_b64 v[2:3], v2, -1
	v_cndmask_b32_e32 v60, v27, v60, vcc
	v_not_b32_e32 v2, v2
	v_and_b32_e32 v32, v60, v2
	v_add_u32_e32 v2, 19, v26
	v_lshrrev_b64 v[36:37], v26, v[60:61]
	v_not_b32_e32 v3, v3
	v_lshlrev_b64 v[34:35], v2, 1
	v_lshrrev_b32_e32 v2, 23, v36
	v_and_b32_e32 v33, 0, v3
	v_add3_u32 v26, v26, v31, v2
	v_bfe_u32 v2, v36, 20, 1
	v_add_u32_e32 v2, -1, v2
	v_cmp_eq_u64_e32 vcc, v[32:33], v[34:35]
	v_cndmask_b32_e32 v2, 0, v2, vcc
	v_add_u32_e32 v2, v2, v36
	v_and_b32_e32 v2, 0xfffff, v2
	v_add_co_u32_e32 v52, vcc, v2, v36
	v_add_u32_e32 v3, 6, v26
	v_addc_co_u32_e32 v53, vcc, 0, v37, vcc
	v_cmp_ne_u32_e32 vcc, 0, v3
                                        ; implicit-def: $vgpr2
	s_and_saveexec_b64 s[28:29], vcc
	s_xor_b64 s[28:29], exec, s[28:29]
; %bb.3295:                             ;   in Loop: Header=BB2_3231 Depth=3
	v_add_u32_e32 v2, 7, v26
	v_cmp_lt_u64_e32 vcc, s[58:59], v[52:53]
	v_cndmask_b32_e32 v2, v3, v2, vcc
	v_cndmask_b32_e64 v3, 0, 1, vcc
	v_lshrrev_b64 v[52:53], v3, v[52:53]
; %bb.3296:                             ;   in Loop: Header=BB2_3231 Depth=3
	s_andn2_saveexec_b64 s[28:29], s[28:29]
; %bb.3297:                             ;   in Loop: Header=BB2_3231 Depth=3
	v_bfe_u32 v2, v52, 23, 1
; %bb.3298:                             ;   in Loop: Header=BB2_3231 Depth=3
	s_or_b64 exec, exec, s[28:29]
	v_lshrrev_b64 v[26:27], 20, v[52:53]
	v_cmp_gt_i32_e32 vcc, 16, v2
	v_cndmask_b32_e32 v27, 0, v27, vcc
	v_cndmask_b32_e32 v26, 7, v26, vcc
	v_cmp_eq_u32_e32 vcc, 0, v2
	v_min_i32_e32 v2, 15, v2
	v_cmp_eq_u64_e64 s[28:29], 0, v[26:27]
	v_lshlrev_b32_e32 v2, 3, v2
	v_and_or_b32 v2, v26, 7, v2
	s_and_b64 s[28:29], vcc, s[28:29]
	v_cndmask_b32_e64 v2, v2, 0, s[28:29]
	v_or_b32_e32 v46, v2, v1
.LBB2_3299:                             ;   in Loop: Header=BB2_3231 Depth=3
	s_or_b64 exec, exec, s[68:69]
.LBB2_3300:                             ;   in Loop: Header=BB2_3231 Depth=3
	s_or_b64 exec, exec, s[66:67]
                                        ; implicit-def: $vgpr2
.LBB2_3301:                             ;   in Loop: Header=BB2_3231 Depth=3
	s_andn2_saveexec_b64 s[28:29], s[36:37]
; %bb.3302:                             ;   in Loop: Header=BB2_3231 Depth=3
	v_or_b32_sdwa v1, v2, s92 dst_sel:DWORD dst_unused:UNUSED_PAD src0_sel:BYTE_3 src1_sel:DWORD
	v_cmp_eq_u64_e32 vcc, 0, v[60:61]
	v_cndmask_b32_e32 v46, v1, v46, vcc
; %bb.3303:                             ;   in Loop: Header=BB2_3231 Depth=3
	s_or_b64 exec, exec, s[28:29]
	v_cmp_lt_u32_e32 vcc, s45, v20
	v_mov_b32_e32 v1, 0
	v_mov_b32_e32 v2, 0
	s_and_saveexec_b64 s[28:29], vcc
	s_cbranch_execz .LBB2_3309
; %bb.3304:                             ;   in Loop: Header=BB2_3231 Depth=3
	v_lshrrev_b32_e32 v52, 24, v20
	v_cmp_ne_u32_e32 vcc, s91, v52
	v_bfrev_b32_e32 v2, 1
	s_and_saveexec_b64 s[36:37], vcc
	s_cbranch_execz .LBB2_3308
; %bb.3305:                             ;   in Loop: Header=BB2_3231 Depth=3
	v_bfe_u32 v3, v20, 24, 7
	v_cmp_ne_u32_e32 vcc, s92, v3
	v_mov_b32_e32 v2, 0x7f800001
	s_and_saveexec_b64 s[66:67], vcc
	s_cbranch_execz .LBB2_3307
; %bb.3306:                             ;   in Loop: Header=BB2_3231 Depth=3
	v_and_b32_e32 v2, 7, v52
	v_ffbh_u32_e32 v26, v2
	v_min_u32_e32 v32, 32, v26
	v_subrev_u32_e32 v26, 28, v32
	v_lshlrev_b64 v[26:27], v26, v[52:53]
	v_lshrrev_b32_e32 v31, 3, v3
	v_sub_u32_e32 v27, 29, v32
	v_and_b32_e32 v26, 7, v26
	v_cmp_gt_u32_e32 vcc, 8, v3
	v_cndmask_b32_e32 v3, v31, v27, vcc
	v_cndmask_b32_e32 v2, v2, v26, vcc
	v_lshlrev_b32_e32 v26, 24, v52
	v_lshlrev_b32_e32 v2, 20, v2
	v_and_b32_e32 v26, 0x80000000, v26
	v_lshl_add_u32 v3, v3, 23, v0
	v_or3_b32 v2, v26, v3, v2
.LBB2_3307:                             ;   in Loop: Header=BB2_3231 Depth=3
	s_or_b64 exec, exec, s[66:67]
.LBB2_3308:                             ;   in Loop: Header=BB2_3231 Depth=3
	s_or_b64 exec, exec, s[36:37]
.LBB2_3309:                             ;   in Loop: Header=BB2_3231 Depth=3
	s_or_b64 exec, exec, s[28:29]
	v_cmp_lt_u32_e32 vcc, s45, v16
	s_and_saveexec_b64 s[28:29], vcc
	s_cbranch_execz .LBB2_3315
; %bb.3310:                             ;   in Loop: Header=BB2_3231 Depth=3
	v_lshrrev_b32_e32 v52, 24, v16
	v_cmp_ne_u32_e32 vcc, s91, v52
	v_bfrev_b32_e32 v1, 1
	s_and_saveexec_b64 s[36:37], vcc
	s_cbranch_execz .LBB2_3314
; %bb.3311:                             ;   in Loop: Header=BB2_3231 Depth=3
	v_bfe_u32 v3, v16, 24, 7
	v_cmp_ne_u32_e32 vcc, s92, v3
	v_mov_b32_e32 v1, 0x7f800001
	s_and_saveexec_b64 s[66:67], vcc
	s_cbranch_execz .LBB2_3313
; %bb.3312:                             ;   in Loop: Header=BB2_3231 Depth=3
	v_and_b32_e32 v1, 7, v52
	v_ffbh_u32_e32 v26, v1
	v_min_u32_e32 v32, 32, v26
	v_subrev_u32_e32 v26, 28, v32
	v_lshlrev_b64 v[26:27], v26, v[52:53]
	v_lshrrev_b32_e32 v31, 3, v3
	v_sub_u32_e32 v27, 29, v32
	v_and_b32_e32 v26, 7, v26
	v_cmp_gt_u32_e32 vcc, 8, v3
	v_cndmask_b32_e32 v3, v31, v27, vcc
	v_cndmask_b32_e32 v1, v1, v26, vcc
	v_lshlrev_b32_e32 v26, 24, v52
	v_lshlrev_b32_e32 v1, 20, v1
	v_and_b32_e32 v26, 0x80000000, v26
	v_lshl_add_u32 v3, v3, 23, v0
	v_or3_b32 v1, v26, v3, v1
.LBB2_3313:                             ;   in Loop: Header=BB2_3231 Depth=3
	s_or_b64 exec, exec, s[66:67]
.LBB2_3314:                             ;   in Loop: Header=BB2_3231 Depth=3
	s_or_b64 exec, exec, s[36:37]
.LBB2_3315:                             ;   in Loop: Header=BB2_3231 Depth=3
	s_or_b64 exec, exec, s[28:29]
	v_add_f32_e32 v2, v2, v1
	v_and_b32_sdwa v1, v2, s91 dst_sel:DWORD dst_unused:UNUSED_PAD src0_sel:BYTE_3 src1_sel:DWORD
	v_and_b32_e32 v26, 0x7f800000, v2
	v_mov_b32_e32 v27, v61
	v_and_b32_e32 v60, 0x7fffff, v2
	v_or_b32_e32 v47, 0x7e, v1
	v_cmp_ne_u64_e32 vcc, s[54:55], v[26:27]
	s_and_saveexec_b64 s[28:29], vcc
	s_xor_b64 s[36:37], exec, s[28:29]
	s_cbranch_execz .LBB2_3325
; %bb.3316:                             ;   in Loop: Header=BB2_3231 Depth=3
	v_and_b32_e32 v26, 0x7fffffff, v2
	v_mov_b32_e32 v27, v61
	v_cmp_gt_u64_e32 vcc, s[56:57], v[26:27]
	s_and_saveexec_b64 s[66:67], vcc
	s_cbranch_execz .LBB2_3324
; %bb.3317:                             ;   in Loop: Header=BB2_3231 Depth=3
	v_cmp_ne_u32_e32 vcc, 0, v2
	v_mov_b32_e32 v47, 0
	s_and_saveexec_b64 s[68:69], vcc
	s_cbranch_execz .LBB2_3323
; %bb.3318:                             ;   in Loop: Header=BB2_3231 Depth=3
	v_bfe_u32 v2, v2, 23, 8
	v_sub_u32_e32 v26, 0x79, v2
	v_cmp_gt_u32_e32 vcc, s93, v2
	v_add_u32_e32 v3, 0xffffff81, v2
	v_cndmask_b32_e32 v26, 0, v26, vcc
	v_cmp_eq_u32_e32 vcc, 0, v2
	v_mov_b32_e32 v2, 0xffffff82
	v_cndmask_b32_e32 v31, v3, v2, vcc
	v_mov_b32_e32 v2, 0x78
	v_cndmask_b32_e32 v26, v26, v2, vcc
	v_add_u32_e32 v2, 20, v26
	v_or_b32_e32 v27, 0x800000, v60
	v_lshlrev_b64 v[2:3], v2, -1
	v_cndmask_b32_e32 v60, v27, v60, vcc
	v_not_b32_e32 v2, v2
	v_and_b32_e32 v32, v60, v2
	v_add_u32_e32 v2, 19, v26
	v_lshrrev_b64 v[36:37], v26, v[60:61]
	v_not_b32_e32 v3, v3
	v_lshlrev_b64 v[34:35], v2, 1
	v_lshrrev_b32_e32 v2, 23, v36
	v_and_b32_e32 v33, 0, v3
	v_add3_u32 v26, v26, v31, v2
	v_bfe_u32 v2, v36, 20, 1
	v_add_u32_e32 v2, -1, v2
	v_cmp_eq_u64_e32 vcc, v[32:33], v[34:35]
	v_cndmask_b32_e32 v2, 0, v2, vcc
	v_add_u32_e32 v2, v2, v36
	v_and_b32_e32 v2, 0xfffff, v2
	v_add_co_u32_e32 v52, vcc, v2, v36
	v_add_u32_e32 v3, 6, v26
	v_addc_co_u32_e32 v53, vcc, 0, v37, vcc
	v_cmp_ne_u32_e32 vcc, 0, v3
                                        ; implicit-def: $vgpr2
	s_and_saveexec_b64 s[28:29], vcc
	s_xor_b64 s[28:29], exec, s[28:29]
; %bb.3319:                             ;   in Loop: Header=BB2_3231 Depth=3
	v_add_u32_e32 v2, 7, v26
	v_cmp_lt_u64_e32 vcc, s[58:59], v[52:53]
	v_cndmask_b32_e32 v2, v3, v2, vcc
	v_cndmask_b32_e64 v3, 0, 1, vcc
	v_lshrrev_b64 v[52:53], v3, v[52:53]
; %bb.3320:                             ;   in Loop: Header=BB2_3231 Depth=3
	s_andn2_saveexec_b64 s[28:29], s[28:29]
; %bb.3321:                             ;   in Loop: Header=BB2_3231 Depth=3
	v_bfe_u32 v2, v52, 23, 1
; %bb.3322:                             ;   in Loop: Header=BB2_3231 Depth=3
	s_or_b64 exec, exec, s[28:29]
	v_lshrrev_b64 v[26:27], 20, v[52:53]
	v_cmp_gt_i32_e32 vcc, 16, v2
	v_cndmask_b32_e32 v27, 0, v27, vcc
	v_cndmask_b32_e32 v26, 7, v26, vcc
	v_cmp_eq_u32_e32 vcc, 0, v2
	v_min_i32_e32 v2, 15, v2
	v_cmp_eq_u64_e64 s[28:29], 0, v[26:27]
	v_lshlrev_b32_e32 v2, 3, v2
	v_and_or_b32 v2, v26, 7, v2
	s_and_b64 s[28:29], vcc, s[28:29]
	v_cndmask_b32_e64 v2, v2, 0, s[28:29]
	v_or_b32_e32 v47, v2, v1
.LBB2_3323:                             ;   in Loop: Header=BB2_3231 Depth=3
	s_or_b64 exec, exec, s[68:69]
.LBB2_3324:                             ;   in Loop: Header=BB2_3231 Depth=3
	s_or_b64 exec, exec, s[66:67]
                                        ; implicit-def: $vgpr2
.LBB2_3325:                             ;   in Loop: Header=BB2_3231 Depth=3
	s_andn2_saveexec_b64 s[28:29], s[36:37]
; %bb.3326:                             ;   in Loop: Header=BB2_3231 Depth=3
	v_or_b32_sdwa v1, v2, s92 dst_sel:DWORD dst_unused:UNUSED_PAD src0_sel:BYTE_3 src1_sel:DWORD
	v_cmp_eq_u64_e32 vcc, 0, v[60:61]
	v_cndmask_b32_e32 v47, v1, v47, vcc
; %bb.3327:                             ;   in Loop: Header=BB2_3231 Depth=3
	s_or_b64 exec, exec, s[28:29]
	v_mov_b32_e32 v60, v21
	v_cmp_ne_u16_sdwa vcc, v21, v61 src0_sel:BYTE_0 src1_sel:DWORD
	v_mov_b32_e32 v2, 0
	v_mov_b32_e32 v1, 0
	s_and_saveexec_b64 s[28:29], vcc
	s_cbranch_execz .LBB2_3333
; %bb.3328:                             ;   in Loop: Header=BB2_3231 Depth=3
	v_cmp_ne_u16_sdwa vcc, v21, s91 src0_sel:BYTE_0 src1_sel:DWORD
	v_bfrev_b32_e32 v1, 1
	s_and_saveexec_b64 s[36:37], vcc
	s_cbranch_execz .LBB2_3332
; %bb.3329:                             ;   in Loop: Header=BB2_3231 Depth=3
	v_and_b32_e32 v3, 0x7f, v21
	v_cmp_ne_u32_e32 vcc, s92, v3
	v_mov_b32_e32 v1, 0x7f800001
	s_and_saveexec_b64 s[66:67], vcc
	s_cbranch_execz .LBB2_3331
; %bb.3330:                             ;   in Loop: Header=BB2_3231 Depth=3
	v_and_b32_e32 v1, 7, v21
	v_ffbh_u32_e32 v1, v1
	v_min_u32_e32 v1, 32, v1
	v_subrev_u32_e32 v27, 28, v1
	v_cmp_gt_u32_e32 vcc, 8, v3
	v_lshrrev_b32_e32 v26, 3, v3
	v_sub_u32_e32 v1, 29, v1
	v_cndmask_b32_e32 v3, 0, v27, vcc
	v_cndmask_b32_e32 v1, v26, v1, vcc
	v_lshlrev_b64 v[26:27], v3, v[60:61]
	v_lshlrev_b32_e32 v3, 20, v26
	v_lshlrev_b32_e32 v26, 24, v60
	v_and_b32_e32 v3, 0x700000, v3
	v_and_b32_e32 v26, 0x80000000, v26
	v_lshl_add_u32 v1, v1, 23, v0
	v_or3_b32 v1, v26, v1, v3
.LBB2_3331:                             ;   in Loop: Header=BB2_3231 Depth=3
	s_or_b64 exec, exec, s[66:67]
.LBB2_3332:                             ;   in Loop: Header=BB2_3231 Depth=3
	s_or_b64 exec, exec, s[36:37]
.LBB2_3333:                             ;   in Loop: Header=BB2_3231 Depth=3
	s_or_b64 exec, exec, s[28:29]
	v_cmp_ne_u16_sdwa vcc, v17, v61 src0_sel:BYTE_0 src1_sel:DWORD
	s_and_saveexec_b64 s[28:29], vcc
	s_cbranch_execz .LBB2_3339
; %bb.3334:                             ;   in Loop: Header=BB2_3231 Depth=3
	v_cmp_ne_u16_sdwa vcc, v17, s91 src0_sel:BYTE_0 src1_sel:DWORD
	v_bfrev_b32_e32 v2, 1
	s_and_saveexec_b64 s[36:37], vcc
	s_cbranch_execz .LBB2_3338
; %bb.3335:                             ;   in Loop: Header=BB2_3231 Depth=3
	v_and_b32_e32 v3, 0x7f, v17
	v_cmp_ne_u32_e32 vcc, s92, v3
	v_mov_b32_e32 v2, 0x7f800001
	s_and_saveexec_b64 s[66:67], vcc
	s_cbranch_execz .LBB2_3337
; %bb.3336:                             ;   in Loop: Header=BB2_3231 Depth=3
	v_and_b32_e32 v2, 7, v17
	v_ffbh_u32_e32 v2, v2
	v_min_u32_e32 v2, 32, v2
	v_lshrrev_b32_e32 v31, 3, v3
	v_subrev_u32_e32 v32, 28, v2
	v_sub_u32_e32 v2, 29, v2
	v_cmp_gt_u32_e32 vcc, 8, v3
	v_mov_b32_e32 v26, v17
	v_mov_b32_e32 v27, v61
	v_cndmask_b32_e32 v31, v31, v2, vcc
	v_cndmask_b32_e32 v2, 0, v32, vcc
	v_lshlrev_b64 v[2:3], v2, v[26:27]
	v_lshlrev_b32_e32 v2, 20, v2
	v_lshlrev_b32_e32 v3, 24, v26
	v_and_b32_e32 v2, 0x700000, v2
	v_and_b32_e32 v3, 0x80000000, v3
	v_lshl_add_u32 v26, v31, 23, v0
	v_or3_b32 v2, v3, v26, v2
.LBB2_3337:                             ;   in Loop: Header=BB2_3231 Depth=3
	s_or_b64 exec, exec, s[66:67]
.LBB2_3338:                             ;   in Loop: Header=BB2_3231 Depth=3
	s_or_b64 exec, exec, s[36:37]
.LBB2_3339:                             ;   in Loop: Header=BB2_3231 Depth=3
	s_or_b64 exec, exec, s[28:29]
	v_add_f32_e32 v2, v1, v2
	v_and_b32_sdwa v1, v2, s91 dst_sel:DWORD dst_unused:UNUSED_PAD src0_sel:BYTE_3 src1_sel:DWORD
	v_and_b32_e32 v32, 0x7f800000, v2
	v_mov_b32_e32 v33, v61
	v_and_b32_e32 v52, 0x7fffff, v2
	v_mov_b32_e32 v53, v61
	v_or_b32_e32 v26, 0x7e, v1
	v_cmp_ne_u64_e32 vcc, s[54:55], v[32:33]
	s_and_saveexec_b64 s[28:29], vcc
	s_xor_b64 s[36:37], exec, s[28:29]
	s_cbranch_execz .LBB2_3349
; %bb.3340:                             ;   in Loop: Header=BB2_3231 Depth=3
	v_and_b32_e32 v32, 0x7fffffff, v2
	v_mov_b32_e32 v33, v61
	v_cmp_gt_u64_e32 vcc, s[56:57], v[32:33]
	s_and_saveexec_b64 s[66:67], vcc
	s_cbranch_execz .LBB2_3348
; %bb.3341:                             ;   in Loop: Header=BB2_3231 Depth=3
	v_cmp_ne_u32_e32 vcc, 0, v2
	v_mov_b32_e32 v26, 0
	s_and_saveexec_b64 s[68:69], vcc
	s_cbranch_execz .LBB2_3347
; %bb.3342:                             ;   in Loop: Header=BB2_3231 Depth=3
	v_bfe_u32 v2, v2, 23, 8
	v_sub_u32_e32 v26, 0x79, v2
	v_cmp_gt_u32_e32 vcc, s93, v2
	v_add_u32_e32 v3, 0xffffff81, v2
	v_cndmask_b32_e32 v26, 0, v26, vcc
	v_cmp_eq_u32_e32 vcc, 0, v2
	v_mov_b32_e32 v2, 0xffffff82
	v_cndmask_b32_e32 v31, v3, v2, vcc
	v_mov_b32_e32 v2, 0x78
	v_cndmask_b32_e32 v26, v26, v2, vcc
	v_add_u32_e32 v2, 20, v26
	v_or_b32_e32 v27, 0x800000, v52
	v_lshlrev_b64 v[2:3], v2, -1
	v_cndmask_b32_e32 v52, v27, v52, vcc
	v_not_b32_e32 v2, v2
	v_and_b32_e32 v32, v52, v2
	v_add_u32_e32 v2, 19, v26
	v_lshrrev_b64 v[36:37], v26, v[52:53]
	v_not_b32_e32 v3, v3
	v_lshlrev_b64 v[34:35], v2, 1
	v_lshrrev_b32_e32 v2, 23, v36
	v_and_b32_e32 v33, 0, v3
	v_add3_u32 v26, v26, v31, v2
	v_bfe_u32 v2, v36, 20, 1
	v_add_u32_e32 v2, -1, v2
	v_cmp_eq_u64_e32 vcc, v[32:33], v[34:35]
	v_cndmask_b32_e32 v2, 0, v2, vcc
	v_add_u32_e32 v2, v2, v36
	v_and_b32_e32 v2, 0xfffff, v2
	v_add_co_u32_e32 v52, vcc, v2, v36
	v_add_u32_e32 v3, 6, v26
	v_addc_co_u32_e32 v53, vcc, 0, v37, vcc
	v_cmp_ne_u32_e32 vcc, 0, v3
                                        ; implicit-def: $vgpr2
	s_and_saveexec_b64 s[28:29], vcc
	s_xor_b64 s[28:29], exec, s[28:29]
; %bb.3343:                             ;   in Loop: Header=BB2_3231 Depth=3
	v_add_u32_e32 v2, 7, v26
	v_cmp_lt_u64_e32 vcc, s[58:59], v[52:53]
	v_cndmask_b32_e32 v2, v3, v2, vcc
	v_cndmask_b32_e64 v3, 0, 1, vcc
	v_lshrrev_b64 v[52:53], v3, v[52:53]
; %bb.3344:                             ;   in Loop: Header=BB2_3231 Depth=3
	s_andn2_saveexec_b64 s[28:29], s[28:29]
; %bb.3345:                             ;   in Loop: Header=BB2_3231 Depth=3
	v_bfe_u32 v2, v52, 23, 1
; %bb.3346:                             ;   in Loop: Header=BB2_3231 Depth=3
	s_or_b64 exec, exec, s[28:29]
	v_lshrrev_b64 v[26:27], 20, v[52:53]
	v_cmp_gt_i32_e32 vcc, 16, v2
	v_cndmask_b32_e32 v27, 0, v27, vcc
	v_cndmask_b32_e32 v26, 7, v26, vcc
	v_cmp_eq_u32_e32 vcc, 0, v2
	v_min_i32_e32 v2, 15, v2
	v_cmp_eq_u64_e64 s[28:29], 0, v[26:27]
	v_lshlrev_b32_e32 v2, 3, v2
	v_and_or_b32 v2, v26, 7, v2
	s_and_b64 s[28:29], vcc, s[28:29]
	v_cndmask_b32_e64 v2, v2, 0, s[28:29]
	v_or_b32_e32 v26, v2, v1
.LBB2_3347:                             ;   in Loop: Header=BB2_3231 Depth=3
	s_or_b64 exec, exec, s[68:69]
.LBB2_3348:                             ;   in Loop: Header=BB2_3231 Depth=3
	s_or_b64 exec, exec, s[66:67]
                                        ; implicit-def: $vgpr2
                                        ; implicit-def: $vgpr52_vgpr53
.LBB2_3349:                             ;   in Loop: Header=BB2_3231 Depth=3
	s_andn2_saveexec_b64 s[28:29], s[36:37]
; %bb.3350:                             ;   in Loop: Header=BB2_3231 Depth=3
	v_or_b32_sdwa v1, v2, s92 dst_sel:DWORD dst_unused:UNUSED_PAD src0_sel:BYTE_3 src1_sel:DWORD
	v_cmp_eq_u64_e32 vcc, 0, v[52:53]
	v_cndmask_b32_e32 v26, v1, v26, vcc
; %bb.3351:                             ;   in Loop: Header=BB2_3231 Depth=3
	s_or_b64 exec, exec, s[28:29]
	v_lshrrev_b16_e32 v52, 8, v60
	v_cmp_ne_u16_e32 vcc, 0, v52
	v_mov_b32_e32 v1, 0
	v_mov_b32_e32 v2, 0
	s_and_saveexec_b64 s[28:29], vcc
	s_cbranch_execz .LBB2_3357
; %bb.3352:                             ;   in Loop: Header=BB2_3231 Depth=3
	v_cmp_ne_u16_e32 vcc, s91, v52
	v_bfrev_b32_e32 v2, 1
	s_and_saveexec_b64 s[36:37], vcc
	s_cbranch_execz .LBB2_3356
; %bb.3353:                             ;   in Loop: Header=BB2_3231 Depth=3
	v_and_b32_e32 v3, 0x7f, v52
	v_cmp_ne_u32_e32 vcc, s92, v3
	v_mov_b32_e32 v2, 0x7f800001
	s_and_saveexec_b64 s[66:67], vcc
	s_cbranch_execz .LBB2_3355
; %bb.3354:                             ;   in Loop: Header=BB2_3231 Depth=3
	v_and_b32_e32 v2, 7, v52
	v_ffbh_u32_e32 v31, v2
	v_min_u32_e32 v31, 32, v31
	v_subrev_u32_e32 v32, 28, v31
	v_lshlrev_b64 v[32:33], v32, v[52:53]
	v_lshrrev_b32_e32 v27, 3, v3
	v_sub_u32_e32 v31, 29, v31
	v_and_b32_e32 v32, 7, v32
	v_cmp_gt_u32_e32 vcc, 8, v3
	v_cndmask_b32_e32 v3, v27, v31, vcc
	v_cndmask_b32_e32 v2, v2, v32, vcc
	v_lshlrev_b32_e32 v27, 16, v60
	v_lshlrev_b32_e32 v2, 20, v2
	v_and_b32_e32 v27, 0x80000000, v27
	v_lshl_add_u32 v3, v3, 23, v0
	v_or3_b32 v2, v27, v3, v2
.LBB2_3355:                             ;   in Loop: Header=BB2_3231 Depth=3
	s_or_b64 exec, exec, s[66:67]
.LBB2_3356:                             ;   in Loop: Header=BB2_3231 Depth=3
	s_or_b64 exec, exec, s[36:37]
.LBB2_3357:                             ;   in Loop: Header=BB2_3231 Depth=3
	s_or_b64 exec, exec, s[28:29]
	v_mov_b32_e32 v52, v17
	v_lshrrev_b16_e32 v42, 8, v52
	v_cmp_ne_u16_e32 vcc, 0, v42
	s_and_saveexec_b64 s[28:29], vcc
	s_cbranch_execz .LBB2_3363
; %bb.3358:                             ;   in Loop: Header=BB2_3231 Depth=3
	v_cmp_ne_u16_e32 vcc, s91, v42
	v_bfrev_b32_e32 v1, 1
	s_and_saveexec_b64 s[36:37], vcc
	s_cbranch_execz .LBB2_3362
; %bb.3359:                             ;   in Loop: Header=BB2_3231 Depth=3
	v_and_b32_e32 v3, 0x7f, v42
	v_cmp_ne_u32_e32 vcc, s92, v3
	v_mov_b32_e32 v1, 0x7f800001
	s_and_saveexec_b64 s[66:67], vcc
	s_cbranch_execz .LBB2_3361
; %bb.3360:                             ;   in Loop: Header=BB2_3231 Depth=3
	v_and_b32_e32 v1, 7, v42
	v_ffbh_u32_e32 v31, v1
	v_min_u32_e32 v31, 32, v31
	v_subrev_u32_e32 v32, 28, v31
	v_lshlrev_b64 v[32:33], v32, v[42:43]
	v_lshrrev_b32_e32 v27, 3, v3
	v_sub_u32_e32 v31, 29, v31
	v_and_b32_e32 v32, 7, v32
	v_cmp_gt_u32_e32 vcc, 8, v3
	v_cndmask_b32_e32 v3, v27, v31, vcc
	v_cndmask_b32_e32 v1, v1, v32, vcc
	v_lshlrev_b32_e32 v27, 16, v52
	v_lshlrev_b32_e32 v1, 20, v1
	v_and_b32_e32 v27, 0x80000000, v27
	v_lshl_add_u32 v3, v3, 23, v0
	v_or3_b32 v1, v27, v3, v1
.LBB2_3361:                             ;   in Loop: Header=BB2_3231 Depth=3
	s_or_b64 exec, exec, s[66:67]
.LBB2_3362:                             ;   in Loop: Header=BB2_3231 Depth=3
	s_or_b64 exec, exec, s[36:37]
.LBB2_3363:                             ;   in Loop: Header=BB2_3231 Depth=3
	s_or_b64 exec, exec, s[28:29]
	v_add_f32_e32 v2, v2, v1
	v_and_b32_sdwa v1, v2, s91 dst_sel:DWORD dst_unused:UNUSED_PAD src0_sel:BYTE_3 src1_sel:DWORD
	v_and_b32_e32 v32, 0x7f800000, v2
	v_mov_b32_e32 v33, v61
	v_and_b32_e32 v60, 0x7fffff, v2
	v_or_b32_e32 v36, 0x7e, v1
	v_cmp_ne_u64_e32 vcc, s[54:55], v[32:33]
	s_and_saveexec_b64 s[28:29], vcc
	s_xor_b64 s[36:37], exec, s[28:29]
	s_cbranch_execz .LBB2_3373
; %bb.3364:                             ;   in Loop: Header=BB2_3231 Depth=3
	v_and_b32_e32 v32, 0x7fffffff, v2
	v_mov_b32_e32 v33, v61
	v_cmp_gt_u64_e32 vcc, s[56:57], v[32:33]
	s_and_saveexec_b64 s[66:67], vcc
	s_cbranch_execz .LBB2_3372
; %bb.3365:                             ;   in Loop: Header=BB2_3231 Depth=3
	v_cmp_ne_u32_e32 vcc, 0, v2
	v_mov_b32_e32 v36, 0
	s_and_saveexec_b64 s[68:69], vcc
	s_cbranch_execz .LBB2_3371
; %bb.3366:                             ;   in Loop: Header=BB2_3231 Depth=3
	v_bfe_u32 v2, v2, 23, 8
	v_sub_u32_e32 v27, 0x79, v2
	v_cmp_gt_u32_e32 vcc, s93, v2
	v_add_u32_e32 v3, 0xffffff81, v2
	v_cndmask_b32_e32 v27, 0, v27, vcc
	v_cmp_eq_u32_e32 vcc, 0, v2
	v_mov_b32_e32 v2, 0xffffff82
	v_cndmask_b32_e32 v38, v3, v2, vcc
	v_mov_b32_e32 v2, 0x78
	v_cndmask_b32_e32 v27, v27, v2, vcc
	v_add_u32_e32 v2, 20, v27
	v_or_b32_e32 v31, 0x800000, v60
	v_lshlrev_b64 v[2:3], v2, -1
	v_cndmask_b32_e32 v60, v31, v60, vcc
	v_not_b32_e32 v2, v2
	v_and_b32_e32 v32, v60, v2
	v_add_u32_e32 v2, 19, v27
	v_lshrrev_b64 v[36:37], v27, v[60:61]
	v_not_b32_e32 v3, v3
	v_lshlrev_b64 v[34:35], v2, 1
	v_lshrrev_b32_e32 v2, 23, v36
	v_and_b32_e32 v33, 0, v3
	v_add3_u32 v27, v27, v38, v2
	v_bfe_u32 v2, v36, 20, 1
	v_add_u32_e32 v2, -1, v2
	v_cmp_eq_u64_e32 vcc, v[32:33], v[34:35]
	v_cndmask_b32_e32 v2, 0, v2, vcc
	v_add_u32_e32 v2, v2, v36
	v_and_b32_e32 v2, 0xfffff, v2
	v_add_co_u32_e32 v52, vcc, v2, v36
	v_add_u32_e32 v3, 6, v27
	v_addc_co_u32_e32 v53, vcc, 0, v37, vcc
	v_cmp_ne_u32_e32 vcc, 0, v3
                                        ; implicit-def: $vgpr2
	s_and_saveexec_b64 s[28:29], vcc
	s_xor_b64 s[28:29], exec, s[28:29]
; %bb.3367:                             ;   in Loop: Header=BB2_3231 Depth=3
	v_add_u32_e32 v2, 7, v27
	v_cmp_lt_u64_e32 vcc, s[58:59], v[52:53]
	v_cndmask_b32_e32 v2, v3, v2, vcc
	v_cndmask_b32_e64 v3, 0, 1, vcc
	v_lshrrev_b64 v[52:53], v3, v[52:53]
; %bb.3368:                             ;   in Loop: Header=BB2_3231 Depth=3
	s_andn2_saveexec_b64 s[28:29], s[28:29]
; %bb.3369:                             ;   in Loop: Header=BB2_3231 Depth=3
	v_bfe_u32 v2, v52, 23, 1
; %bb.3370:                             ;   in Loop: Header=BB2_3231 Depth=3
	s_or_b64 exec, exec, s[28:29]
	v_lshrrev_b64 v[32:33], 20, v[52:53]
	v_cmp_gt_i32_e32 vcc, 16, v2
	v_cndmask_b32_e32 v33, 0, v33, vcc
	v_cndmask_b32_e32 v32, 7, v32, vcc
	v_cmp_eq_u32_e32 vcc, 0, v2
	v_min_i32_e32 v2, 15, v2
	v_cmp_eq_u64_e64 s[28:29], 0, v[32:33]
	v_lshlrev_b32_e32 v2, 3, v2
	v_and_or_b32 v2, v32, 7, v2
	s_and_b64 s[28:29], vcc, s[28:29]
	v_cndmask_b32_e64 v2, v2, 0, s[28:29]
	v_or_b32_e32 v36, v2, v1
.LBB2_3371:                             ;   in Loop: Header=BB2_3231 Depth=3
	s_or_b64 exec, exec, s[68:69]
.LBB2_3372:                             ;   in Loop: Header=BB2_3231 Depth=3
	s_or_b64 exec, exec, s[66:67]
                                        ; implicit-def: $vgpr2
.LBB2_3373:                             ;   in Loop: Header=BB2_3231 Depth=3
	s_andn2_saveexec_b64 s[28:29], s[36:37]
; %bb.3374:                             ;   in Loop: Header=BB2_3231 Depth=3
	v_or_b32_sdwa v1, v2, s92 dst_sel:DWORD dst_unused:UNUSED_PAD src0_sel:BYTE_3 src1_sel:DWORD
	v_cmp_eq_u64_e32 vcc, 0, v[60:61]
	v_cndmask_b32_e32 v36, v1, v36, vcc
; %bb.3375:                             ;   in Loop: Header=BB2_3231 Depth=3
	s_or_b64 exec, exec, s[28:29]
	v_lshrrev_b32_e32 v52, 16, v21
	v_cmp_ne_u16_sdwa vcc, v52, v61 src0_sel:BYTE_0 src1_sel:DWORD
	v_mov_b32_e32 v1, 0
	v_mov_b32_e32 v2, 0
	s_and_saveexec_b64 s[28:29], vcc
	s_cbranch_execz .LBB2_3381
; %bb.3376:                             ;   in Loop: Header=BB2_3231 Depth=3
	v_cmp_ne_u16_sdwa vcc, v52, s91 src0_sel:BYTE_0 src1_sel:DWORD
	v_bfrev_b32_e32 v2, 1
	s_and_saveexec_b64 s[36:37], vcc
	s_cbranch_execz .LBB2_3380
; %bb.3377:                             ;   in Loop: Header=BB2_3231 Depth=3
	v_bfe_u32 v3, v21, 16, 7
	v_cmp_ne_u32_e32 vcc, s92, v3
	v_mov_b32_e32 v2, 0x7f800001
	s_and_saveexec_b64 s[66:67], vcc
	s_cbranch_execz .LBB2_3379
; %bb.3378:                             ;   in Loop: Header=BB2_3231 Depth=3
	v_and_b32_e32 v2, 7, v52
	v_ffbh_u32_e32 v31, v2
	v_min_u32_e32 v31, 32, v31
	v_subrev_u32_e32 v32, 28, v31
	v_lshlrev_b64 v[32:33], v32, v[52:53]
	v_lshrrev_b32_e32 v27, 3, v3
	v_sub_u32_e32 v31, 29, v31
	v_and_b32_e32 v32, 7, v32
	v_cmp_gt_u32_e32 vcc, 8, v3
	v_cndmask_b32_e32 v3, v27, v31, vcc
	v_cndmask_b32_e32 v2, v2, v32, vcc
	v_lshlrev_b32_e32 v27, 24, v52
	v_lshlrev_b32_e32 v2, 20, v2
	v_and_b32_e32 v27, 0x80000000, v27
	v_lshl_add_u32 v3, v3, 23, v0
	v_or3_b32 v2, v27, v3, v2
.LBB2_3379:                             ;   in Loop: Header=BB2_3231 Depth=3
	s_or_b64 exec, exec, s[66:67]
.LBB2_3380:                             ;   in Loop: Header=BB2_3231 Depth=3
	s_or_b64 exec, exec, s[36:37]
.LBB2_3381:                             ;   in Loop: Header=BB2_3231 Depth=3
	s_or_b64 exec, exec, s[28:29]
	v_lshrrev_b32_e32 v52, 16, v17
	v_cmp_ne_u16_sdwa vcc, v52, v61 src0_sel:BYTE_0 src1_sel:DWORD
	s_and_saveexec_b64 s[28:29], vcc
	s_cbranch_execz .LBB2_3387
; %bb.3382:                             ;   in Loop: Header=BB2_3231 Depth=3
	v_cmp_ne_u16_sdwa vcc, v52, s91 src0_sel:BYTE_0 src1_sel:DWORD
	v_bfrev_b32_e32 v1, 1
	s_and_saveexec_b64 s[36:37], vcc
	s_cbranch_execz .LBB2_3386
; %bb.3383:                             ;   in Loop: Header=BB2_3231 Depth=3
	v_bfe_u32 v3, v17, 16, 7
	v_cmp_ne_u32_e32 vcc, s92, v3
	v_mov_b32_e32 v1, 0x7f800001
	s_and_saveexec_b64 s[66:67], vcc
	s_cbranch_execz .LBB2_3385
; %bb.3384:                             ;   in Loop: Header=BB2_3231 Depth=3
	v_and_b32_e32 v1, 7, v52
	v_ffbh_u32_e32 v31, v1
	v_min_u32_e32 v31, 32, v31
	v_subrev_u32_e32 v32, 28, v31
	v_lshlrev_b64 v[32:33], v32, v[52:53]
	v_lshrrev_b32_e32 v27, 3, v3
	v_sub_u32_e32 v31, 29, v31
	v_and_b32_e32 v32, 7, v32
	v_cmp_gt_u32_e32 vcc, 8, v3
	v_cndmask_b32_e32 v3, v27, v31, vcc
	v_cndmask_b32_e32 v1, v1, v32, vcc
	v_lshlrev_b32_e32 v27, 8, v17
	v_lshlrev_b32_e32 v1, 20, v1
	v_and_b32_e32 v27, 0x80000000, v27
	v_lshl_add_u32 v3, v3, 23, v0
	v_or3_b32 v1, v27, v3, v1
.LBB2_3385:                             ;   in Loop: Header=BB2_3231 Depth=3
	s_or_b64 exec, exec, s[66:67]
.LBB2_3386:                             ;   in Loop: Header=BB2_3231 Depth=3
	s_or_b64 exec, exec, s[36:37]
.LBB2_3387:                             ;   in Loop: Header=BB2_3231 Depth=3
	s_or_b64 exec, exec, s[28:29]
	v_add_f32_e32 v2, v2, v1
	v_and_b32_sdwa v1, v2, s91 dst_sel:DWORD dst_unused:UNUSED_PAD src0_sel:BYTE_3 src1_sel:DWORD
	v_and_b32_e32 v32, 0x7f800000, v2
	v_mov_b32_e32 v33, v61
	v_and_b32_e32 v60, 0x7fffff, v2
	v_or_b32_e32 v37, 0x7e, v1
	v_cmp_ne_u64_e32 vcc, s[54:55], v[32:33]
	s_and_saveexec_b64 s[28:29], vcc
	s_xor_b64 s[36:37], exec, s[28:29]
	s_cbranch_execz .LBB2_3397
; %bb.3388:                             ;   in Loop: Header=BB2_3231 Depth=3
	v_and_b32_e32 v32, 0x7fffffff, v2
	v_mov_b32_e32 v33, v61
	v_cmp_gt_u64_e32 vcc, s[56:57], v[32:33]
	s_and_saveexec_b64 s[66:67], vcc
	s_cbranch_execz .LBB2_3396
; %bb.3389:                             ;   in Loop: Header=BB2_3231 Depth=3
	v_cmp_ne_u32_e32 vcc, 0, v2
	v_mov_b32_e32 v37, 0
	s_and_saveexec_b64 s[68:69], vcc
	s_cbranch_execz .LBB2_3395
; %bb.3390:                             ;   in Loop: Header=BB2_3231 Depth=3
	v_bfe_u32 v2, v2, 23, 8
	v_sub_u32_e32 v27, 0x79, v2
	v_cmp_gt_u32_e32 vcc, s93, v2
	v_add_u32_e32 v3, 0xffffff81, v2
	v_cndmask_b32_e32 v27, 0, v27, vcc
	v_cmp_eq_u32_e32 vcc, 0, v2
	v_mov_b32_e32 v2, 0xffffff82
	v_cndmask_b32_e32 v37, v3, v2, vcc
	v_mov_b32_e32 v2, 0x78
	v_cndmask_b32_e32 v27, v27, v2, vcc
	v_add_u32_e32 v2, 20, v27
	v_or_b32_e32 v31, 0x800000, v60
	v_lshlrev_b64 v[2:3], v2, -1
	v_cndmask_b32_e32 v60, v31, v60, vcc
	v_not_b32_e32 v2, v2
	v_and_b32_e32 v32, v60, v2
	v_add_u32_e32 v2, 19, v27
	v_lshrrev_b64 v[38:39], v27, v[60:61]
	v_not_b32_e32 v3, v3
	v_lshlrev_b64 v[34:35], v2, 1
	v_lshrrev_b32_e32 v2, 23, v38
	v_and_b32_e32 v33, 0, v3
	v_add3_u32 v27, v27, v37, v2
	v_bfe_u32 v2, v38, 20, 1
	v_add_u32_e32 v2, -1, v2
	v_cmp_eq_u64_e32 vcc, v[32:33], v[34:35]
	v_cndmask_b32_e32 v2, 0, v2, vcc
	v_add_u32_e32 v2, v2, v38
	v_and_b32_e32 v2, 0xfffff, v2
	v_add_co_u32_e32 v52, vcc, v2, v38
	v_add_u32_e32 v3, 6, v27
	v_addc_co_u32_e32 v53, vcc, 0, v39, vcc
	v_cmp_ne_u32_e32 vcc, 0, v3
                                        ; implicit-def: $vgpr2
	s_and_saveexec_b64 s[28:29], vcc
	s_xor_b64 s[28:29], exec, s[28:29]
; %bb.3391:                             ;   in Loop: Header=BB2_3231 Depth=3
	v_add_u32_e32 v2, 7, v27
	v_cmp_lt_u64_e32 vcc, s[58:59], v[52:53]
	v_cndmask_b32_e32 v2, v3, v2, vcc
	v_cndmask_b32_e64 v3, 0, 1, vcc
	v_lshrrev_b64 v[52:53], v3, v[52:53]
; %bb.3392:                             ;   in Loop: Header=BB2_3231 Depth=3
	s_andn2_saveexec_b64 s[28:29], s[28:29]
; %bb.3393:                             ;   in Loop: Header=BB2_3231 Depth=3
	v_bfe_u32 v2, v52, 23, 1
; %bb.3394:                             ;   in Loop: Header=BB2_3231 Depth=3
	s_or_b64 exec, exec, s[28:29]
	v_lshrrev_b64 v[32:33], 20, v[52:53]
	v_cmp_gt_i32_e32 vcc, 16, v2
	v_cndmask_b32_e32 v33, 0, v33, vcc
	v_cndmask_b32_e32 v32, 7, v32, vcc
	v_cmp_eq_u32_e32 vcc, 0, v2
	v_min_i32_e32 v2, 15, v2
	v_lshlrev_b32_e32 v2, 3, v2
	v_cmp_eq_u64_e64 s[28:29], 0, v[32:33]
	v_and_b32_e32 v2, 0xf8, v2
	v_and_or_b32 v2, v32, 7, v2
	s_and_b64 s[28:29], vcc, s[28:29]
	v_cndmask_b32_e64 v2, v2, 0, s[28:29]
	v_or_b32_e32 v37, v2, v1
.LBB2_3395:                             ;   in Loop: Header=BB2_3231 Depth=3
	s_or_b64 exec, exec, s[68:69]
.LBB2_3396:                             ;   in Loop: Header=BB2_3231 Depth=3
	s_or_b64 exec, exec, s[66:67]
                                        ; implicit-def: $vgpr2
.LBB2_3397:                             ;   in Loop: Header=BB2_3231 Depth=3
	s_andn2_saveexec_b64 s[28:29], s[36:37]
; %bb.3398:                             ;   in Loop: Header=BB2_3231 Depth=3
	v_or_b32_sdwa v1, v2, s92 dst_sel:DWORD dst_unused:UNUSED_PAD src0_sel:BYTE_3 src1_sel:DWORD
	v_cmp_eq_u64_e32 vcc, 0, v[60:61]
	v_cndmask_b32_e32 v37, v1, v37, vcc
; %bb.3399:                             ;   in Loop: Header=BB2_3231 Depth=3
	s_or_b64 exec, exec, s[28:29]
	v_cmp_lt_u64_e32 vcc, s[44:45], v[20:21]
	v_mov_b32_e32 v1, 0
	v_mov_b32_e32 v2, 0
	s_and_saveexec_b64 s[28:29], vcc
	s_cbranch_execz .LBB2_3405
; %bb.3400:                             ;   in Loop: Header=BB2_3231 Depth=3
	v_lshrrev_b32_e32 v20, 24, v21
	v_cmp_ne_u32_e32 vcc, s91, v20
	v_bfrev_b32_e32 v2, 1
	s_and_saveexec_b64 s[36:37], vcc
	s_cbranch_execz .LBB2_3404
; %bb.3401:                             ;   in Loop: Header=BB2_3231 Depth=3
	v_bfe_u32 v3, v21, 24, 7
	v_cmp_ne_u32_e32 vcc, s92, v3
	v_mov_b32_e32 v2, 0x7f800001
	s_and_saveexec_b64 s[66:67], vcc
	s_cbranch_execz .LBB2_3403
; %bb.3402:                             ;   in Loop: Header=BB2_3231 Depth=3
	v_and_b32_e32 v2, 7, v20
	v_ffbh_u32_e32 v27, v2
	v_min_u32_e32 v27, 32, v27
	v_lshrrev_b32_e32 v21, 3, v3
	v_subrev_u32_e32 v31, 28, v27
	v_lshlrev_b64 v[32:33], v31, v[20:21]
	v_sub_u32_e32 v27, 29, v27
	v_and_b32_e32 v31, 7, v32
	v_cmp_gt_u32_e32 vcc, 8, v3
	v_cndmask_b32_e32 v3, v21, v27, vcc
	v_cndmask_b32_e32 v2, v2, v31, vcc
	v_lshlrev_b32_e32 v20, 24, v20
	v_lshlrev_b32_e32 v2, 20, v2
	v_and_b32_e32 v20, 0x80000000, v20
	v_lshl_add_u32 v3, v3, 23, v0
	v_or3_b32 v2, v20, v3, v2
.LBB2_3403:                             ;   in Loop: Header=BB2_3231 Depth=3
	s_or_b64 exec, exec, s[66:67]
.LBB2_3404:                             ;   in Loop: Header=BB2_3231 Depth=3
	s_or_b64 exec, exec, s[36:37]
.LBB2_3405:                             ;   in Loop: Header=BB2_3231 Depth=3
	s_or_b64 exec, exec, s[28:29]
	v_cmp_lt_u64_e32 vcc, s[44:45], v[16:17]
	s_and_saveexec_b64 s[28:29], vcc
	s_cbranch_execz .LBB2_3411
; %bb.3406:                             ;   in Loop: Header=BB2_3231 Depth=3
	v_lshrrev_b32_e32 v16, 24, v17
	v_cmp_ne_u32_e32 vcc, s91, v16
	v_bfrev_b32_e32 v1, 1
	s_and_saveexec_b64 s[36:37], vcc
	s_cbranch_execz .LBB2_3410
; %bb.3407:                             ;   in Loop: Header=BB2_3231 Depth=3
	v_bfe_u32 v3, v17, 24, 7
	v_cmp_ne_u32_e32 vcc, s92, v3
	v_mov_b32_e32 v1, 0x7f800001
	s_and_saveexec_b64 s[66:67], vcc
	s_cbranch_execz .LBB2_3409
; %bb.3408:                             ;   in Loop: Header=BB2_3231 Depth=3
	v_and_b32_e32 v1, 7, v16
	v_ffbh_u32_e32 v20, v1
	v_min_u32_e32 v27, 32, v20
	v_lshrrev_b32_e32 v17, 3, v3
	v_subrev_u32_e32 v20, 28, v27
	v_lshlrev_b64 v[20:21], v20, v[16:17]
	v_sub_u32_e32 v21, 29, v27
	v_and_b32_e32 v20, 7, v20
	v_cmp_gt_u32_e32 vcc, 8, v3
	v_cndmask_b32_e32 v3, v17, v21, vcc
	v_cndmask_b32_e32 v1, v1, v20, vcc
	v_lshlrev_b32_e32 v16, 24, v16
	v_lshlrev_b32_e32 v1, 20, v1
	v_and_b32_e32 v16, 0x80000000, v16
	v_lshl_add_u32 v3, v3, 23, v0
	v_or3_b32 v1, v16, v3, v1
.LBB2_3409:                             ;   in Loop: Header=BB2_3231 Depth=3
	s_or_b64 exec, exec, s[66:67]
.LBB2_3410:                             ;   in Loop: Header=BB2_3231 Depth=3
	s_or_b64 exec, exec, s[36:37]
.LBB2_3411:                             ;   in Loop: Header=BB2_3231 Depth=3
	s_or_b64 exec, exec, s[28:29]
	v_add_f32_e32 v2, v2, v1
	v_and_b32_sdwa v1, v2, s91 dst_sel:DWORD dst_unused:UNUSED_PAD src0_sel:BYTE_3 src1_sel:DWORD
	v_and_b32_e32 v16, 0x7f800000, v2
	v_mov_b32_e32 v17, v61
	v_and_b32_e32 v60, 0x7fffff, v2
	v_or_b32_e32 v21, 0x7e, v1
	v_cmp_ne_u64_e32 vcc, s[54:55], v[16:17]
	s_and_saveexec_b64 s[28:29], vcc
	s_xor_b64 s[36:37], exec, s[28:29]
	s_cbranch_execz .LBB2_3421
; %bb.3412:                             ;   in Loop: Header=BB2_3231 Depth=3
	v_and_b32_e32 v16, 0x7fffffff, v2
	v_mov_b32_e32 v17, v61
	v_cmp_gt_u64_e32 vcc, s[56:57], v[16:17]
	s_and_saveexec_b64 s[66:67], vcc
	s_cbranch_execz .LBB2_3420
; %bb.3413:                             ;   in Loop: Header=BB2_3231 Depth=3
	v_cmp_ne_u32_e32 vcc, 0, v2
	v_mov_b32_e32 v21, 0
	s_and_saveexec_b64 s[68:69], vcc
	s_cbranch_execz .LBB2_3419
; %bb.3414:                             ;   in Loop: Header=BB2_3231 Depth=3
	v_bfe_u32 v2, v2, 23, 8
	v_sub_u32_e32 v16, 0x79, v2
	v_cmp_gt_u32_e32 vcc, s93, v2
	v_add_u32_e32 v3, 0xffffff81, v2
	v_cndmask_b32_e32 v16, 0, v16, vcc
	v_cmp_eq_u32_e32 vcc, 0, v2
	v_mov_b32_e32 v2, 0xffffff82
	v_cndmask_b32_e32 v20, v3, v2, vcc
	v_mov_b32_e32 v2, 0x78
	v_cndmask_b32_e32 v21, v16, v2, vcc
	v_add_u32_e32 v2, 20, v21
	v_or_b32_e32 v17, 0x800000, v60
	v_lshlrev_b64 v[2:3], v2, -1
	v_cndmask_b32_e32 v60, v17, v60, vcc
	v_not_b32_e32 v2, v2
	v_and_b32_e32 v16, v60, v2
	v_add_u32_e32 v2, 19, v21
	v_lshrrev_b64 v[34:35], v21, v[60:61]
	v_not_b32_e32 v3, v3
	v_lshlrev_b64 v[32:33], v2, 1
	v_lshrrev_b32_e32 v2, 23, v34
	v_and_b32_e32 v17, 0, v3
	v_add3_u32 v20, v21, v20, v2
	v_bfe_u32 v2, v34, 20, 1
	v_add_u32_e32 v2, -1, v2
	v_cmp_eq_u64_e32 vcc, v[16:17], v[32:33]
	v_cndmask_b32_e32 v2, 0, v2, vcc
	v_add_u32_e32 v2, v2, v34
	v_and_b32_e32 v2, 0xfffff, v2
	v_add_co_u32_e32 v16, vcc, v2, v34
	v_add_u32_e32 v3, 6, v20
	v_addc_co_u32_e32 v17, vcc, 0, v35, vcc
	v_cmp_ne_u32_e32 vcc, 0, v3
                                        ; implicit-def: $vgpr2
	s_and_saveexec_b64 s[28:29], vcc
	s_xor_b64 s[28:29], exec, s[28:29]
; %bb.3415:                             ;   in Loop: Header=BB2_3231 Depth=3
	v_add_u32_e32 v2, 7, v20
	v_cmp_lt_u64_e32 vcc, s[58:59], v[16:17]
	v_cndmask_b32_e32 v2, v3, v2, vcc
	v_cndmask_b32_e64 v3, 0, 1, vcc
	v_lshrrev_b64 v[16:17], v3, v[16:17]
; %bb.3416:                             ;   in Loop: Header=BB2_3231 Depth=3
	s_andn2_saveexec_b64 s[28:29], s[28:29]
; %bb.3417:                             ;   in Loop: Header=BB2_3231 Depth=3
	v_bfe_u32 v2, v16, 23, 1
; %bb.3418:                             ;   in Loop: Header=BB2_3231 Depth=3
	s_or_b64 exec, exec, s[28:29]
	v_lshrrev_b64 v[16:17], 20, v[16:17]
	v_cmp_gt_i32_e32 vcc, 16, v2
	v_cndmask_b32_e32 v17, 0, v17, vcc
	v_cndmask_b32_e32 v16, 7, v16, vcc
	v_cmp_eq_u32_e32 vcc, 0, v2
	v_min_i32_e32 v2, 15, v2
	v_lshlrev_b32_e32 v2, 3, v2
	v_cmp_eq_u64_e64 s[28:29], 0, v[16:17]
	v_and_b32_e32 v2, 0xf8, v2
	v_and_or_b32 v2, v16, 7, v2
	s_and_b64 s[28:29], vcc, s[28:29]
	v_cndmask_b32_e64 v2, v2, 0, s[28:29]
	v_or_b32_e32 v21, v2, v1
.LBB2_3419:                             ;   in Loop: Header=BB2_3231 Depth=3
	s_or_b64 exec, exec, s[68:69]
.LBB2_3420:                             ;   in Loop: Header=BB2_3231 Depth=3
	s_or_b64 exec, exec, s[66:67]
                                        ; implicit-def: $vgpr2
.LBB2_3421:                             ;   in Loop: Header=BB2_3231 Depth=3
	s_andn2_saveexec_b64 s[28:29], s[36:37]
; %bb.3422:                             ;   in Loop: Header=BB2_3231 Depth=3
	v_or_b32_sdwa v1, v2, s92 dst_sel:DWORD dst_unused:UNUSED_PAD src0_sel:BYTE_3 src1_sel:DWORD
	v_cmp_eq_u64_e32 vcc, 0, v[60:61]
	v_cndmask_b32_e32 v21, v1, v21, vcc
; %bb.3423:                             ;   in Loop: Header=BB2_3231 Depth=3
	s_or_b64 exec, exec, s[28:29]
	v_cmp_ne_u16_sdwa vcc, v22, v61 src0_sel:BYTE_0 src1_sel:DWORD
	v_mov_b32_e32 v1, 0
	v_mov_b32_e32 v2, 0
	s_and_saveexec_b64 s[28:29], vcc
	s_cbranch_execz .LBB2_3429
; %bb.3424:                             ;   in Loop: Header=BB2_3231 Depth=3
	v_cmp_ne_u16_sdwa vcc, v22, s91 src0_sel:BYTE_0 src1_sel:DWORD
	v_bfrev_b32_e32 v2, 1
	s_and_saveexec_b64 s[36:37], vcc
	s_cbranch_execz .LBB2_3428
; %bb.3425:                             ;   in Loop: Header=BB2_3231 Depth=3
	v_and_b32_e32 v3, 0x7f, v22
	v_cmp_ne_u32_e32 vcc, s92, v3
	v_mov_b32_e32 v2, 0x7f800001
	s_and_saveexec_b64 s[66:67], vcc
	s_cbranch_execz .LBB2_3427
; %bb.3426:                             ;   in Loop: Header=BB2_3231 Depth=3
	v_and_b32_e32 v2, 7, v22
	v_ffbh_u32_e32 v2, v2
	v_min_u32_e32 v2, 32, v2
	v_lshrrev_b32_e32 v16, 3, v3
	v_subrev_u32_e32 v17, 28, v2
	v_sub_u32_e32 v2, 29, v2
	v_cmp_gt_u32_e32 vcc, 8, v3
	v_cndmask_b32_e32 v16, v16, v2, vcc
	v_cndmask_b32_e32 v2, 0, v17, vcc
	v_lshlrev_b64 v[2:3], v2, v[22:23]
	v_lshlrev_b32_e32 v2, 20, v2
	v_lshlrev_b32_e32 v3, 24, v22
	v_and_b32_e32 v2, 0x700000, v2
	v_and_b32_e32 v3, 0x80000000, v3
	v_lshl_add_u32 v16, v16, 23, v0
	v_or3_b32 v2, v3, v16, v2
.LBB2_3427:                             ;   in Loop: Header=BB2_3231 Depth=3
	s_or_b64 exec, exec, s[66:67]
.LBB2_3428:                             ;   in Loop: Header=BB2_3231 Depth=3
	s_or_b64 exec, exec, s[36:37]
.LBB2_3429:                             ;   in Loop: Header=BB2_3231 Depth=3
	s_or_b64 exec, exec, s[28:29]
	v_cmp_ne_u16_sdwa vcc, v18, v61 src0_sel:BYTE_0 src1_sel:DWORD
	s_and_saveexec_b64 s[28:29], vcc
	s_cbranch_execz .LBB2_3435
; %bb.3430:                             ;   in Loop: Header=BB2_3231 Depth=3
	v_cmp_ne_u16_sdwa vcc, v18, s91 src0_sel:BYTE_0 src1_sel:DWORD
	v_bfrev_b32_e32 v1, 1
	s_and_saveexec_b64 s[36:37], vcc
	s_cbranch_execz .LBB2_3434
; %bb.3431:                             ;   in Loop: Header=BB2_3231 Depth=3
	v_and_b32_e32 v3, 0x7f, v18
	v_cmp_ne_u32_e32 vcc, s92, v3
	v_mov_b32_e32 v1, 0x7f800001
	s_and_saveexec_b64 s[66:67], vcc
	s_cbranch_execz .LBB2_3433
; %bb.3432:                             ;   in Loop: Header=BB2_3231 Depth=3
	v_and_b32_e32 v1, 7, v18
	v_ffbh_u32_e32 v1, v1
	v_min_u32_e32 v1, 32, v1
	v_subrev_u32_e32 v17, 28, v1
	v_cmp_gt_u32_e32 vcc, 8, v3
	v_lshrrev_b32_e32 v16, 3, v3
	v_sub_u32_e32 v1, 29, v1
	v_cndmask_b32_e32 v3, 0, v17, vcc
	v_cndmask_b32_e32 v1, v16, v1, vcc
	v_lshlrev_b64 v[16:17], v3, v[18:19]
	v_lshlrev_b32_e32 v3, 20, v16
	v_lshlrev_b32_e32 v16, 24, v18
	v_and_b32_e32 v3, 0x700000, v3
	v_and_b32_e32 v16, 0x80000000, v16
	v_lshl_add_u32 v1, v1, 23, v0
	v_or3_b32 v1, v16, v1, v3
.LBB2_3433:                             ;   in Loop: Header=BB2_3231 Depth=3
	s_or_b64 exec, exec, s[66:67]
.LBB2_3434:                             ;   in Loop: Header=BB2_3231 Depth=3
	s_or_b64 exec, exec, s[36:37]
.LBB2_3435:                             ;   in Loop: Header=BB2_3231 Depth=3
	s_or_b64 exec, exec, s[28:29]
	v_add_f32_e32 v2, v2, v1
	v_and_b32_sdwa v1, v2, s91 dst_sel:DWORD dst_unused:UNUSED_PAD src0_sel:BYTE_3 src1_sel:DWORD
	v_and_b32_e32 v16, 0x7f800000, v2
	v_mov_b32_e32 v17, v61
	v_and_b32_e32 v60, 0x7fffff, v2
	v_or_b32_e32 v52, 0x7e, v1
	v_cmp_ne_u64_e32 vcc, s[54:55], v[16:17]
	s_and_saveexec_b64 s[28:29], vcc
	s_xor_b64 s[36:37], exec, s[28:29]
	s_cbranch_execz .LBB2_3445
; %bb.3436:                             ;   in Loop: Header=BB2_3231 Depth=3
	v_and_b32_e32 v16, 0x7fffffff, v2
	v_mov_b32_e32 v17, v61
	v_cmp_gt_u64_e32 vcc, s[56:57], v[16:17]
	s_and_saveexec_b64 s[66:67], vcc
	s_cbranch_execz .LBB2_3444
; %bb.3437:                             ;   in Loop: Header=BB2_3231 Depth=3
	v_cmp_ne_u32_e32 vcc, 0, v2
	v_mov_b32_e32 v52, 0
	s_and_saveexec_b64 s[68:69], vcc
	s_cbranch_execz .LBB2_3443
; %bb.3438:                             ;   in Loop: Header=BB2_3231 Depth=3
	v_bfe_u32 v2, v2, 23, 8
	v_sub_u32_e32 v16, 0x79, v2
	v_cmp_gt_u32_e32 vcc, s93, v2
	v_add_u32_e32 v3, 0xffffff81, v2
	v_cndmask_b32_e32 v16, 0, v16, vcc
	v_cmp_eq_u32_e32 vcc, 0, v2
	v_mov_b32_e32 v2, 0xffffff82
	v_cndmask_b32_e32 v20, v3, v2, vcc
	v_mov_b32_e32 v2, 0x78
	v_cndmask_b32_e32 v27, v16, v2, vcc
	v_add_u32_e32 v2, 20, v27
	v_or_b32_e32 v17, 0x800000, v60
	v_lshlrev_b64 v[2:3], v2, -1
	v_cndmask_b32_e32 v60, v17, v60, vcc
	v_not_b32_e32 v2, v2
	v_and_b32_e32 v16, v60, v2
	v_add_u32_e32 v2, 19, v27
	v_lshrrev_b64 v[34:35], v27, v[60:61]
	v_not_b32_e32 v3, v3
	v_lshlrev_b64 v[32:33], v2, 1
	v_lshrrev_b32_e32 v2, 23, v34
	v_and_b32_e32 v17, 0, v3
	v_add3_u32 v20, v27, v20, v2
	v_bfe_u32 v2, v34, 20, 1
	v_add_u32_e32 v2, -1, v2
	v_cmp_eq_u64_e32 vcc, v[16:17], v[32:33]
	v_cndmask_b32_e32 v2, 0, v2, vcc
	v_add_u32_e32 v2, v2, v34
	v_and_b32_e32 v2, 0xfffff, v2
	v_add_co_u32_e32 v16, vcc, v2, v34
	v_add_u32_e32 v3, 6, v20
	v_addc_co_u32_e32 v17, vcc, 0, v35, vcc
	v_cmp_ne_u32_e32 vcc, 0, v3
                                        ; implicit-def: $vgpr2
	s_and_saveexec_b64 s[28:29], vcc
	s_xor_b64 s[28:29], exec, s[28:29]
; %bb.3439:                             ;   in Loop: Header=BB2_3231 Depth=3
	v_add_u32_e32 v2, 7, v20
	v_cmp_lt_u64_e32 vcc, s[58:59], v[16:17]
	v_cndmask_b32_e32 v2, v3, v2, vcc
	v_cndmask_b32_e64 v3, 0, 1, vcc
	v_lshrrev_b64 v[16:17], v3, v[16:17]
; %bb.3440:                             ;   in Loop: Header=BB2_3231 Depth=3
	s_andn2_saveexec_b64 s[28:29], s[28:29]
; %bb.3441:                             ;   in Loop: Header=BB2_3231 Depth=3
	v_bfe_u32 v2, v16, 23, 1
; %bb.3442:                             ;   in Loop: Header=BB2_3231 Depth=3
	s_or_b64 exec, exec, s[28:29]
	v_lshrrev_b64 v[16:17], 20, v[16:17]
	v_cmp_gt_i32_e32 vcc, 16, v2
	v_cndmask_b32_e32 v17, 0, v17, vcc
	v_cndmask_b32_e32 v16, 7, v16, vcc
	v_cmp_eq_u32_e32 vcc, 0, v2
	v_min_i32_e32 v2, 15, v2
	v_cmp_eq_u64_e64 s[28:29], 0, v[16:17]
	v_lshlrev_b32_e32 v2, 3, v2
	v_and_or_b32 v2, v16, 7, v2
	s_and_b64 s[28:29], vcc, s[28:29]
	v_cndmask_b32_e64 v2, v2, 0, s[28:29]
	v_or_b32_e32 v52, v2, v1
.LBB2_3443:                             ;   in Loop: Header=BB2_3231 Depth=3
	s_or_b64 exec, exec, s[68:69]
.LBB2_3444:                             ;   in Loop: Header=BB2_3231 Depth=3
	s_or_b64 exec, exec, s[66:67]
                                        ; implicit-def: $vgpr2
.LBB2_3445:                             ;   in Loop: Header=BB2_3231 Depth=3
	s_andn2_saveexec_b64 s[28:29], s[36:37]
; %bb.3446:                             ;   in Loop: Header=BB2_3231 Depth=3
	v_or_b32_sdwa v1, v2, s92 dst_sel:DWORD dst_unused:UNUSED_PAD src0_sel:BYTE_3 src1_sel:DWORD
	v_cmp_eq_u64_e32 vcc, 0, v[60:61]
	v_cndmask_b32_e32 v52, v1, v52, vcc
; %bb.3447:                             ;   in Loop: Header=BB2_3231 Depth=3
	s_or_b64 exec, exec, s[28:29]
	v_lshrrev_b16_e32 v16, 8, v22
	v_cmp_ne_u16_e32 vcc, 0, v16
	v_mov_b32_e32 v1, 0
	v_mov_b32_e32 v2, 0
	s_and_saveexec_b64 s[28:29], vcc
	s_cbranch_execz .LBB2_3453
; %bb.3448:                             ;   in Loop: Header=BB2_3231 Depth=3
	v_cmp_ne_u16_e32 vcc, s91, v16
	v_bfrev_b32_e32 v2, 1
	s_and_saveexec_b64 s[36:37], vcc
	s_cbranch_execz .LBB2_3452
; %bb.3449:                             ;   in Loop: Header=BB2_3231 Depth=3
	v_and_b32_e32 v3, 0x7f, v16
	v_cmp_ne_u32_e32 vcc, s92, v3
	v_mov_b32_e32 v2, 0x7f800001
	s_and_saveexec_b64 s[66:67], vcc
	s_cbranch_execz .LBB2_3451
; %bb.3450:                             ;   in Loop: Header=BB2_3231 Depth=3
	v_and_b32_e32 v2, 7, v16
	v_ffbh_u32_e32 v17, v2
	v_min_u32_e32 v27, 32, v17
	v_subrev_u32_e32 v17, 28, v27
	v_lshlrev_b64 v[16:17], v17, v[16:17]
	v_lshrrev_b32_e32 v20, 3, v3
	v_sub_u32_e32 v17, 29, v27
	v_and_b32_e32 v16, 7, v16
	v_cmp_gt_u32_e32 vcc, 8, v3
	v_cndmask_b32_e32 v3, v20, v17, vcc
	v_cndmask_b32_e32 v2, v2, v16, vcc
	v_lshlrev_b32_e32 v16, 16, v22
	v_lshlrev_b32_e32 v2, 20, v2
	v_and_b32_e32 v16, 0x80000000, v16
	v_lshl_add_u32 v3, v3, 23, v0
	v_or3_b32 v2, v16, v3, v2
.LBB2_3451:                             ;   in Loop: Header=BB2_3231 Depth=3
	s_or_b64 exec, exec, s[66:67]
.LBB2_3452:                             ;   in Loop: Header=BB2_3231 Depth=3
	s_or_b64 exec, exec, s[36:37]
.LBB2_3453:                             ;   in Loop: Header=BB2_3231 Depth=3
	s_or_b64 exec, exec, s[28:29]
	v_lshrrev_b16_e32 v16, 8, v18
	v_cmp_ne_u16_e32 vcc, 0, v16
	s_and_saveexec_b64 s[28:29], vcc
	s_cbranch_execz .LBB2_3459
; %bb.3454:                             ;   in Loop: Header=BB2_3231 Depth=3
	v_cmp_ne_u16_e32 vcc, s91, v16
	v_bfrev_b32_e32 v1, 1
	s_and_saveexec_b64 s[36:37], vcc
	s_cbranch_execz .LBB2_3458
; %bb.3455:                             ;   in Loop: Header=BB2_3231 Depth=3
	v_and_b32_e32 v3, 0x7f, v16
	v_cmp_ne_u32_e32 vcc, s92, v3
	v_mov_b32_e32 v1, 0x7f800001
	s_and_saveexec_b64 s[66:67], vcc
	s_cbranch_execz .LBB2_3457
; %bb.3456:                             ;   in Loop: Header=BB2_3231 Depth=3
	v_and_b32_e32 v1, 7, v16
	v_ffbh_u32_e32 v17, v1
	v_min_u32_e32 v27, 32, v17
	v_subrev_u32_e32 v17, 28, v27
	v_lshlrev_b64 v[16:17], v17, v[16:17]
	v_lshrrev_b32_e32 v20, 3, v3
	v_sub_u32_e32 v17, 29, v27
	v_and_b32_e32 v16, 7, v16
	v_cmp_gt_u32_e32 vcc, 8, v3
	v_cndmask_b32_e32 v3, v20, v17, vcc
	v_cndmask_b32_e32 v1, v1, v16, vcc
	v_lshlrev_b32_e32 v16, 16, v18
	v_lshlrev_b32_e32 v1, 20, v1
	v_and_b32_e32 v16, 0x80000000, v16
	v_lshl_add_u32 v3, v3, 23, v0
	v_or3_b32 v1, v16, v3, v1
.LBB2_3457:                             ;   in Loop: Header=BB2_3231 Depth=3
	s_or_b64 exec, exec, s[66:67]
.LBB2_3458:                             ;   in Loop: Header=BB2_3231 Depth=3
	s_or_b64 exec, exec, s[36:37]
.LBB2_3459:                             ;   in Loop: Header=BB2_3231 Depth=3
	s_or_b64 exec, exec, s[28:29]
	v_add_f32_e32 v2, v2, v1
	v_and_b32_sdwa v1, v2, s91 dst_sel:DWORD dst_unused:UNUSED_PAD src0_sel:BYTE_3 src1_sel:DWORD
	v_and_b32_e32 v16, 0x7f800000, v2
	v_mov_b32_e32 v17, v61
	v_and_b32_e32 v60, 0x7fffff, v2
	v_or_b32_e32 v53, 0x7e, v1
	v_cmp_ne_u64_e32 vcc, s[54:55], v[16:17]
	s_and_saveexec_b64 s[28:29], vcc
	s_xor_b64 s[36:37], exec, s[28:29]
	s_cbranch_execz .LBB2_3469
; %bb.3460:                             ;   in Loop: Header=BB2_3231 Depth=3
	v_and_b32_e32 v16, 0x7fffffff, v2
	v_mov_b32_e32 v17, v61
	v_cmp_gt_u64_e32 vcc, s[56:57], v[16:17]
	s_and_saveexec_b64 s[66:67], vcc
	s_cbranch_execz .LBB2_3468
; %bb.3461:                             ;   in Loop: Header=BB2_3231 Depth=3
	v_cmp_ne_u32_e32 vcc, 0, v2
	v_mov_b32_e32 v53, 0
	s_and_saveexec_b64 s[68:69], vcc
	s_cbranch_execz .LBB2_3467
; %bb.3462:                             ;   in Loop: Header=BB2_3231 Depth=3
	v_bfe_u32 v2, v2, 23, 8
	v_sub_u32_e32 v16, 0x79, v2
	v_cmp_gt_u32_e32 vcc, s93, v2
	v_add_u32_e32 v3, 0xffffff81, v2
	v_cndmask_b32_e32 v16, 0, v16, vcc
	v_cmp_eq_u32_e32 vcc, 0, v2
	v_mov_b32_e32 v2, 0xffffff82
	v_cndmask_b32_e32 v20, v3, v2, vcc
	v_mov_b32_e32 v2, 0x78
	v_cndmask_b32_e32 v27, v16, v2, vcc
	v_add_u32_e32 v2, 20, v27
	v_or_b32_e32 v17, 0x800000, v60
	v_lshlrev_b64 v[2:3], v2, -1
	v_cndmask_b32_e32 v60, v17, v60, vcc
	v_not_b32_e32 v2, v2
	v_and_b32_e32 v16, v60, v2
	v_add_u32_e32 v2, 19, v27
	v_lshrrev_b64 v[34:35], v27, v[60:61]
	v_not_b32_e32 v3, v3
	v_lshlrev_b64 v[32:33], v2, 1
	v_lshrrev_b32_e32 v2, 23, v34
	v_and_b32_e32 v17, 0, v3
	v_add3_u32 v20, v27, v20, v2
	v_bfe_u32 v2, v34, 20, 1
	v_add_u32_e32 v2, -1, v2
	v_cmp_eq_u64_e32 vcc, v[16:17], v[32:33]
	v_cndmask_b32_e32 v2, 0, v2, vcc
	v_add_u32_e32 v2, v2, v34
	v_and_b32_e32 v2, 0xfffff, v2
	v_add_co_u32_e32 v16, vcc, v2, v34
	v_add_u32_e32 v3, 6, v20
	v_addc_co_u32_e32 v17, vcc, 0, v35, vcc
	v_cmp_ne_u32_e32 vcc, 0, v3
                                        ; implicit-def: $vgpr2
	s_and_saveexec_b64 s[28:29], vcc
	s_xor_b64 s[28:29], exec, s[28:29]
; %bb.3463:                             ;   in Loop: Header=BB2_3231 Depth=3
	v_add_u32_e32 v2, 7, v20
	v_cmp_lt_u64_e32 vcc, s[58:59], v[16:17]
	v_cndmask_b32_e32 v2, v3, v2, vcc
	v_cndmask_b32_e64 v3, 0, 1, vcc
	v_lshrrev_b64 v[16:17], v3, v[16:17]
; %bb.3464:                             ;   in Loop: Header=BB2_3231 Depth=3
	s_andn2_saveexec_b64 s[28:29], s[28:29]
; %bb.3465:                             ;   in Loop: Header=BB2_3231 Depth=3
	v_bfe_u32 v2, v16, 23, 1
; %bb.3466:                             ;   in Loop: Header=BB2_3231 Depth=3
	s_or_b64 exec, exec, s[28:29]
	v_lshrrev_b64 v[16:17], 20, v[16:17]
	v_cmp_gt_i32_e32 vcc, 16, v2
	v_cndmask_b32_e32 v17, 0, v17, vcc
	v_cndmask_b32_e32 v16, 7, v16, vcc
	v_cmp_eq_u32_e32 vcc, 0, v2
	v_min_i32_e32 v2, 15, v2
	v_cmp_eq_u64_e64 s[28:29], 0, v[16:17]
	v_lshlrev_b32_e32 v2, 3, v2
	v_and_or_b32 v2, v16, 7, v2
	s_and_b64 s[28:29], vcc, s[28:29]
	v_cndmask_b32_e64 v2, v2, 0, s[28:29]
	v_or_b32_e32 v53, v2, v1
.LBB2_3467:                             ;   in Loop: Header=BB2_3231 Depth=3
	s_or_b64 exec, exec, s[68:69]
.LBB2_3468:                             ;   in Loop: Header=BB2_3231 Depth=3
	s_or_b64 exec, exec, s[66:67]
                                        ; implicit-def: $vgpr2
.LBB2_3469:                             ;   in Loop: Header=BB2_3231 Depth=3
	s_andn2_saveexec_b64 s[28:29], s[36:37]
; %bb.3470:                             ;   in Loop: Header=BB2_3231 Depth=3
	v_or_b32_sdwa v1, v2, s92 dst_sel:DWORD dst_unused:UNUSED_PAD src0_sel:BYTE_3 src1_sel:DWORD
	v_cmp_eq_u64_e32 vcc, 0, v[60:61]
	v_cndmask_b32_e32 v53, v1, v53, vcc
; %bb.3471:                             ;   in Loop: Header=BB2_3231 Depth=3
	s_or_b64 exec, exec, s[28:29]
	v_lshrrev_b32_e32 v16, 16, v22
	v_cmp_ne_u16_sdwa vcc, v16, v61 src0_sel:BYTE_0 src1_sel:DWORD
	v_mov_b32_e32 v1, 0
	v_mov_b32_e32 v2, 0
	s_and_saveexec_b64 s[28:29], vcc
	s_cbranch_execz .LBB2_3477
; %bb.3472:                             ;   in Loop: Header=BB2_3231 Depth=3
	v_cmp_ne_u16_sdwa vcc, v16, s91 src0_sel:BYTE_0 src1_sel:DWORD
	v_bfrev_b32_e32 v2, 1
	s_and_saveexec_b64 s[36:37], vcc
	s_cbranch_execz .LBB2_3476
; %bb.3473:                             ;   in Loop: Header=BB2_3231 Depth=3
	v_bfe_u32 v3, v22, 16, 7
	v_cmp_ne_u32_e32 vcc, s92, v3
	v_mov_b32_e32 v2, 0x7f800001
	s_and_saveexec_b64 s[66:67], vcc
	s_cbranch_execz .LBB2_3475
; %bb.3474:                             ;   in Loop: Header=BB2_3231 Depth=3
	v_and_b32_e32 v2, 7, v16
	v_ffbh_u32_e32 v20, v2
	v_min_u32_e32 v20, 32, v20
	v_lshrrev_b32_e32 v17, 3, v3
	v_subrev_u32_e32 v27, 28, v20
	v_lshlrev_b64 v[32:33], v27, v[16:17]
	v_sub_u32_e32 v20, 29, v20
	v_and_b32_e32 v27, 7, v32
	v_cmp_gt_u32_e32 vcc, 8, v3
	v_cndmask_b32_e32 v3, v17, v20, vcc
	v_cndmask_b32_e32 v2, v2, v27, vcc
	v_lshlrev_b32_e32 v16, 24, v16
	v_lshlrev_b32_e32 v2, 20, v2
	v_and_b32_e32 v16, 0x80000000, v16
	v_lshl_add_u32 v3, v3, 23, v0
	v_or3_b32 v2, v16, v3, v2
.LBB2_3475:                             ;   in Loop: Header=BB2_3231 Depth=3
	s_or_b64 exec, exec, s[66:67]
.LBB2_3476:                             ;   in Loop: Header=BB2_3231 Depth=3
	s_or_b64 exec, exec, s[36:37]
.LBB2_3477:                             ;   in Loop: Header=BB2_3231 Depth=3
	s_or_b64 exec, exec, s[28:29]
	v_lshrrev_b32_e32 v16, 16, v18
	v_cmp_ne_u16_sdwa vcc, v16, v61 src0_sel:BYTE_0 src1_sel:DWORD
	s_and_saveexec_b64 s[28:29], vcc
	s_cbranch_execz .LBB2_3483
; %bb.3478:                             ;   in Loop: Header=BB2_3231 Depth=3
	v_cmp_ne_u16_sdwa vcc, v16, s91 src0_sel:BYTE_0 src1_sel:DWORD
	v_bfrev_b32_e32 v1, 1
	s_and_saveexec_b64 s[36:37], vcc
	s_cbranch_execz .LBB2_3482
; %bb.3479:                             ;   in Loop: Header=BB2_3231 Depth=3
	v_bfe_u32 v3, v18, 16, 7
	v_cmp_ne_u32_e32 vcc, s92, v3
	v_mov_b32_e32 v1, 0x7f800001
	s_and_saveexec_b64 s[66:67], vcc
	s_cbranch_execz .LBB2_3481
; %bb.3480:                             ;   in Loop: Header=BB2_3231 Depth=3
	v_and_b32_e32 v1, 7, v16
	v_ffbh_u32_e32 v17, v1
	v_min_u32_e32 v27, 32, v17
	v_subrev_u32_e32 v17, 28, v27
	v_lshlrev_b64 v[16:17], v17, v[16:17]
	v_lshrrev_b32_e32 v20, 3, v3
	v_sub_u32_e32 v17, 29, v27
	v_and_b32_e32 v16, 7, v16
	v_cmp_gt_u32_e32 vcc, 8, v3
	v_cndmask_b32_e32 v3, v20, v17, vcc
	v_cndmask_b32_e32 v1, v1, v16, vcc
	v_lshlrev_b32_e32 v16, 8, v18
	v_lshlrev_b32_e32 v1, 20, v1
	v_and_b32_e32 v16, 0x80000000, v16
	v_lshl_add_u32 v3, v3, 23, v0
	v_or3_b32 v1, v16, v3, v1
.LBB2_3481:                             ;   in Loop: Header=BB2_3231 Depth=3
	s_or_b64 exec, exec, s[66:67]
.LBB2_3482:                             ;   in Loop: Header=BB2_3231 Depth=3
	s_or_b64 exec, exec, s[36:37]
.LBB2_3483:                             ;   in Loop: Header=BB2_3231 Depth=3
	s_or_b64 exec, exec, s[28:29]
	v_add_f32_e32 v2, v2, v1
	v_and_b32_sdwa v1, v2, s91 dst_sel:DWORD dst_unused:UNUSED_PAD src0_sel:BYTE_3 src1_sel:DWORD
	v_and_b32_e32 v16, 0x7f800000, v2
	v_mov_b32_e32 v17, v61
	v_and_b32_e32 v60, 0x7fffff, v2
	v_or_b32_e32 v42, 0x7e, v1
	v_cmp_ne_u64_e32 vcc, s[54:55], v[16:17]
	s_and_saveexec_b64 s[28:29], vcc
	s_xor_b64 s[36:37], exec, s[28:29]
	s_cbranch_execz .LBB2_3493
; %bb.3484:                             ;   in Loop: Header=BB2_3231 Depth=3
	v_and_b32_e32 v16, 0x7fffffff, v2
	v_mov_b32_e32 v17, v61
	v_cmp_gt_u64_e32 vcc, s[56:57], v[16:17]
	s_and_saveexec_b64 s[66:67], vcc
	s_cbranch_execz .LBB2_3492
; %bb.3485:                             ;   in Loop: Header=BB2_3231 Depth=3
	v_cmp_ne_u32_e32 vcc, 0, v2
	v_mov_b32_e32 v42, 0
	s_and_saveexec_b64 s[68:69], vcc
	s_cbranch_execz .LBB2_3491
; %bb.3486:                             ;   in Loop: Header=BB2_3231 Depth=3
	v_bfe_u32 v2, v2, 23, 8
	v_sub_u32_e32 v16, 0x79, v2
	v_cmp_gt_u32_e32 vcc, s93, v2
	v_add_u32_e32 v3, 0xffffff81, v2
	v_cndmask_b32_e32 v16, 0, v16, vcc
	v_cmp_eq_u32_e32 vcc, 0, v2
	v_mov_b32_e32 v2, 0xffffff82
	v_cndmask_b32_e32 v20, v3, v2, vcc
	v_mov_b32_e32 v2, 0x78
	v_cndmask_b32_e32 v27, v16, v2, vcc
	v_add_u32_e32 v2, 20, v27
	v_or_b32_e32 v17, 0x800000, v60
	v_lshlrev_b64 v[2:3], v2, -1
	v_cndmask_b32_e32 v60, v17, v60, vcc
	v_not_b32_e32 v2, v2
	v_and_b32_e32 v16, v60, v2
	v_add_u32_e32 v2, 19, v27
	v_lshrrev_b64 v[34:35], v27, v[60:61]
	v_not_b32_e32 v3, v3
	v_lshlrev_b64 v[32:33], v2, 1
	v_lshrrev_b32_e32 v2, 23, v34
	v_and_b32_e32 v17, 0, v3
	v_add3_u32 v20, v27, v20, v2
	v_bfe_u32 v2, v34, 20, 1
	v_add_u32_e32 v2, -1, v2
	v_cmp_eq_u64_e32 vcc, v[16:17], v[32:33]
	v_cndmask_b32_e32 v2, 0, v2, vcc
	v_add_u32_e32 v2, v2, v34
	v_and_b32_e32 v2, 0xfffff, v2
	v_add_co_u32_e32 v16, vcc, v2, v34
	v_add_u32_e32 v3, 6, v20
	v_addc_co_u32_e32 v17, vcc, 0, v35, vcc
	v_cmp_ne_u32_e32 vcc, 0, v3
                                        ; implicit-def: $vgpr2
	s_and_saveexec_b64 s[28:29], vcc
	s_xor_b64 s[28:29], exec, s[28:29]
; %bb.3487:                             ;   in Loop: Header=BB2_3231 Depth=3
	v_add_u32_e32 v2, 7, v20
	v_cmp_lt_u64_e32 vcc, s[58:59], v[16:17]
	v_cndmask_b32_e32 v2, v3, v2, vcc
	v_cndmask_b32_e64 v3, 0, 1, vcc
	v_lshrrev_b64 v[16:17], v3, v[16:17]
; %bb.3488:                             ;   in Loop: Header=BB2_3231 Depth=3
	s_andn2_saveexec_b64 s[28:29], s[28:29]
; %bb.3489:                             ;   in Loop: Header=BB2_3231 Depth=3
	v_bfe_u32 v2, v16, 23, 1
; %bb.3490:                             ;   in Loop: Header=BB2_3231 Depth=3
	s_or_b64 exec, exec, s[28:29]
	v_lshrrev_b64 v[16:17], 20, v[16:17]
	v_cmp_gt_i32_e32 vcc, 16, v2
	v_cndmask_b32_e32 v17, 0, v17, vcc
	v_cndmask_b32_e32 v16, 7, v16, vcc
	v_cmp_eq_u32_e32 vcc, 0, v2
	v_min_i32_e32 v2, 15, v2
	v_cmp_eq_u64_e64 s[28:29], 0, v[16:17]
	v_lshlrev_b32_e32 v2, 3, v2
	v_and_or_b32 v2, v16, 7, v2
	s_and_b64 s[28:29], vcc, s[28:29]
	v_cndmask_b32_e64 v2, v2, 0, s[28:29]
	v_or_b32_e32 v42, v2, v1
.LBB2_3491:                             ;   in Loop: Header=BB2_3231 Depth=3
	s_or_b64 exec, exec, s[68:69]
.LBB2_3492:                             ;   in Loop: Header=BB2_3231 Depth=3
	s_or_b64 exec, exec, s[66:67]
                                        ; implicit-def: $vgpr2
.LBB2_3493:                             ;   in Loop: Header=BB2_3231 Depth=3
	s_andn2_saveexec_b64 s[28:29], s[36:37]
; %bb.3494:                             ;   in Loop: Header=BB2_3231 Depth=3
	v_or_b32_sdwa v1, v2, s92 dst_sel:DWORD dst_unused:UNUSED_PAD src0_sel:BYTE_3 src1_sel:DWORD
	v_cmp_eq_u64_e32 vcc, 0, v[60:61]
	v_cndmask_b32_e32 v42, v1, v42, vcc
; %bb.3495:                             ;   in Loop: Header=BB2_3231 Depth=3
	s_or_b64 exec, exec, s[28:29]
	v_cmp_lt_u32_e32 vcc, s45, v22
	v_mov_b32_e32 v1, 0
	v_mov_b32_e32 v2, 0
	s_and_saveexec_b64 s[28:29], vcc
	s_cbranch_execz .LBB2_3501
; %bb.3496:                             ;   in Loop: Header=BB2_3231 Depth=3
	v_lshrrev_b32_e32 v16, 24, v22
	v_cmp_ne_u32_e32 vcc, s91, v16
	v_bfrev_b32_e32 v2, 1
	s_and_saveexec_b64 s[36:37], vcc
	s_cbranch_execz .LBB2_3500
; %bb.3497:                             ;   in Loop: Header=BB2_3231 Depth=3
	v_bfe_u32 v3, v22, 24, 7
	v_cmp_ne_u32_e32 vcc, s92, v3
	v_mov_b32_e32 v2, 0x7f800001
	s_and_saveexec_b64 s[66:67], vcc
	s_cbranch_execz .LBB2_3499
; %bb.3498:                             ;   in Loop: Header=BB2_3231 Depth=3
	v_and_b32_e32 v2, 7, v16
	v_ffbh_u32_e32 v20, v2
	v_min_u32_e32 v20, 32, v20
	v_lshrrev_b32_e32 v17, 3, v3
	v_subrev_u32_e32 v27, 28, v20
	v_lshlrev_b64 v[32:33], v27, v[16:17]
	v_sub_u32_e32 v20, 29, v20
	v_and_b32_e32 v27, 7, v32
	v_cmp_gt_u32_e32 vcc, 8, v3
	v_cndmask_b32_e32 v3, v17, v20, vcc
	v_cndmask_b32_e32 v2, v2, v27, vcc
	v_lshlrev_b32_e32 v16, 24, v16
	v_lshlrev_b32_e32 v2, 20, v2
	v_and_b32_e32 v16, 0x80000000, v16
	v_lshl_add_u32 v3, v3, 23, v0
	v_or3_b32 v2, v16, v3, v2
.LBB2_3499:                             ;   in Loop: Header=BB2_3231 Depth=3
	s_or_b64 exec, exec, s[66:67]
.LBB2_3500:                             ;   in Loop: Header=BB2_3231 Depth=3
	s_or_b64 exec, exec, s[36:37]
.LBB2_3501:                             ;   in Loop: Header=BB2_3231 Depth=3
	s_or_b64 exec, exec, s[28:29]
	v_cmp_lt_u32_e32 vcc, s45, v18
	s_and_saveexec_b64 s[28:29], vcc
	s_cbranch_execz .LBB2_3507
; %bb.3502:                             ;   in Loop: Header=BB2_3231 Depth=3
	v_lshrrev_b32_e32 v16, 24, v18
	v_cmp_ne_u32_e32 vcc, s91, v16
	v_bfrev_b32_e32 v1, 1
	s_and_saveexec_b64 s[36:37], vcc
	s_cbranch_execz .LBB2_3506
; %bb.3503:                             ;   in Loop: Header=BB2_3231 Depth=3
	v_bfe_u32 v3, v18, 24, 7
	v_cmp_ne_u32_e32 vcc, s92, v3
	v_mov_b32_e32 v1, 0x7f800001
	s_and_saveexec_b64 s[66:67], vcc
	s_cbranch_execz .LBB2_3505
; %bb.3504:                             ;   in Loop: Header=BB2_3231 Depth=3
	v_and_b32_e32 v1, 7, v16
	v_ffbh_u32_e32 v20, v1
	v_min_u32_e32 v20, 32, v20
	v_lshrrev_b32_e32 v17, 3, v3
	v_subrev_u32_e32 v27, 28, v20
	v_lshlrev_b64 v[32:33], v27, v[16:17]
	v_sub_u32_e32 v20, 29, v20
	v_and_b32_e32 v27, 7, v32
	v_cmp_gt_u32_e32 vcc, 8, v3
	v_cndmask_b32_e32 v3, v17, v20, vcc
	v_cndmask_b32_e32 v1, v1, v27, vcc
	v_lshlrev_b32_e32 v16, 24, v16
	v_lshlrev_b32_e32 v1, 20, v1
	v_and_b32_e32 v16, 0x80000000, v16
	v_lshl_add_u32 v3, v3, 23, v0
	v_or3_b32 v1, v16, v3, v1
.LBB2_3505:                             ;   in Loop: Header=BB2_3231 Depth=3
	s_or_b64 exec, exec, s[66:67]
.LBB2_3506:                             ;   in Loop: Header=BB2_3231 Depth=3
	s_or_b64 exec, exec, s[36:37]
.LBB2_3507:                             ;   in Loop: Header=BB2_3231 Depth=3
	s_or_b64 exec, exec, s[28:29]
	v_add_f32_e32 v2, v2, v1
	v_and_b32_sdwa v1, v2, s91 dst_sel:DWORD dst_unused:UNUSED_PAD src0_sel:BYTE_3 src1_sel:DWORD
	v_and_b32_e32 v16, 0x7f800000, v2
	v_mov_b32_e32 v17, v61
	v_and_b32_e32 v60, 0x7fffff, v2
	v_or_b32_e32 v3, 0x7e, v1
	v_cmp_ne_u64_e32 vcc, s[54:55], v[16:17]
	s_and_saveexec_b64 s[28:29], vcc
	s_xor_b64 s[36:37], exec, s[28:29]
	s_cbranch_execz .LBB2_3517
; %bb.3508:                             ;   in Loop: Header=BB2_3231 Depth=3
	v_and_b32_e32 v16, 0x7fffffff, v2
	v_mov_b32_e32 v17, v61
	v_cmp_gt_u64_e32 vcc, s[56:57], v[16:17]
	s_and_saveexec_b64 s[66:67], vcc
	s_cbranch_execz .LBB2_3516
; %bb.3509:                             ;   in Loop: Header=BB2_3231 Depth=3
	v_cmp_ne_u32_e32 vcc, 0, v2
	v_mov_b32_e32 v3, 0
	s_and_saveexec_b64 s[68:69], vcc
	s_cbranch_execz .LBB2_3515
; %bb.3510:                             ;   in Loop: Header=BB2_3231 Depth=3
	v_bfe_u32 v2, v2, 23, 8
	v_sub_u32_e32 v16, 0x79, v2
	v_cmp_gt_u32_e32 vcc, s93, v2
	v_add_u32_e32 v3, 0xffffff81, v2
	v_cndmask_b32_e32 v16, 0, v16, vcc
	v_cmp_eq_u32_e32 vcc, 0, v2
	v_mov_b32_e32 v2, 0xffffff82
	v_cndmask_b32_e32 v20, v3, v2, vcc
	v_mov_b32_e32 v2, 0x78
	v_cndmask_b32_e32 v27, v16, v2, vcc
	v_add_u32_e32 v2, 20, v27
	v_or_b32_e32 v17, 0x800000, v60
	v_lshlrev_b64 v[2:3], v2, -1
	v_cndmask_b32_e32 v60, v17, v60, vcc
	v_not_b32_e32 v2, v2
	v_and_b32_e32 v16, v60, v2
	v_add_u32_e32 v2, 19, v27
	v_lshrrev_b64 v[34:35], v27, v[60:61]
	v_not_b32_e32 v3, v3
	v_lshlrev_b64 v[32:33], v2, 1
	v_lshrrev_b32_e32 v2, 23, v34
	v_and_b32_e32 v17, 0, v3
	v_add3_u32 v20, v27, v20, v2
	v_bfe_u32 v2, v34, 20, 1
	v_add_u32_e32 v2, -1, v2
	v_cmp_eq_u64_e32 vcc, v[16:17], v[32:33]
	v_cndmask_b32_e32 v2, 0, v2, vcc
	v_add_u32_e32 v2, v2, v34
	v_and_b32_e32 v2, 0xfffff, v2
	v_add_co_u32_e32 v16, vcc, v2, v34
	v_add_u32_e32 v3, 6, v20
	v_addc_co_u32_e32 v17, vcc, 0, v35, vcc
	v_cmp_ne_u32_e32 vcc, 0, v3
                                        ; implicit-def: $vgpr2
	s_and_saveexec_b64 s[28:29], vcc
	s_xor_b64 s[28:29], exec, s[28:29]
; %bb.3511:                             ;   in Loop: Header=BB2_3231 Depth=3
	v_add_u32_e32 v2, 7, v20
	v_cmp_lt_u64_e32 vcc, s[58:59], v[16:17]
	v_cndmask_b32_e32 v2, v3, v2, vcc
	v_cndmask_b32_e64 v3, 0, 1, vcc
	v_lshrrev_b64 v[16:17], v3, v[16:17]
; %bb.3512:                             ;   in Loop: Header=BB2_3231 Depth=3
	s_andn2_saveexec_b64 s[28:29], s[28:29]
; %bb.3513:                             ;   in Loop: Header=BB2_3231 Depth=3
	v_bfe_u32 v2, v16, 23, 1
; %bb.3514:                             ;   in Loop: Header=BB2_3231 Depth=3
	s_or_b64 exec, exec, s[28:29]
	v_lshrrev_b64 v[16:17], 20, v[16:17]
	v_cmp_gt_i32_e32 vcc, 16, v2
	v_cndmask_b32_e32 v17, 0, v17, vcc
	v_cndmask_b32_e32 v16, 7, v16, vcc
	v_cmp_eq_u32_e32 vcc, 0, v2
	v_min_i32_e32 v2, 15, v2
	v_cmp_eq_u64_e64 s[28:29], 0, v[16:17]
	v_lshlrev_b32_e32 v2, 3, v2
	v_and_or_b32 v2, v16, 7, v2
	s_and_b64 s[28:29], vcc, s[28:29]
	v_cndmask_b32_e64 v2, v2, 0, s[28:29]
	v_or_b32_e32 v3, v2, v1
.LBB2_3515:                             ;   in Loop: Header=BB2_3231 Depth=3
	s_or_b64 exec, exec, s[68:69]
.LBB2_3516:                             ;   in Loop: Header=BB2_3231 Depth=3
	s_or_b64 exec, exec, s[66:67]
                                        ; implicit-def: $vgpr2
.LBB2_3517:                             ;   in Loop: Header=BB2_3231 Depth=3
	s_andn2_saveexec_b64 s[28:29], s[36:37]
; %bb.3518:                             ;   in Loop: Header=BB2_3231 Depth=3
	v_or_b32_sdwa v1, v2, s92 dst_sel:DWORD dst_unused:UNUSED_PAD src0_sel:BYTE_3 src1_sel:DWORD
	v_cmp_eq_u64_e32 vcc, 0, v[60:61]
	v_cndmask_b32_e32 v3, v1, v3, vcc
; %bb.3519:                             ;   in Loop: Header=BB2_3231 Depth=3
	s_or_b64 exec, exec, s[28:29]
	v_mov_b32_e32 v60, v23
	v_cmp_ne_u16_sdwa vcc, v23, v61 src0_sel:BYTE_0 src1_sel:DWORD
	v_mov_b32_e32 v2, 0
	v_mov_b32_e32 v1, 0
	s_and_saveexec_b64 s[28:29], vcc
	s_cbranch_execz .LBB2_3525
; %bb.3520:                             ;   in Loop: Header=BB2_3231 Depth=3
	v_cmp_ne_u16_sdwa vcc, v23, s91 src0_sel:BYTE_0 src1_sel:DWORD
	v_bfrev_b32_e32 v1, 1
	s_and_saveexec_b64 s[36:37], vcc
	s_cbranch_execz .LBB2_3524
; %bb.3521:                             ;   in Loop: Header=BB2_3231 Depth=3
	v_and_b32_e32 v16, 0x7f, v23
	v_cmp_ne_u32_e32 vcc, s92, v16
	v_mov_b32_e32 v1, 0x7f800001
	s_and_saveexec_b64 s[66:67], vcc
	s_cbranch_execz .LBB2_3523
; %bb.3522:                             ;   in Loop: Header=BB2_3231 Depth=3
	v_and_b32_e32 v1, 7, v23
	v_ffbh_u32_e32 v1, v1
	v_min_u32_e32 v1, 32, v1
	v_subrev_u32_e32 v20, 28, v1
	v_cmp_gt_u32_e32 vcc, 8, v16
	v_lshrrev_b32_e32 v17, 3, v16
	v_sub_u32_e32 v1, 29, v1
	v_cndmask_b32_e32 v16, 0, v20, vcc
	v_cndmask_b32_e32 v1, v17, v1, vcc
	v_lshlrev_b64 v[16:17], v16, v[60:61]
	v_lshlrev_b32_e32 v16, 20, v16
	v_lshlrev_b32_e32 v17, 24, v60
	v_and_b32_e32 v16, 0x700000, v16
	v_and_b32_e32 v17, 0x80000000, v17
	v_lshl_add_u32 v1, v1, 23, v0
	v_or3_b32 v1, v17, v1, v16
.LBB2_3523:                             ;   in Loop: Header=BB2_3231 Depth=3
	s_or_b64 exec, exec, s[66:67]
.LBB2_3524:                             ;   in Loop: Header=BB2_3231 Depth=3
	s_or_b64 exec, exec, s[36:37]
.LBB2_3525:                             ;   in Loop: Header=BB2_3231 Depth=3
	s_or_b64 exec, exec, s[28:29]
	v_cmp_ne_u16_sdwa vcc, v19, v61 src0_sel:BYTE_0 src1_sel:DWORD
	s_and_saveexec_b64 s[28:29], vcc
	s_cbranch_execz .LBB2_3531
; %bb.3526:                             ;   in Loop: Header=BB2_3231 Depth=3
	v_cmp_ne_u16_sdwa vcc, v19, s91 src0_sel:BYTE_0 src1_sel:DWORD
	v_bfrev_b32_e32 v2, 1
	s_and_saveexec_b64 s[36:37], vcc
	s_cbranch_execz .LBB2_3530
; %bb.3527:                             ;   in Loop: Header=BB2_3231 Depth=3
	v_and_b32_e32 v16, 0x7f, v19
	v_cmp_ne_u32_e32 vcc, s92, v16
	v_mov_b32_e32 v2, 0x7f800001
	s_and_saveexec_b64 s[66:67], vcc
	s_cbranch_execz .LBB2_3529
; %bb.3528:                             ;   in Loop: Header=BB2_3231 Depth=3
	v_and_b32_e32 v2, 7, v19
	v_ffbh_u32_e32 v2, v2
	v_min_u32_e32 v2, 32, v2
	v_subrev_u32_e32 v20, 28, v2
	v_cmp_gt_u32_e32 vcc, 8, v16
	v_mov_b32_e32 v32, v19
	v_mov_b32_e32 v33, v61
	v_lshrrev_b32_e32 v17, 3, v16
	v_sub_u32_e32 v2, 29, v2
	v_cndmask_b32_e32 v16, 0, v20, vcc
	v_cndmask_b32_e32 v2, v17, v2, vcc
	v_lshlrev_b64 v[16:17], v16, v[32:33]
	v_lshlrev_b32_e32 v16, 20, v16
	v_lshlrev_b32_e32 v17, 24, v32
	v_and_b32_e32 v16, 0x700000, v16
	v_and_b32_e32 v17, 0x80000000, v17
	v_lshl_add_u32 v2, v2, 23, v0
	v_or3_b32 v2, v17, v2, v16
.LBB2_3529:                             ;   in Loop: Header=BB2_3231 Depth=3
	s_or_b64 exec, exec, s[66:67]
.LBB2_3530:                             ;   in Loop: Header=BB2_3231 Depth=3
	s_or_b64 exec, exec, s[36:37]
.LBB2_3531:                             ;   in Loop: Header=BB2_3231 Depth=3
	s_or_b64 exec, exec, s[28:29]
	v_add_f32_e32 v20, v1, v2
	v_and_b32_sdwa v1, v20, s91 dst_sel:DWORD dst_unused:UNUSED_PAD src0_sel:BYTE_3 src1_sel:DWORD
	v_and_b32_e32 v32, 0x7f800000, v20
	v_mov_b32_e32 v33, v61
	v_and_b32_e32 v16, 0x7fffff, v20
	v_mov_b32_e32 v17, v61
	v_or_b32_e32 v2, 0x7e, v1
	v_cmp_ne_u64_e32 vcc, s[54:55], v[32:33]
	s_and_saveexec_b64 s[28:29], vcc
	s_xor_b64 s[36:37], exec, s[28:29]
	s_cbranch_execz .LBB2_3541
; %bb.3532:                             ;   in Loop: Header=BB2_3231 Depth=3
	v_and_b32_e32 v32, 0x7fffffff, v20
	v_mov_b32_e32 v33, v61
	v_cmp_gt_u64_e32 vcc, s[56:57], v[32:33]
	s_and_saveexec_b64 s[66:67], vcc
	s_cbranch_execz .LBB2_3540
; %bb.3533:                             ;   in Loop: Header=BB2_3231 Depth=3
	v_cmp_ne_u32_e32 vcc, 0, v20
	v_mov_b32_e32 v2, 0
	s_and_saveexec_b64 s[68:69], vcc
	s_cbranch_execz .LBB2_3539
; %bb.3534:                             ;   in Loop: Header=BB2_3231 Depth=3
	v_bfe_u32 v2, v20, 23, 8
	v_sub_u32_e32 v27, 0x79, v2
	v_cmp_gt_u32_e32 vcc, s93, v2
	v_add_u32_e32 v20, 0xffffff81, v2
	v_cndmask_b32_e32 v27, 0, v27, vcc
	v_cmp_eq_u32_e32 vcc, 0, v2
	v_mov_b32_e32 v2, 0xffffff82
	v_cndmask_b32_e32 v2, v20, v2, vcc
	v_mov_b32_e32 v20, 0x78
	v_cndmask_b32_e32 v20, v27, v20, vcc
	v_add_u32_e32 v27, 20, v20
	v_or_b32_e32 v31, 0x800000, v16
	v_lshlrev_b64 v[32:33], v27, -1
	v_cndmask_b32_e32 v16, v31, v16, vcc
	v_not_b32_e32 v27, v33
	v_not_b32_e32 v31, v32
	v_and_b32_e32 v33, 0, v27
	v_and_b32_e32 v32, v16, v31
	v_add_u32_e32 v27, 19, v20
	v_lshrrev_b64 v[16:17], v20, v[16:17]
	v_lshlrev_b64 v[34:35], v27, 1
	v_lshrrev_b32_e32 v27, 23, v16
	v_add3_u32 v27, v20, v2, v27
	v_bfe_u32 v2, v16, 20, 1
	v_add_u32_e32 v2, -1, v2
	v_cmp_eq_u64_e32 vcc, v[32:33], v[34:35]
	v_cndmask_b32_e32 v2, 0, v2, vcc
	v_add_u32_e32 v2, v2, v16
	v_and_b32_e32 v2, 0xfffff, v2
	v_add_co_u32_e32 v16, vcc, v2, v16
	v_add_u32_e32 v20, 6, v27
	v_addc_co_u32_e32 v17, vcc, 0, v17, vcc
	v_cmp_ne_u32_e32 vcc, 0, v20
                                        ; implicit-def: $vgpr2
	s_and_saveexec_b64 s[28:29], vcc
	s_xor_b64 s[28:29], exec, s[28:29]
; %bb.3535:                             ;   in Loop: Header=BB2_3231 Depth=3
	v_add_u32_e32 v2, 7, v27
	v_cmp_lt_u64_e32 vcc, s[58:59], v[16:17]
	v_cndmask_b32_e32 v2, v20, v2, vcc
	v_cndmask_b32_e64 v20, 0, 1, vcc
	v_lshrrev_b64 v[16:17], v20, v[16:17]
; %bb.3536:                             ;   in Loop: Header=BB2_3231 Depth=3
	s_andn2_saveexec_b64 s[28:29], s[28:29]
; %bb.3537:                             ;   in Loop: Header=BB2_3231 Depth=3
	v_bfe_u32 v2, v16, 23, 1
; %bb.3538:                             ;   in Loop: Header=BB2_3231 Depth=3
	s_or_b64 exec, exec, s[28:29]
	v_lshrrev_b64 v[16:17], 20, v[16:17]
	v_cmp_gt_i32_e32 vcc, 16, v2
	v_cndmask_b32_e32 v17, 0, v17, vcc
	v_cndmask_b32_e32 v16, 7, v16, vcc
	v_cmp_eq_u32_e32 vcc, 0, v2
	v_min_i32_e32 v2, 15, v2
	v_cmp_eq_u64_e64 s[28:29], 0, v[16:17]
	v_lshlrev_b32_e32 v2, 3, v2
	v_and_or_b32 v2, v16, 7, v2
	s_and_b64 s[28:29], vcc, s[28:29]
	v_cndmask_b32_e64 v2, v2, 0, s[28:29]
	v_or_b32_e32 v2, v2, v1
.LBB2_3539:                             ;   in Loop: Header=BB2_3231 Depth=3
	s_or_b64 exec, exec, s[68:69]
.LBB2_3540:                             ;   in Loop: Header=BB2_3231 Depth=3
	s_or_b64 exec, exec, s[66:67]
                                        ; implicit-def: $vgpr20
                                        ; implicit-def: $vgpr16_vgpr17
.LBB2_3541:                             ;   in Loop: Header=BB2_3231 Depth=3
	s_andn2_saveexec_b64 s[28:29], s[36:37]
; %bb.3542:                             ;   in Loop: Header=BB2_3231 Depth=3
	v_or_b32_sdwa v1, v20, s92 dst_sel:DWORD dst_unused:UNUSED_PAD src0_sel:BYTE_3 src1_sel:DWORD
	v_cmp_eq_u64_e32 vcc, 0, v[16:17]
	v_cndmask_b32_e32 v2, v1, v2, vcc
; %bb.3543:                             ;   in Loop: Header=BB2_3231 Depth=3
	s_or_b64 exec, exec, s[28:29]
	v_lshrrev_b16_e32 v16, 8, v60
	v_cmp_ne_u16_e32 vcc, 0, v16
	v_mov_b32_e32 v1, 0
	v_mov_b32_e32 v17, 0
	s_and_saveexec_b64 s[28:29], vcc
	s_cbranch_execz .LBB2_3549
; %bb.3544:                             ;   in Loop: Header=BB2_3231 Depth=3
	v_cmp_ne_u16_e32 vcc, s91, v16
	v_bfrev_b32_e32 v17, 1
	s_and_saveexec_b64 s[36:37], vcc
	s_cbranch_execz .LBB2_3548
; %bb.3545:                             ;   in Loop: Header=BB2_3231 Depth=3
	v_and_b32_e32 v20, 0x7f, v16
	v_cmp_ne_u32_e32 vcc, s92, v20
	v_mov_b32_e32 v17, 0x7f800001
	s_and_saveexec_b64 s[66:67], vcc
	s_cbranch_execz .LBB2_3547
; %bb.3546:                             ;   in Loop: Header=BB2_3231 Depth=3
	v_and_b32_e32 v27, 7, v16
	v_ffbh_u32_e32 v17, v27
	v_min_u32_e32 v32, 32, v17
	v_subrev_u32_e32 v17, 28, v32
	v_lshlrev_b64 v[16:17], v17, v[16:17]
	v_lshrrev_b32_e32 v31, 3, v20
	v_sub_u32_e32 v17, 29, v32
	v_and_b32_e32 v16, 7, v16
	v_cmp_gt_u32_e32 vcc, 8, v20
	v_cndmask_b32_e32 v17, v31, v17, vcc
	v_cndmask_b32_e32 v16, v27, v16, vcc
	v_lshlrev_b32_e32 v20, 16, v60
	v_lshlrev_b32_e32 v16, 20, v16
	v_and_b32_e32 v20, 0x80000000, v20
	v_lshl_add_u32 v17, v17, 23, v0
	v_or3_b32 v17, v20, v17, v16
.LBB2_3547:                             ;   in Loop: Header=BB2_3231 Depth=3
	s_or_b64 exec, exec, s[66:67]
.LBB2_3548:                             ;   in Loop: Header=BB2_3231 Depth=3
	s_or_b64 exec, exec, s[36:37]
.LBB2_3549:                             ;   in Loop: Header=BB2_3231 Depth=3
	s_or_b64 exec, exec, s[28:29]
	v_mov_b32_e32 v16, v19
	v_lshrrev_b16_e32 v20, 8, v16
	v_cmp_ne_u16_e32 vcc, 0, v20
	s_and_saveexec_b64 s[28:29], vcc
	s_cbranch_execz .LBB2_3555
; %bb.3550:                             ;   in Loop: Header=BB2_3231 Depth=3
	v_cmp_ne_u16_e32 vcc, s91, v20
	v_bfrev_b32_e32 v1, 1
	s_and_saveexec_b64 s[36:37], vcc
	s_cbranch_execz .LBB2_3554
; %bb.3551:                             ;   in Loop: Header=BB2_3231 Depth=3
	v_and_b32_e32 v27, 0x7f, v20
	v_cmp_ne_u32_e32 vcc, s92, v27
	v_mov_b32_e32 v1, 0x7f800001
	s_and_saveexec_b64 s[66:67], vcc
	s_cbranch_execz .LBB2_3553
; %bb.3552:                             ;   in Loop: Header=BB2_3231 Depth=3
	v_and_b32_e32 v1, 7, v20
	v_ffbh_u32_e32 v32, v1
	v_min_u32_e32 v34, 32, v32
	v_subrev_u32_e32 v32, 28, v34
	v_lshlrev_b64 v[32:33], v32, v[20:21]
	v_lshrrev_b32_e32 v31, 3, v27
	v_sub_u32_e32 v20, 29, v34
	v_and_b32_e32 v32, 7, v32
	v_cmp_gt_u32_e32 vcc, 8, v27
	v_cndmask_b32_e32 v20, v31, v20, vcc
	v_cndmask_b32_e32 v1, v1, v32, vcc
	v_lshlrev_b32_e32 v16, 16, v16
	v_lshlrev_b32_e32 v1, 20, v1
	v_and_b32_e32 v16, 0x80000000, v16
	v_lshl_add_u32 v20, v20, 23, v0
	v_or3_b32 v1, v16, v20, v1
.LBB2_3553:                             ;   in Loop: Header=BB2_3231 Depth=3
	s_or_b64 exec, exec, s[66:67]
.LBB2_3554:                             ;   in Loop: Header=BB2_3231 Depth=3
	s_or_b64 exec, exec, s[36:37]
.LBB2_3555:                             ;   in Loop: Header=BB2_3231 Depth=3
	s_or_b64 exec, exec, s[28:29]
	v_add_f32_e32 v16, v17, v1
	v_and_b32_sdwa v1, v16, s91 dst_sel:DWORD dst_unused:UNUSED_PAD src0_sel:BYTE_3 src1_sel:DWORD
	v_and_b32_e32 v32, 0x7f800000, v16
	v_mov_b32_e32 v33, v61
	v_and_b32_e32 v60, 0x7fffff, v16
	v_or_b32_e32 v20, 0x7e, v1
	v_cmp_ne_u64_e32 vcc, s[54:55], v[32:33]
	s_and_saveexec_b64 s[28:29], vcc
	s_xor_b64 s[36:37], exec, s[28:29]
	s_cbranch_execz .LBB2_3565
; %bb.3556:                             ;   in Loop: Header=BB2_3231 Depth=3
	v_and_b32_e32 v32, 0x7fffffff, v16
	v_mov_b32_e32 v33, v61
	v_cmp_gt_u64_e32 vcc, s[56:57], v[32:33]
	s_and_saveexec_b64 s[66:67], vcc
	s_cbranch_execz .LBB2_3564
; %bb.3557:                             ;   in Loop: Header=BB2_3231 Depth=3
	v_cmp_ne_u32_e32 vcc, 0, v16
	v_mov_b32_e32 v20, 0
	s_and_saveexec_b64 s[68:69], vcc
	s_cbranch_execz .LBB2_3563
; %bb.3558:                             ;   in Loop: Header=BB2_3231 Depth=3
	v_bfe_u32 v16, v16, 23, 8
	v_sub_u32_e32 v20, 0x79, v16
	v_cmp_gt_u32_e32 vcc, s93, v16
	v_add_u32_e32 v17, 0xffffff81, v16
	v_cndmask_b32_e32 v20, 0, v20, vcc
	v_cmp_eq_u32_e32 vcc, 0, v16
	v_mov_b32_e32 v16, 0xffffff82
	v_cndmask_b32_e32 v31, v17, v16, vcc
	v_mov_b32_e32 v16, 0x78
	v_or_b32_e32 v27, 0x800000, v60
	v_cndmask_b32_e32 v20, v20, v16, vcc
	v_cndmask_b32_e32 v60, v27, v60, vcc
	v_add_u32_e32 v16, 20, v20
	v_lshlrev_b64 v[16:17], v16, -1
	v_add_u32_e32 v27, 19, v20
	v_lshrrev_b64 v[34:35], v20, v[60:61]
	v_not_b32_e32 v17, v17
	v_not_b32_e32 v16, v16
	v_lshlrev_b64 v[32:33], v27, 1
	v_lshrrev_b32_e32 v27, 23, v34
	v_and_b32_e32 v17, 0, v17
	v_and_b32_e32 v16, v60, v16
	v_add3_u32 v31, v20, v31, v27
	v_bfe_u32 v20, v34, 20, 1
	v_add_u32_e32 v20, -1, v20
	v_cmp_eq_u64_e32 vcc, v[16:17], v[32:33]
	v_cndmask_b32_e32 v16, 0, v20, vcc
	v_add_u32_e32 v16, v16, v34
	v_and_b32_e32 v16, 0xfffff, v16
	v_add_co_u32_e32 v16, vcc, v16, v34
	v_add_u32_e32 v27, 6, v31
	v_addc_co_u32_e32 v17, vcc, 0, v35, vcc
	v_cmp_ne_u32_e32 vcc, 0, v27
                                        ; implicit-def: $vgpr20
	s_and_saveexec_b64 s[28:29], vcc
	s_xor_b64 s[28:29], exec, s[28:29]
; %bb.3559:                             ;   in Loop: Header=BB2_3231 Depth=3
	v_add_u32_e32 v20, 7, v31
	v_cmp_lt_u64_e32 vcc, s[58:59], v[16:17]
	v_cndmask_b32_e32 v20, v27, v20, vcc
	v_cndmask_b32_e64 v27, 0, 1, vcc
	v_lshrrev_b64 v[16:17], v27, v[16:17]
; %bb.3560:                             ;   in Loop: Header=BB2_3231 Depth=3
	s_andn2_saveexec_b64 s[28:29], s[28:29]
; %bb.3561:                             ;   in Loop: Header=BB2_3231 Depth=3
	v_bfe_u32 v20, v16, 23, 1
; %bb.3562:                             ;   in Loop: Header=BB2_3231 Depth=3
	s_or_b64 exec, exec, s[28:29]
	v_lshrrev_b64 v[16:17], 20, v[16:17]
	v_cmp_gt_i32_e32 vcc, 16, v20
	v_cndmask_b32_e32 v17, 0, v17, vcc
	v_cndmask_b32_e32 v16, 7, v16, vcc
	v_cmp_eq_u64_e64 s[28:29], 0, v[16:17]
	v_min_i32_e32 v17, 15, v20
	v_cmp_eq_u32_e32 vcc, 0, v20
	v_lshlrev_b32_e32 v17, 3, v17
	v_and_or_b32 v16, v16, 7, v17
	s_and_b64 s[28:29], vcc, s[28:29]
	v_cndmask_b32_e64 v16, v16, 0, s[28:29]
	v_or_b32_e32 v20, v16, v1
.LBB2_3563:                             ;   in Loop: Header=BB2_3231 Depth=3
	s_or_b64 exec, exec, s[68:69]
.LBB2_3564:                             ;   in Loop: Header=BB2_3231 Depth=3
	s_or_b64 exec, exec, s[66:67]
                                        ; implicit-def: $vgpr16
.LBB2_3565:                             ;   in Loop: Header=BB2_3231 Depth=3
	s_andn2_saveexec_b64 s[28:29], s[36:37]
; %bb.3566:                             ;   in Loop: Header=BB2_3231 Depth=3
	v_or_b32_sdwa v1, v16, s92 dst_sel:DWORD dst_unused:UNUSED_PAD src0_sel:BYTE_3 src1_sel:DWORD
	v_cmp_eq_u64_e32 vcc, 0, v[60:61]
	v_cndmask_b32_e32 v20, v1, v20, vcc
; %bb.3567:                             ;   in Loop: Header=BB2_3231 Depth=3
	s_or_b64 exec, exec, s[28:29]
	v_lshrrev_b32_e32 v16, 16, v23
	v_cmp_ne_u16_sdwa vcc, v16, v61 src0_sel:BYTE_0 src1_sel:DWORD
	v_mov_b32_e32 v1, 0
	v_mov_b32_e32 v17, 0
	s_and_saveexec_b64 s[28:29], vcc
	s_cbranch_execz .LBB2_3573
; %bb.3568:                             ;   in Loop: Header=BB2_3231 Depth=3
	v_cmp_ne_u16_sdwa vcc, v16, s91 src0_sel:BYTE_0 src1_sel:DWORD
	v_bfrev_b32_e32 v17, 1
	s_and_saveexec_b64 s[36:37], vcc
	s_cbranch_execz .LBB2_3572
; %bb.3569:                             ;   in Loop: Header=BB2_3231 Depth=3
	v_bfe_u32 v27, v23, 16, 7
	v_cmp_ne_u32_e32 vcc, s92, v27
	v_mov_b32_e32 v17, 0x7f800001
	s_and_saveexec_b64 s[66:67], vcc
	s_cbranch_execz .LBB2_3571
; %bb.3570:                             ;   in Loop: Header=BB2_3231 Depth=3
	v_and_b32_e32 v17, 7, v16
	v_ffbh_u32_e32 v32, v17
	v_min_u32_e32 v34, 32, v32
	v_subrev_u32_e32 v32, 28, v34
	v_lshlrev_b64 v[32:33], v32, v[16:17]
	v_lshrrev_b32_e32 v31, 3, v27
	v_sub_u32_e32 v33, 29, v34
	v_and_b32_e32 v32, 7, v32
	v_cmp_gt_u32_e32 vcc, 8, v27
	v_cndmask_b32_e32 v27, v31, v33, vcc
	v_cndmask_b32_e32 v17, v17, v32, vcc
	v_lshlrev_b32_e32 v16, 24, v16
	v_lshlrev_b32_e32 v17, 20, v17
	v_and_b32_e32 v16, 0x80000000, v16
	v_lshl_add_u32 v27, v27, 23, v0
	v_or3_b32 v17, v16, v27, v17
.LBB2_3571:                             ;   in Loop: Header=BB2_3231 Depth=3
	s_or_b64 exec, exec, s[66:67]
.LBB2_3572:                             ;   in Loop: Header=BB2_3231 Depth=3
	s_or_b64 exec, exec, s[36:37]
.LBB2_3573:                             ;   in Loop: Header=BB2_3231 Depth=3
	s_or_b64 exec, exec, s[28:29]
	v_lshrrev_b32_e32 v16, 16, v19
	v_cmp_ne_u16_sdwa vcc, v16, v61 src0_sel:BYTE_0 src1_sel:DWORD
	s_and_saveexec_b64 s[28:29], vcc
	s_cbranch_execz .LBB2_3579
; %bb.3574:                             ;   in Loop: Header=BB2_3231 Depth=3
	v_cmp_ne_u16_sdwa vcc, v16, s91 src0_sel:BYTE_0 src1_sel:DWORD
	v_bfrev_b32_e32 v1, 1
	s_and_saveexec_b64 s[36:37], vcc
	s_cbranch_execz .LBB2_3578
; %bb.3575:                             ;   in Loop: Header=BB2_3231 Depth=3
	v_bfe_u32 v27, v19, 16, 7
	v_cmp_ne_u32_e32 vcc, s92, v27
	v_mov_b32_e32 v1, 0x7f800001
	s_and_saveexec_b64 s[66:67], vcc
	s_cbranch_execz .LBB2_3577
; %bb.3576:                             ;   in Loop: Header=BB2_3231 Depth=3
	v_and_b32_e32 v1, 7, v16
	v_ffbh_u32_e32 v32, v1
	v_min_u32_e32 v34, 32, v32
	v_subrev_u32_e32 v32, 28, v34
	v_lshlrev_b64 v[32:33], v32, v[16:17]
	v_lshrrev_b32_e32 v31, 3, v27
	v_sub_u32_e32 v16, 29, v34
	v_and_b32_e32 v32, 7, v32
	v_cmp_gt_u32_e32 vcc, 8, v27
	v_cndmask_b32_e32 v16, v31, v16, vcc
	v_cndmask_b32_e32 v1, v1, v32, vcc
	v_lshlrev_b32_e32 v27, 8, v19
	v_lshlrev_b32_e32 v1, 20, v1
	v_and_b32_e32 v27, 0x80000000, v27
	v_lshl_add_u32 v16, v16, 23, v0
	v_or3_b32 v1, v27, v16, v1
.LBB2_3577:                             ;   in Loop: Header=BB2_3231 Depth=3
	s_or_b64 exec, exec, s[66:67]
.LBB2_3578:                             ;   in Loop: Header=BB2_3231 Depth=3
	s_or_b64 exec, exec, s[36:37]
.LBB2_3579:                             ;   in Loop: Header=BB2_3231 Depth=3
	s_or_b64 exec, exec, s[28:29]
	v_add_f32_e32 v16, v17, v1
	v_and_b32_sdwa v1, v16, s91 dst_sel:DWORD dst_unused:UNUSED_PAD src0_sel:BYTE_3 src1_sel:DWORD
	v_and_b32_e32 v32, 0x7f800000, v16
	v_mov_b32_e32 v33, v61
	v_and_b32_e32 v60, 0x7fffff, v16
	v_or_b32_e32 v55, 0x7e, v1
	v_cmp_ne_u64_e32 vcc, s[54:55], v[32:33]
	s_and_saveexec_b64 s[28:29], vcc
	s_xor_b64 s[36:37], exec, s[28:29]
	s_cbranch_execz .LBB2_3589
; %bb.3580:                             ;   in Loop: Header=BB2_3231 Depth=3
	v_and_b32_e32 v32, 0x7fffffff, v16
	v_mov_b32_e32 v33, v61
	v_cmp_gt_u64_e32 vcc, s[56:57], v[32:33]
	s_and_saveexec_b64 s[66:67], vcc
	s_cbranch_execz .LBB2_3588
; %bb.3581:                             ;   in Loop: Header=BB2_3231 Depth=3
	v_cmp_ne_u32_e32 vcc, 0, v16
	v_mov_b32_e32 v55, 0
	s_and_saveexec_b64 s[68:69], vcc
	s_cbranch_execz .LBB2_3587
; %bb.3582:                             ;   in Loop: Header=BB2_3231 Depth=3
	v_bfe_u32 v16, v16, 23, 8
	v_sub_u32_e32 v27, 0x79, v16
	v_cmp_gt_u32_e32 vcc, s93, v16
	v_add_u32_e32 v17, 0xffffff81, v16
	v_cndmask_b32_e32 v27, 0, v27, vcc
	v_cmp_eq_u32_e32 vcc, 0, v16
	v_mov_b32_e32 v16, 0xffffff82
	v_cndmask_b32_e32 v38, v17, v16, vcc
	v_mov_b32_e32 v16, 0x78
	v_or_b32_e32 v31, 0x800000, v60
	v_cndmask_b32_e32 v27, v27, v16, vcc
	v_cndmask_b32_e32 v60, v31, v60, vcc
	v_add_u32_e32 v16, 20, v27
	v_lshlrev_b64 v[16:17], v16, -1
	v_add_u32_e32 v31, 19, v27
	v_lshrrev_b64 v[34:35], v27, v[60:61]
	v_not_b32_e32 v17, v17
	v_not_b32_e32 v16, v16
	v_lshlrev_b64 v[32:33], v31, 1
	v_lshrrev_b32_e32 v31, 23, v34
	v_and_b32_e32 v17, 0, v17
	v_and_b32_e32 v16, v60, v16
	v_add3_u32 v38, v27, v38, v31
	v_bfe_u32 v27, v34, 20, 1
	v_add_u32_e32 v27, -1, v27
	v_cmp_eq_u64_e32 vcc, v[16:17], v[32:33]
	v_cndmask_b32_e32 v16, 0, v27, vcc
	v_add_u32_e32 v16, v16, v34
	v_and_b32_e32 v16, 0xfffff, v16
	v_add_co_u32_e32 v16, vcc, v16, v34
	v_add_u32_e32 v31, 6, v38
	v_addc_co_u32_e32 v17, vcc, 0, v35, vcc
	v_cmp_ne_u32_e32 vcc, 0, v31
                                        ; implicit-def: $vgpr27
	s_and_saveexec_b64 s[28:29], vcc
	s_xor_b64 s[28:29], exec, s[28:29]
; %bb.3583:                             ;   in Loop: Header=BB2_3231 Depth=3
	v_add_u32_e32 v27, 7, v38
	v_cmp_lt_u64_e32 vcc, s[58:59], v[16:17]
	v_cndmask_b32_e32 v27, v31, v27, vcc
	v_cndmask_b32_e64 v31, 0, 1, vcc
	v_lshrrev_b64 v[16:17], v31, v[16:17]
; %bb.3584:                             ;   in Loop: Header=BB2_3231 Depth=3
	s_andn2_saveexec_b64 s[28:29], s[28:29]
; %bb.3585:                             ;   in Loop: Header=BB2_3231 Depth=3
	v_bfe_u32 v27, v16, 23, 1
; %bb.3586:                             ;   in Loop: Header=BB2_3231 Depth=3
	s_or_b64 exec, exec, s[28:29]
	v_lshrrev_b64 v[16:17], 20, v[16:17]
	v_cmp_gt_i32_e32 vcc, 16, v27
	v_cndmask_b32_e32 v17, 0, v17, vcc
	v_cndmask_b32_e32 v16, 7, v16, vcc
	v_cmp_eq_u64_e64 s[28:29], 0, v[16:17]
	v_min_i32_e32 v17, 15, v27
	v_lshlrev_b32_e32 v17, 3, v17
	v_cmp_eq_u32_e32 vcc, 0, v27
	v_and_b32_e32 v17, 0xf8, v17
	v_and_or_b32 v16, v16, 7, v17
	s_and_b64 s[28:29], vcc, s[28:29]
	v_cndmask_b32_e64 v16, v16, 0, s[28:29]
	v_or_b32_e32 v55, v16, v1
.LBB2_3587:                             ;   in Loop: Header=BB2_3231 Depth=3
	s_or_b64 exec, exec, s[68:69]
.LBB2_3588:                             ;   in Loop: Header=BB2_3231 Depth=3
	s_or_b64 exec, exec, s[66:67]
                                        ; implicit-def: $vgpr16
.LBB2_3589:                             ;   in Loop: Header=BB2_3231 Depth=3
	s_andn2_saveexec_b64 s[28:29], s[36:37]
; %bb.3590:                             ;   in Loop: Header=BB2_3231 Depth=3
	v_or_b32_sdwa v1, v16, s92 dst_sel:DWORD dst_unused:UNUSED_PAD src0_sel:BYTE_3 src1_sel:DWORD
	v_cmp_eq_u64_e32 vcc, 0, v[60:61]
	v_cndmask_b32_e32 v55, v1, v55, vcc
; %bb.3591:                             ;   in Loop: Header=BB2_3231 Depth=3
	s_or_b64 exec, exec, s[28:29]
	v_cmp_lt_u64_e32 vcc, s[44:45], v[22:23]
	v_mov_b32_e32 v1, 0
	v_mov_b32_e32 v17, 0
	s_and_saveexec_b64 s[28:29], vcc
	s_cbranch_execz .LBB2_3597
; %bb.3592:                             ;   in Loop: Header=BB2_3231 Depth=3
	v_lshrrev_b32_e32 v16, 24, v23
	v_cmp_ne_u32_e32 vcc, s91, v16
	v_bfrev_b32_e32 v17, 1
	s_and_saveexec_b64 s[36:37], vcc
	s_cbranch_execz .LBB2_3596
; %bb.3593:                             ;   in Loop: Header=BB2_3231 Depth=3
	v_bfe_u32 v22, v23, 24, 7
	v_cmp_ne_u32_e32 vcc, s92, v22
	v_mov_b32_e32 v17, 0x7f800001
	s_and_saveexec_b64 s[66:67], vcc
	s_cbranch_execz .LBB2_3595
; %bb.3594:                             ;   in Loop: Header=BB2_3231 Depth=3
	v_and_b32_e32 v17, 7, v16
	v_ffbh_u32_e32 v27, v17
	v_min_u32_e32 v27, 32, v27
	v_subrev_u32_e32 v31, 28, v27
	v_lshlrev_b64 v[32:33], v31, v[16:17]
	v_lshrrev_b32_e32 v23, 3, v22
	v_sub_u32_e32 v27, 29, v27
	v_and_b32_e32 v31, 7, v32
	v_cmp_gt_u32_e32 vcc, 8, v22
	v_cndmask_b32_e32 v22, v23, v27, vcc
	v_cndmask_b32_e32 v17, v17, v31, vcc
	v_lshlrev_b32_e32 v16, 24, v16
	v_lshlrev_b32_e32 v17, 20, v17
	v_and_b32_e32 v16, 0x80000000, v16
	v_lshl_add_u32 v22, v22, 23, v0
	v_or3_b32 v17, v16, v22, v17
.LBB2_3595:                             ;   in Loop: Header=BB2_3231 Depth=3
	s_or_b64 exec, exec, s[66:67]
.LBB2_3596:                             ;   in Loop: Header=BB2_3231 Depth=3
	s_or_b64 exec, exec, s[36:37]
.LBB2_3597:                             ;   in Loop: Header=BB2_3231 Depth=3
	s_or_b64 exec, exec, s[28:29]
	v_cmp_lt_u64_e32 vcc, s[44:45], v[18:19]
	s_and_saveexec_b64 s[28:29], vcc
	s_cbranch_execz .LBB2_3603
; %bb.3598:                             ;   in Loop: Header=BB2_3231 Depth=3
	v_lshrrev_b32_e32 v16, 24, v19
	v_cmp_ne_u32_e32 vcc, s91, v16
	v_bfrev_b32_e32 v1, 1
	s_and_saveexec_b64 s[36:37], vcc
	s_cbranch_execz .LBB2_3602
; %bb.3599:                             ;   in Loop: Header=BB2_3231 Depth=3
	v_bfe_u32 v18, v19, 24, 7
	v_cmp_ne_u32_e32 vcc, s92, v18
	v_mov_b32_e32 v1, 0x7f800001
	s_and_saveexec_b64 s[66:67], vcc
	s_cbranch_execz .LBB2_3601
; %bb.3600:                             ;   in Loop: Header=BB2_3231 Depth=3
	v_and_b32_e32 v1, 7, v16
	v_ffbh_u32_e32 v22, v1
	v_min_u32_e32 v27, 32, v22
	v_subrev_u32_e32 v22, 28, v27
	v_lshlrev_b64 v[22:23], v22, v[16:17]
	v_lshrrev_b32_e32 v19, 3, v18
	v_sub_u32_e32 v23, 29, v27
	v_and_b32_e32 v22, 7, v22
	v_cmp_gt_u32_e32 vcc, 8, v18
	v_cndmask_b32_e32 v18, v19, v23, vcc
	v_cndmask_b32_e32 v1, v1, v22, vcc
	v_lshlrev_b32_e32 v16, 24, v16
	v_lshlrev_b32_e32 v1, 20, v1
	v_and_b32_e32 v16, 0x80000000, v16
	v_lshl_add_u32 v18, v18, 23, v0
	v_or3_b32 v1, v16, v18, v1
.LBB2_3601:                             ;   in Loop: Header=BB2_3231 Depth=3
	s_or_b64 exec, exec, s[66:67]
.LBB2_3602:                             ;   in Loop: Header=BB2_3231 Depth=3
	s_or_b64 exec, exec, s[36:37]
.LBB2_3603:                             ;   in Loop: Header=BB2_3231 Depth=3
	s_or_b64 exec, exec, s[28:29]
	v_add_f32_e32 v16, v17, v1
	v_and_b32_sdwa v1, v16, s91 dst_sel:DWORD dst_unused:UNUSED_PAD src0_sel:BYTE_3 src1_sel:DWORD
	v_and_b32_e32 v22, 0x7f800000, v16
	v_mov_b32_e32 v23, v61
	v_and_b32_e32 v60, 0x7fffff, v16
	v_or_b32_e32 v19, 0x7e, v1
	v_cmp_ne_u64_e32 vcc, s[54:55], v[22:23]
	s_and_saveexec_b64 s[28:29], vcc
	s_xor_b64 s[36:37], exec, s[28:29]
	s_cbranch_execz .LBB2_3613
; %bb.3604:                             ;   in Loop: Header=BB2_3231 Depth=3
	v_and_b32_e32 v22, 0x7fffffff, v16
	v_mov_b32_e32 v23, v61
	v_cmp_gt_u64_e32 vcc, s[56:57], v[22:23]
	s_and_saveexec_b64 s[66:67], vcc
	s_cbranch_execz .LBB2_3612
; %bb.3605:                             ;   in Loop: Header=BB2_3231 Depth=3
	v_cmp_ne_u32_e32 vcc, 0, v16
	v_mov_b32_e32 v19, 0
	s_and_saveexec_b64 s[68:69], vcc
	s_cbranch_execz .LBB2_3611
; %bb.3606:                             ;   in Loop: Header=BB2_3231 Depth=3
	v_bfe_u32 v16, v16, 23, 8
	v_sub_u32_e32 v18, 0x79, v16
	v_cmp_gt_u32_e32 vcc, s93, v16
	v_add_u32_e32 v17, 0xffffff81, v16
	v_cndmask_b32_e32 v18, 0, v18, vcc
	v_cmp_eq_u32_e32 vcc, 0, v16
	v_mov_b32_e32 v16, 0xffffff82
	v_cndmask_b32_e32 v22, v17, v16, vcc
	v_mov_b32_e32 v16, 0x78
	v_or_b32_e32 v19, 0x800000, v60
	v_cndmask_b32_e32 v18, v18, v16, vcc
	v_cndmask_b32_e32 v60, v19, v60, vcc
	v_add_u32_e32 v16, 20, v18
	v_lshlrev_b64 v[16:17], v16, -1
	v_add_u32_e32 v19, 19, v18
	v_lshrrev_b64 v[34:35], v18, v[60:61]
	v_not_b32_e32 v17, v17
	v_not_b32_e32 v16, v16
	v_lshlrev_b64 v[32:33], v19, 1
	v_lshrrev_b32_e32 v19, 23, v34
	v_and_b32_e32 v17, 0, v17
	v_and_b32_e32 v16, v60, v16
	v_add3_u32 v22, v18, v22, v19
	v_bfe_u32 v18, v34, 20, 1
	v_add_u32_e32 v18, -1, v18
	v_cmp_eq_u64_e32 vcc, v[16:17], v[32:33]
	v_cndmask_b32_e32 v16, 0, v18, vcc
	v_add_u32_e32 v16, v16, v34
	v_and_b32_e32 v16, 0xfffff, v16
	v_add_co_u32_e32 v16, vcc, v16, v34
	v_add_u32_e32 v19, 6, v22
	v_addc_co_u32_e32 v17, vcc, 0, v35, vcc
	v_cmp_ne_u32_e32 vcc, 0, v19
                                        ; implicit-def: $vgpr18
	s_and_saveexec_b64 s[28:29], vcc
	s_xor_b64 s[28:29], exec, s[28:29]
; %bb.3607:                             ;   in Loop: Header=BB2_3231 Depth=3
	v_add_u32_e32 v18, 7, v22
	v_cmp_lt_u64_e32 vcc, s[58:59], v[16:17]
	v_cndmask_b32_e32 v18, v19, v18, vcc
	v_cndmask_b32_e64 v19, 0, 1, vcc
	v_lshrrev_b64 v[16:17], v19, v[16:17]
; %bb.3608:                             ;   in Loop: Header=BB2_3231 Depth=3
	s_andn2_saveexec_b64 s[28:29], s[28:29]
; %bb.3609:                             ;   in Loop: Header=BB2_3231 Depth=3
	v_bfe_u32 v18, v16, 23, 1
; %bb.3610:                             ;   in Loop: Header=BB2_3231 Depth=3
	s_or_b64 exec, exec, s[28:29]
	v_lshrrev_b64 v[16:17], 20, v[16:17]
	v_cmp_gt_i32_e32 vcc, 16, v18
	v_cndmask_b32_e32 v17, 0, v17, vcc
	v_cndmask_b32_e32 v16, 7, v16, vcc
	v_cmp_eq_u64_e64 s[28:29], 0, v[16:17]
	v_min_i32_e32 v17, 15, v18
	v_lshlrev_b32_e32 v17, 3, v17
	v_cmp_eq_u32_e32 vcc, 0, v18
	v_and_b32_e32 v17, 0xf8, v17
	v_and_or_b32 v16, v16, 7, v17
	s_and_b64 s[28:29], vcc, s[28:29]
	v_cndmask_b32_e64 v16, v16, 0, s[28:29]
	v_or_b32_e32 v19, v16, v1
.LBB2_3611:                             ;   in Loop: Header=BB2_3231 Depth=3
	s_or_b64 exec, exec, s[68:69]
.LBB2_3612:                             ;   in Loop: Header=BB2_3231 Depth=3
	s_or_b64 exec, exec, s[66:67]
                                        ; implicit-def: $vgpr16
.LBB2_3613:                             ;   in Loop: Header=BB2_3231 Depth=3
	s_andn2_saveexec_b64 s[28:29], s[36:37]
; %bb.3614:                             ;   in Loop: Header=BB2_3231 Depth=3
	v_or_b32_sdwa v1, v16, s92 dst_sel:DWORD dst_unused:UNUSED_PAD src0_sel:BYTE_3 src1_sel:DWORD
	v_cmp_eq_u64_e32 vcc, 0, v[60:61]
	v_cndmask_b32_e32 v19, v1, v19, vcc
; %bb.3615:                             ;   in Loop: Header=BB2_3231 Depth=3
	s_or_b64 exec, exec, s[28:29]
	v_cmp_ne_u16_sdwa vcc, v12, v61 src0_sel:BYTE_0 src1_sel:DWORD
	v_mov_b32_e32 v1, 0
	v_mov_b32_e32 v16, 0
	s_and_saveexec_b64 s[28:29], vcc
	s_cbranch_execz .LBB2_3621
; %bb.3616:                             ;   in Loop: Header=BB2_3231 Depth=3
	v_cmp_ne_u16_sdwa vcc, v12, s91 src0_sel:BYTE_0 src1_sel:DWORD
	v_bfrev_b32_e32 v16, 1
	s_and_saveexec_b64 s[36:37], vcc
	s_cbranch_execz .LBB2_3620
; %bb.3617:                             ;   in Loop: Header=BB2_3231 Depth=3
	v_and_b32_e32 v17, 0x7f, v12
	v_cmp_ne_u32_e32 vcc, s92, v17
	v_mov_b32_e32 v16, 0x7f800001
	s_and_saveexec_b64 s[66:67], vcc
	s_cbranch_execz .LBB2_3619
; %bb.3618:                             ;   in Loop: Header=BB2_3231 Depth=3
	v_and_b32_e32 v16, 7, v12
	v_ffbh_u32_e32 v16, v16
	v_min_u32_e32 v16, 32, v16
	v_lshrrev_b32_e32 v18, 3, v17
	v_subrev_u32_e32 v22, 28, v16
	v_sub_u32_e32 v16, 29, v16
	v_cmp_gt_u32_e32 vcc, 8, v17
	v_cndmask_b32_e32 v18, v18, v16, vcc
	v_cndmask_b32_e32 v16, 0, v22, vcc
	v_lshlrev_b64 v[16:17], v16, v[12:13]
	v_lshlrev_b32_e32 v16, 20, v16
	v_lshlrev_b32_e32 v17, 24, v12
	v_and_b32_e32 v16, 0x700000, v16
	v_and_b32_e32 v17, 0x80000000, v17
	v_lshl_add_u32 v18, v18, 23, v0
	v_or3_b32 v16, v17, v18, v16
.LBB2_3619:                             ;   in Loop: Header=BB2_3231 Depth=3
	s_or_b64 exec, exec, s[66:67]
.LBB2_3620:                             ;   in Loop: Header=BB2_3231 Depth=3
	s_or_b64 exec, exec, s[36:37]
.LBB2_3621:                             ;   in Loop: Header=BB2_3231 Depth=3
	s_or_b64 exec, exec, s[28:29]
	s_waitcnt vmcnt(0)
	v_cmp_ne_u16_sdwa vcc, v8, v61 src0_sel:BYTE_0 src1_sel:DWORD
	s_and_saveexec_b64 s[28:29], vcc
	s_cbranch_execz .LBB2_3627
; %bb.3622:                             ;   in Loop: Header=BB2_3231 Depth=3
	v_cmp_ne_u16_sdwa vcc, v8, s91 src0_sel:BYTE_0 src1_sel:DWORD
	v_bfrev_b32_e32 v1, 1
	s_and_saveexec_b64 s[36:37], vcc
	s_cbranch_execz .LBB2_3626
; %bb.3623:                             ;   in Loop: Header=BB2_3231 Depth=3
	v_and_b32_e32 v17, 0x7f, v8
	v_cmp_ne_u32_e32 vcc, s92, v17
	v_mov_b32_e32 v1, 0x7f800001
	s_and_saveexec_b64 s[66:67], vcc
	s_cbranch_execz .LBB2_3625
; %bb.3624:                             ;   in Loop: Header=BB2_3231 Depth=3
	v_and_b32_e32 v1, 7, v8
	v_ffbh_u32_e32 v1, v1
	v_min_u32_e32 v1, 32, v1
	v_subrev_u32_e32 v22, 28, v1
	v_cmp_gt_u32_e32 vcc, 8, v17
	v_lshrrev_b32_e32 v18, 3, v17
	v_cndmask_b32_e32 v17, 0, v22, vcc
	v_sub_u32_e32 v1, 29, v1
	v_lshlrev_b64 v[22:23], v17, v[8:9]
	v_cndmask_b32_e32 v1, v18, v1, vcc
	v_lshlrev_b32_e32 v17, 20, v22
	v_lshlrev_b32_e32 v18, 24, v8
	v_and_b32_e32 v17, 0x700000, v17
	v_and_b32_e32 v18, 0x80000000, v18
	v_lshl_add_u32 v1, v1, 23, v0
	v_or3_b32 v1, v18, v1, v17
.LBB2_3625:                             ;   in Loop: Header=BB2_3231 Depth=3
	s_or_b64 exec, exec, s[66:67]
.LBB2_3626:                             ;   in Loop: Header=BB2_3231 Depth=3
	s_or_b64 exec, exec, s[36:37]
.LBB2_3627:                             ;   in Loop: Header=BB2_3231 Depth=3
	s_or_b64 exec, exec, s[28:29]
	v_add_f32_e32 v16, v16, v1
	v_and_b32_sdwa v1, v16, s91 dst_sel:DWORD dst_unused:UNUSED_PAD src0_sel:BYTE_3 src1_sel:DWORD
	v_and_b32_e32 v32, 0x7f800000, v16
	v_mov_b32_e32 v33, v61
	v_and_b32_e32 v60, 0x7fffff, v16
	v_or_b32_e32 v22, 0x7e, v1
	v_cmp_ne_u64_e32 vcc, s[54:55], v[32:33]
	s_and_saveexec_b64 s[28:29], vcc
	s_xor_b64 s[36:37], exec, s[28:29]
	s_cbranch_execz .LBB2_3637
; %bb.3628:                             ;   in Loop: Header=BB2_3231 Depth=3
	v_and_b32_e32 v32, 0x7fffffff, v16
	v_mov_b32_e32 v33, v61
	v_cmp_gt_u64_e32 vcc, s[56:57], v[32:33]
	s_and_saveexec_b64 s[66:67], vcc
	s_cbranch_execz .LBB2_3636
; %bb.3629:                             ;   in Loop: Header=BB2_3231 Depth=3
	v_cmp_ne_u32_e32 vcc, 0, v16
	v_mov_b32_e32 v22, 0
	s_and_saveexec_b64 s[68:69], vcc
	s_cbranch_execz .LBB2_3635
; %bb.3630:                             ;   in Loop: Header=BB2_3231 Depth=3
	v_bfe_u32 v16, v16, 23, 8
	v_sub_u32_e32 v18, 0x79, v16
	v_cmp_gt_u32_e32 vcc, s93, v16
	v_add_u32_e32 v17, 0xffffff81, v16
	v_cndmask_b32_e32 v18, 0, v18, vcc
	v_cmp_eq_u32_e32 vcc, 0, v16
	v_mov_b32_e32 v16, 0xffffff82
	v_cndmask_b32_e32 v23, v17, v16, vcc
	v_mov_b32_e32 v16, 0x78
	v_or_b32_e32 v22, 0x800000, v60
	v_cndmask_b32_e32 v18, v18, v16, vcc
	v_cndmask_b32_e32 v60, v22, v60, vcc
	v_add_u32_e32 v16, 20, v18
	v_lshlrev_b64 v[16:17], v16, -1
	v_add_u32_e32 v22, 19, v18
	v_lshrrev_b64 v[34:35], v18, v[60:61]
	v_not_b32_e32 v17, v17
	v_not_b32_e32 v16, v16
	v_lshlrev_b64 v[32:33], v22, 1
	v_lshrrev_b32_e32 v22, 23, v34
	v_and_b32_e32 v17, 0, v17
	v_and_b32_e32 v16, v60, v16
	v_add3_u32 v23, v18, v23, v22
	v_bfe_u32 v18, v34, 20, 1
	v_add_u32_e32 v18, -1, v18
	v_cmp_eq_u64_e32 vcc, v[16:17], v[32:33]
	v_cndmask_b32_e32 v16, 0, v18, vcc
	v_add_u32_e32 v16, v16, v34
	v_and_b32_e32 v16, 0xfffff, v16
	v_add_co_u32_e32 v16, vcc, v16, v34
	v_add_u32_e32 v22, 6, v23
	v_addc_co_u32_e32 v17, vcc, 0, v35, vcc
	v_cmp_ne_u32_e32 vcc, 0, v22
                                        ; implicit-def: $vgpr18
	s_and_saveexec_b64 s[28:29], vcc
	s_xor_b64 s[28:29], exec, s[28:29]
; %bb.3631:                             ;   in Loop: Header=BB2_3231 Depth=3
	v_add_u32_e32 v18, 7, v23
	v_cmp_lt_u64_e32 vcc, s[58:59], v[16:17]
	v_cndmask_b32_e32 v18, v22, v18, vcc
	v_cndmask_b32_e64 v22, 0, 1, vcc
	v_lshrrev_b64 v[16:17], v22, v[16:17]
; %bb.3632:                             ;   in Loop: Header=BB2_3231 Depth=3
	s_andn2_saveexec_b64 s[28:29], s[28:29]
; %bb.3633:                             ;   in Loop: Header=BB2_3231 Depth=3
	v_bfe_u32 v18, v16, 23, 1
; %bb.3634:                             ;   in Loop: Header=BB2_3231 Depth=3
	s_or_b64 exec, exec, s[28:29]
	v_lshrrev_b64 v[16:17], 20, v[16:17]
	v_cmp_gt_i32_e32 vcc, 16, v18
	v_cndmask_b32_e32 v17, 0, v17, vcc
	v_cndmask_b32_e32 v16, 7, v16, vcc
	v_cmp_eq_u64_e64 s[28:29], 0, v[16:17]
	v_min_i32_e32 v17, 15, v18
	v_cmp_eq_u32_e32 vcc, 0, v18
	v_lshlrev_b32_e32 v17, 3, v17
	v_and_or_b32 v16, v16, 7, v17
	s_and_b64 s[28:29], vcc, s[28:29]
	v_cndmask_b32_e64 v16, v16, 0, s[28:29]
	v_or_b32_e32 v22, v16, v1
.LBB2_3635:                             ;   in Loop: Header=BB2_3231 Depth=3
	s_or_b64 exec, exec, s[68:69]
.LBB2_3636:                             ;   in Loop: Header=BB2_3231 Depth=3
	s_or_b64 exec, exec, s[66:67]
                                        ; implicit-def: $vgpr16
.LBB2_3637:                             ;   in Loop: Header=BB2_3231 Depth=3
	s_andn2_saveexec_b64 s[28:29], s[36:37]
; %bb.3638:                             ;   in Loop: Header=BB2_3231 Depth=3
	v_or_b32_sdwa v1, v16, s92 dst_sel:DWORD dst_unused:UNUSED_PAD src0_sel:BYTE_3 src1_sel:DWORD
	v_cmp_eq_u64_e32 vcc, 0, v[60:61]
	v_cndmask_b32_e32 v22, v1, v22, vcc
; %bb.3639:                             ;   in Loop: Header=BB2_3231 Depth=3
	s_or_b64 exec, exec, s[28:29]
	v_lshrrev_b16_e32 v16, 8, v12
	v_cmp_ne_u16_e32 vcc, 0, v16
	v_mov_b32_e32 v1, 0
	v_mov_b32_e32 v17, 0
	s_and_saveexec_b64 s[28:29], vcc
	s_cbranch_execz .LBB2_3645
; %bb.3640:                             ;   in Loop: Header=BB2_3231 Depth=3
	v_cmp_ne_u16_e32 vcc, s91, v16
	v_bfrev_b32_e32 v17, 1
	s_and_saveexec_b64 s[36:37], vcc
	s_cbranch_execz .LBB2_3644
; %bb.3641:                             ;   in Loop: Header=BB2_3231 Depth=3
	v_and_b32_e32 v18, 0x7f, v16
	v_cmp_ne_u32_e32 vcc, s92, v18
	v_mov_b32_e32 v17, 0x7f800001
	s_and_saveexec_b64 s[66:67], vcc
	s_cbranch_execz .LBB2_3643
; %bb.3642:                             ;   in Loop: Header=BB2_3231 Depth=3
	v_and_b32_e32 v23, 7, v16
	v_ffbh_u32_e32 v17, v23
	v_min_u32_e32 v31, 32, v17
	v_subrev_u32_e32 v17, 28, v31
	v_lshlrev_b64 v[16:17], v17, v[16:17]
	v_lshrrev_b32_e32 v27, 3, v18
	v_sub_u32_e32 v17, 29, v31
	v_and_b32_e32 v16, 7, v16
	v_cmp_gt_u32_e32 vcc, 8, v18
	v_cndmask_b32_e32 v17, v27, v17, vcc
	v_cndmask_b32_e32 v16, v23, v16, vcc
	v_lshlrev_b32_e32 v18, 16, v12
	v_lshlrev_b32_e32 v16, 20, v16
	v_and_b32_e32 v18, 0x80000000, v18
	v_lshl_add_u32 v17, v17, 23, v0
	v_or3_b32 v17, v18, v17, v16
.LBB2_3643:                             ;   in Loop: Header=BB2_3231 Depth=3
	s_or_b64 exec, exec, s[66:67]
.LBB2_3644:                             ;   in Loop: Header=BB2_3231 Depth=3
	s_or_b64 exec, exec, s[36:37]
.LBB2_3645:                             ;   in Loop: Header=BB2_3231 Depth=3
	s_or_b64 exec, exec, s[28:29]
	v_lshrrev_b16_e32 v16, 8, v8
	v_cmp_ne_u16_e32 vcc, 0, v16
	s_and_saveexec_b64 s[28:29], vcc
	s_cbranch_execz .LBB2_3651
; %bb.3646:                             ;   in Loop: Header=BB2_3231 Depth=3
	v_cmp_ne_u16_e32 vcc, s91, v16
	v_bfrev_b32_e32 v1, 1
	s_and_saveexec_b64 s[36:37], vcc
	s_cbranch_execz .LBB2_3650
; %bb.3647:                             ;   in Loop: Header=BB2_3231 Depth=3
	v_and_b32_e32 v18, 0x7f, v16
	v_cmp_ne_u32_e32 vcc, s92, v18
	v_mov_b32_e32 v1, 0x7f800001
	s_and_saveexec_b64 s[66:67], vcc
	s_cbranch_execz .LBB2_3649
; %bb.3648:                             ;   in Loop: Header=BB2_3231 Depth=3
	v_and_b32_e32 v1, 7, v16
	v_ffbh_u32_e32 v27, v1
	v_min_u32_e32 v27, 32, v27
	v_subrev_u32_e32 v31, 28, v27
	v_lshlrev_b64 v[32:33], v31, v[16:17]
	v_lshrrev_b32_e32 v23, 3, v18
	v_sub_u32_e32 v16, 29, v27
	v_and_b32_e32 v27, 7, v32
	v_cmp_gt_u32_e32 vcc, 8, v18
	v_cndmask_b32_e32 v16, v23, v16, vcc
	v_cndmask_b32_e32 v1, v1, v27, vcc
	v_lshlrev_b32_e32 v18, 16, v8
	v_lshlrev_b32_e32 v1, 20, v1
	v_and_b32_e32 v18, 0x80000000, v18
	v_lshl_add_u32 v16, v16, 23, v0
	v_or3_b32 v1, v18, v16, v1
.LBB2_3649:                             ;   in Loop: Header=BB2_3231 Depth=3
	s_or_b64 exec, exec, s[66:67]
.LBB2_3650:                             ;   in Loop: Header=BB2_3231 Depth=3
	s_or_b64 exec, exec, s[36:37]
.LBB2_3651:                             ;   in Loop: Header=BB2_3231 Depth=3
	s_or_b64 exec, exec, s[28:29]
	v_add_f32_e32 v16, v17, v1
	v_and_b32_sdwa v1, v16, s91 dst_sel:DWORD dst_unused:UNUSED_PAD src0_sel:BYTE_3 src1_sel:DWORD
	v_and_b32_e32 v32, 0x7f800000, v16
	v_mov_b32_e32 v33, v61
	v_and_b32_e32 v60, 0x7fffff, v16
	v_or_b32_e32 v23, 0x7e, v1
	v_cmp_ne_u64_e32 vcc, s[54:55], v[32:33]
	s_and_saveexec_b64 s[28:29], vcc
	s_xor_b64 s[36:37], exec, s[28:29]
	s_cbranch_execz .LBB2_3661
; %bb.3652:                             ;   in Loop: Header=BB2_3231 Depth=3
	v_and_b32_e32 v32, 0x7fffffff, v16
	v_mov_b32_e32 v33, v61
	v_cmp_gt_u64_e32 vcc, s[56:57], v[32:33]
	s_and_saveexec_b64 s[66:67], vcc
	s_cbranch_execz .LBB2_3660
; %bb.3653:                             ;   in Loop: Header=BB2_3231 Depth=3
	v_cmp_ne_u32_e32 vcc, 0, v16
	v_mov_b32_e32 v23, 0
	s_and_saveexec_b64 s[68:69], vcc
	s_cbranch_execz .LBB2_3659
; %bb.3654:                             ;   in Loop: Header=BB2_3231 Depth=3
	v_bfe_u32 v16, v16, 23, 8
	v_sub_u32_e32 v18, 0x79, v16
	v_cmp_gt_u32_e32 vcc, s93, v16
	v_add_u32_e32 v17, 0xffffff81, v16
	v_cndmask_b32_e32 v18, 0, v18, vcc
	v_cmp_eq_u32_e32 vcc, 0, v16
	v_mov_b32_e32 v16, 0xffffff82
	v_cndmask_b32_e32 v27, v17, v16, vcc
	v_mov_b32_e32 v16, 0x78
	v_or_b32_e32 v23, 0x800000, v60
	v_cndmask_b32_e32 v18, v18, v16, vcc
	v_cndmask_b32_e32 v60, v23, v60, vcc
	v_add_u32_e32 v16, 20, v18
	v_lshlrev_b64 v[16:17], v16, -1
	v_add_u32_e32 v23, 19, v18
	v_lshrrev_b64 v[34:35], v18, v[60:61]
	v_not_b32_e32 v17, v17
	v_not_b32_e32 v16, v16
	v_lshlrev_b64 v[32:33], v23, 1
	v_lshrrev_b32_e32 v23, 23, v34
	v_and_b32_e32 v17, 0, v17
	v_and_b32_e32 v16, v60, v16
	v_add3_u32 v27, v18, v27, v23
	v_bfe_u32 v18, v34, 20, 1
	v_add_u32_e32 v18, -1, v18
	v_cmp_eq_u64_e32 vcc, v[16:17], v[32:33]
	v_cndmask_b32_e32 v16, 0, v18, vcc
	v_add_u32_e32 v16, v16, v34
	v_and_b32_e32 v16, 0xfffff, v16
	v_add_co_u32_e32 v16, vcc, v16, v34
	v_add_u32_e32 v23, 6, v27
	v_addc_co_u32_e32 v17, vcc, 0, v35, vcc
	v_cmp_ne_u32_e32 vcc, 0, v23
                                        ; implicit-def: $vgpr18
	s_and_saveexec_b64 s[28:29], vcc
	s_xor_b64 s[28:29], exec, s[28:29]
; %bb.3655:                             ;   in Loop: Header=BB2_3231 Depth=3
	v_add_u32_e32 v18, 7, v27
	v_cmp_lt_u64_e32 vcc, s[58:59], v[16:17]
	v_cndmask_b32_e32 v18, v23, v18, vcc
	v_cndmask_b32_e64 v23, 0, 1, vcc
	v_lshrrev_b64 v[16:17], v23, v[16:17]
; %bb.3656:                             ;   in Loop: Header=BB2_3231 Depth=3
	s_andn2_saveexec_b64 s[28:29], s[28:29]
; %bb.3657:                             ;   in Loop: Header=BB2_3231 Depth=3
	v_bfe_u32 v18, v16, 23, 1
; %bb.3658:                             ;   in Loop: Header=BB2_3231 Depth=3
	s_or_b64 exec, exec, s[28:29]
	v_lshrrev_b64 v[16:17], 20, v[16:17]
	v_cmp_gt_i32_e32 vcc, 16, v18
	v_cndmask_b32_e32 v17, 0, v17, vcc
	v_cndmask_b32_e32 v16, 7, v16, vcc
	v_cmp_eq_u64_e64 s[28:29], 0, v[16:17]
	v_min_i32_e32 v17, 15, v18
	v_cmp_eq_u32_e32 vcc, 0, v18
	v_lshlrev_b32_e32 v17, 3, v17
	v_and_or_b32 v16, v16, 7, v17
	s_and_b64 s[28:29], vcc, s[28:29]
	v_cndmask_b32_e64 v16, v16, 0, s[28:29]
	v_or_b32_e32 v23, v16, v1
.LBB2_3659:                             ;   in Loop: Header=BB2_3231 Depth=3
	s_or_b64 exec, exec, s[68:69]
.LBB2_3660:                             ;   in Loop: Header=BB2_3231 Depth=3
	s_or_b64 exec, exec, s[66:67]
                                        ; implicit-def: $vgpr16
.LBB2_3661:                             ;   in Loop: Header=BB2_3231 Depth=3
	s_andn2_saveexec_b64 s[28:29], s[36:37]
; %bb.3662:                             ;   in Loop: Header=BB2_3231 Depth=3
	v_or_b32_sdwa v1, v16, s92 dst_sel:DWORD dst_unused:UNUSED_PAD src0_sel:BYTE_3 src1_sel:DWORD
	v_cmp_eq_u64_e32 vcc, 0, v[60:61]
	v_cndmask_b32_e32 v23, v1, v23, vcc
; %bb.3663:                             ;   in Loop: Header=BB2_3231 Depth=3
	s_or_b64 exec, exec, s[28:29]
	v_lshrrev_b32_e32 v16, 16, v12
	v_cmp_ne_u16_sdwa vcc, v16, v61 src0_sel:BYTE_0 src1_sel:DWORD
	v_mov_b32_e32 v1, 0
	v_mov_b32_e32 v17, 0
	s_and_saveexec_b64 s[28:29], vcc
	s_cbranch_execz .LBB2_3669
; %bb.3664:                             ;   in Loop: Header=BB2_3231 Depth=3
	v_cmp_ne_u16_sdwa vcc, v16, s91 src0_sel:BYTE_0 src1_sel:DWORD
	v_bfrev_b32_e32 v17, 1
	s_and_saveexec_b64 s[36:37], vcc
	s_cbranch_execz .LBB2_3668
; %bb.3665:                             ;   in Loop: Header=BB2_3231 Depth=3
	v_bfe_u32 v18, v12, 16, 7
	v_cmp_ne_u32_e32 vcc, s92, v18
	v_mov_b32_e32 v17, 0x7f800001
	s_and_saveexec_b64 s[66:67], vcc
	s_cbranch_execz .LBB2_3667
; %bb.3666:                             ;   in Loop: Header=BB2_3231 Depth=3
	v_and_b32_e32 v17, 7, v16
	v_ffbh_u32_e32 v31, v17
	v_min_u32_e32 v31, 32, v31
	v_subrev_u32_e32 v32, 28, v31
	v_lshlrev_b64 v[32:33], v32, v[16:17]
	v_lshrrev_b32_e32 v27, 3, v18
	v_sub_u32_e32 v31, 29, v31
	v_and_b32_e32 v32, 7, v32
	v_cmp_gt_u32_e32 vcc, 8, v18
	v_cndmask_b32_e32 v18, v27, v31, vcc
	v_cndmask_b32_e32 v17, v17, v32, vcc
	v_lshlrev_b32_e32 v16, 24, v16
	v_lshlrev_b32_e32 v17, 20, v17
	v_and_b32_e32 v16, 0x80000000, v16
	v_lshl_add_u32 v18, v18, 23, v0
	v_or3_b32 v17, v16, v18, v17
.LBB2_3667:                             ;   in Loop: Header=BB2_3231 Depth=3
	s_or_b64 exec, exec, s[66:67]
.LBB2_3668:                             ;   in Loop: Header=BB2_3231 Depth=3
	s_or_b64 exec, exec, s[36:37]
.LBB2_3669:                             ;   in Loop: Header=BB2_3231 Depth=3
	s_or_b64 exec, exec, s[28:29]
	v_lshrrev_b32_e32 v16, 16, v8
	v_cmp_ne_u16_sdwa vcc, v16, v61 src0_sel:BYTE_0 src1_sel:DWORD
	s_and_saveexec_b64 s[28:29], vcc
	s_cbranch_execz .LBB2_3675
; %bb.3670:                             ;   in Loop: Header=BB2_3231 Depth=3
	v_cmp_ne_u16_sdwa vcc, v16, s91 src0_sel:BYTE_0 src1_sel:DWORD
	v_bfrev_b32_e32 v1, 1
	s_and_saveexec_b64 s[36:37], vcc
	s_cbranch_execz .LBB2_3674
; %bb.3671:                             ;   in Loop: Header=BB2_3231 Depth=3
	v_bfe_u32 v18, v8, 16, 7
	v_cmp_ne_u32_e32 vcc, s92, v18
	v_mov_b32_e32 v1, 0x7f800001
	s_and_saveexec_b64 s[66:67], vcc
	s_cbranch_execz .LBB2_3673
; %bb.3672:                             ;   in Loop: Header=BB2_3231 Depth=3
	v_and_b32_e32 v1, 7, v16
	v_ffbh_u32_e32 v31, v1
	v_min_u32_e32 v31, 32, v31
	v_subrev_u32_e32 v32, 28, v31
	v_lshlrev_b64 v[32:33], v32, v[16:17]
	v_lshrrev_b32_e32 v27, 3, v18
	v_sub_u32_e32 v16, 29, v31
	v_and_b32_e32 v31, 7, v32
	v_cmp_gt_u32_e32 vcc, 8, v18
	v_cndmask_b32_e32 v16, v27, v16, vcc
	v_cndmask_b32_e32 v1, v1, v31, vcc
	v_lshlrev_b32_e32 v18, 8, v8
	v_lshlrev_b32_e32 v1, 20, v1
	v_and_b32_e32 v18, 0x80000000, v18
	v_lshl_add_u32 v16, v16, 23, v0
	v_or3_b32 v1, v18, v16, v1
.LBB2_3673:                             ;   in Loop: Header=BB2_3231 Depth=3
	s_or_b64 exec, exec, s[66:67]
.LBB2_3674:                             ;   in Loop: Header=BB2_3231 Depth=3
	s_or_b64 exec, exec, s[36:37]
.LBB2_3675:                             ;   in Loop: Header=BB2_3231 Depth=3
	s_or_b64 exec, exec, s[28:29]
	v_add_f32_e32 v16, v17, v1
	v_and_b32_sdwa v1, v16, s91 dst_sel:DWORD dst_unused:UNUSED_PAD src0_sel:BYTE_3 src1_sel:DWORD
	v_and_b32_e32 v32, 0x7f800000, v16
	v_mov_b32_e32 v33, v61
	v_and_b32_e32 v60, 0x7fffff, v16
	v_or_b32_e32 v27, 0x7e, v1
	v_cmp_ne_u64_e32 vcc, s[54:55], v[32:33]
	s_and_saveexec_b64 s[28:29], vcc
	s_xor_b64 s[36:37], exec, s[28:29]
	s_cbranch_execz .LBB2_3685
; %bb.3676:                             ;   in Loop: Header=BB2_3231 Depth=3
	v_and_b32_e32 v32, 0x7fffffff, v16
	v_mov_b32_e32 v33, v61
	v_cmp_gt_u64_e32 vcc, s[56:57], v[32:33]
	s_and_saveexec_b64 s[66:67], vcc
	s_cbranch_execz .LBB2_3684
; %bb.3677:                             ;   in Loop: Header=BB2_3231 Depth=3
	v_cmp_ne_u32_e32 vcc, 0, v16
	v_mov_b32_e32 v27, 0
	s_and_saveexec_b64 s[68:69], vcc
	s_cbranch_execz .LBB2_3683
; %bb.3678:                             ;   in Loop: Header=BB2_3231 Depth=3
	v_bfe_u32 v16, v16, 23, 8
	v_sub_u32_e32 v18, 0x79, v16
	v_cmp_gt_u32_e32 vcc, s93, v16
	v_add_u32_e32 v17, 0xffffff81, v16
	v_cndmask_b32_e32 v18, 0, v18, vcc
	v_cmp_eq_u32_e32 vcc, 0, v16
	v_mov_b32_e32 v16, 0xffffff82
	v_cndmask_b32_e32 v31, v17, v16, vcc
	v_mov_b32_e32 v16, 0x78
	v_or_b32_e32 v27, 0x800000, v60
	v_cndmask_b32_e32 v18, v18, v16, vcc
	v_cndmask_b32_e32 v60, v27, v60, vcc
	v_add_u32_e32 v16, 20, v18
	v_lshlrev_b64 v[16:17], v16, -1
	v_add_u32_e32 v27, 19, v18
	v_lshrrev_b64 v[34:35], v18, v[60:61]
	v_not_b32_e32 v17, v17
	v_not_b32_e32 v16, v16
	v_lshlrev_b64 v[32:33], v27, 1
	v_lshrrev_b32_e32 v27, 23, v34
	v_and_b32_e32 v17, 0, v17
	v_and_b32_e32 v16, v60, v16
	v_add3_u32 v31, v18, v31, v27
	v_bfe_u32 v18, v34, 20, 1
	v_add_u32_e32 v18, -1, v18
	v_cmp_eq_u64_e32 vcc, v[16:17], v[32:33]
	v_cndmask_b32_e32 v16, 0, v18, vcc
	v_add_u32_e32 v16, v16, v34
	v_and_b32_e32 v16, 0xfffff, v16
	v_add_co_u32_e32 v16, vcc, v16, v34
	v_add_u32_e32 v27, 6, v31
	v_addc_co_u32_e32 v17, vcc, 0, v35, vcc
	v_cmp_ne_u32_e32 vcc, 0, v27
                                        ; implicit-def: $vgpr18
	s_and_saveexec_b64 s[28:29], vcc
	s_xor_b64 s[28:29], exec, s[28:29]
; %bb.3679:                             ;   in Loop: Header=BB2_3231 Depth=3
	v_add_u32_e32 v18, 7, v31
	v_cmp_lt_u64_e32 vcc, s[58:59], v[16:17]
	v_cndmask_b32_e32 v18, v27, v18, vcc
	v_cndmask_b32_e64 v27, 0, 1, vcc
	v_lshrrev_b64 v[16:17], v27, v[16:17]
; %bb.3680:                             ;   in Loop: Header=BB2_3231 Depth=3
	s_andn2_saveexec_b64 s[28:29], s[28:29]
; %bb.3681:                             ;   in Loop: Header=BB2_3231 Depth=3
	v_bfe_u32 v18, v16, 23, 1
; %bb.3682:                             ;   in Loop: Header=BB2_3231 Depth=3
	s_or_b64 exec, exec, s[28:29]
	v_lshrrev_b64 v[16:17], 20, v[16:17]
	v_cmp_gt_i32_e32 vcc, 16, v18
	v_cndmask_b32_e32 v17, 0, v17, vcc
	v_cndmask_b32_e32 v16, 7, v16, vcc
	v_cmp_eq_u64_e64 s[28:29], 0, v[16:17]
	v_min_i32_e32 v17, 15, v18
	v_cmp_eq_u32_e32 vcc, 0, v18
	v_lshlrev_b32_e32 v17, 3, v17
	v_and_or_b32 v16, v16, 7, v17
	s_and_b64 s[28:29], vcc, s[28:29]
	v_cndmask_b32_e64 v16, v16, 0, s[28:29]
	v_or_b32_e32 v27, v16, v1
.LBB2_3683:                             ;   in Loop: Header=BB2_3231 Depth=3
	s_or_b64 exec, exec, s[68:69]
.LBB2_3684:                             ;   in Loop: Header=BB2_3231 Depth=3
	s_or_b64 exec, exec, s[66:67]
                                        ; implicit-def: $vgpr16
.LBB2_3685:                             ;   in Loop: Header=BB2_3231 Depth=3
	s_andn2_saveexec_b64 s[28:29], s[36:37]
; %bb.3686:                             ;   in Loop: Header=BB2_3231 Depth=3
	v_or_b32_sdwa v1, v16, s92 dst_sel:DWORD dst_unused:UNUSED_PAD src0_sel:BYTE_3 src1_sel:DWORD
	v_cmp_eq_u64_e32 vcc, 0, v[60:61]
	v_cndmask_b32_e32 v27, v1, v27, vcc
; %bb.3687:                             ;   in Loop: Header=BB2_3231 Depth=3
	s_or_b64 exec, exec, s[28:29]
	v_cmp_lt_u32_e32 vcc, s45, v12
	v_mov_b32_e32 v1, 0
	v_mov_b32_e32 v17, 0
	s_and_saveexec_b64 s[28:29], vcc
	s_cbranch_execz .LBB2_3693
; %bb.3688:                             ;   in Loop: Header=BB2_3231 Depth=3
	v_lshrrev_b32_e32 v16, 24, v12
	v_cmp_ne_u32_e32 vcc, s91, v16
	v_bfrev_b32_e32 v17, 1
	s_and_saveexec_b64 s[36:37], vcc
	s_cbranch_execz .LBB2_3692
; %bb.3689:                             ;   in Loop: Header=BB2_3231 Depth=3
	v_bfe_u32 v18, v12, 24, 7
	v_cmp_ne_u32_e32 vcc, s92, v18
	v_mov_b32_e32 v17, 0x7f800001
	s_and_saveexec_b64 s[66:67], vcc
	s_cbranch_execz .LBB2_3691
; %bb.3690:                             ;   in Loop: Header=BB2_3231 Depth=3
	v_and_b32_e32 v17, 7, v16
	v_ffbh_u32_e32 v32, v17
	v_min_u32_e32 v34, 32, v32
	v_subrev_u32_e32 v32, 28, v34
	v_lshlrev_b64 v[32:33], v32, v[16:17]
	v_lshrrev_b32_e32 v31, 3, v18
	v_sub_u32_e32 v33, 29, v34
	v_and_b32_e32 v32, 7, v32
	v_cmp_gt_u32_e32 vcc, 8, v18
	v_cndmask_b32_e32 v18, v31, v33, vcc
	v_cndmask_b32_e32 v17, v17, v32, vcc
	v_lshlrev_b32_e32 v16, 24, v16
	v_lshlrev_b32_e32 v17, 20, v17
	v_and_b32_e32 v16, 0x80000000, v16
	v_lshl_add_u32 v18, v18, 23, v0
	v_or3_b32 v17, v16, v18, v17
.LBB2_3691:                             ;   in Loop: Header=BB2_3231 Depth=3
	s_or_b64 exec, exec, s[66:67]
.LBB2_3692:                             ;   in Loop: Header=BB2_3231 Depth=3
	s_or_b64 exec, exec, s[36:37]
.LBB2_3693:                             ;   in Loop: Header=BB2_3231 Depth=3
	s_or_b64 exec, exec, s[28:29]
	v_cmp_lt_u32_e32 vcc, s45, v8
	s_and_saveexec_b64 s[28:29], vcc
	s_cbranch_execz .LBB2_3699
; %bb.3694:                             ;   in Loop: Header=BB2_3231 Depth=3
	v_lshrrev_b32_e32 v16, 24, v8
	v_cmp_ne_u32_e32 vcc, s91, v16
	v_bfrev_b32_e32 v1, 1
	s_and_saveexec_b64 s[36:37], vcc
	s_cbranch_execz .LBB2_3698
; %bb.3695:                             ;   in Loop: Header=BB2_3231 Depth=3
	v_bfe_u32 v18, v8, 24, 7
	v_cmp_ne_u32_e32 vcc, s92, v18
	v_mov_b32_e32 v1, 0x7f800001
	s_and_saveexec_b64 s[66:67], vcc
	s_cbranch_execz .LBB2_3697
; %bb.3696:                             ;   in Loop: Header=BB2_3231 Depth=3
	v_and_b32_e32 v1, 7, v16
	v_ffbh_u32_e32 v32, v1
	v_min_u32_e32 v34, 32, v32
	v_subrev_u32_e32 v32, 28, v34
	v_lshlrev_b64 v[32:33], v32, v[16:17]
	v_lshrrev_b32_e32 v31, 3, v18
	v_sub_u32_e32 v33, 29, v34
	v_and_b32_e32 v32, 7, v32
	v_cmp_gt_u32_e32 vcc, 8, v18
	v_cndmask_b32_e32 v18, v31, v33, vcc
	v_cndmask_b32_e32 v1, v1, v32, vcc
	v_lshlrev_b32_e32 v16, 24, v16
	v_lshlrev_b32_e32 v1, 20, v1
	v_and_b32_e32 v16, 0x80000000, v16
	v_lshl_add_u32 v18, v18, 23, v0
	v_or3_b32 v1, v16, v18, v1
.LBB2_3697:                             ;   in Loop: Header=BB2_3231 Depth=3
	s_or_b64 exec, exec, s[66:67]
.LBB2_3698:                             ;   in Loop: Header=BB2_3231 Depth=3
	s_or_b64 exec, exec, s[36:37]
.LBB2_3699:                             ;   in Loop: Header=BB2_3231 Depth=3
	s_or_b64 exec, exec, s[28:29]
	v_add_f32_e32 v16, v17, v1
	v_and_b32_sdwa v1, v16, s91 dst_sel:DWORD dst_unused:UNUSED_PAD src0_sel:BYTE_3 src1_sel:DWORD
	v_and_b32_e32 v32, 0x7f800000, v16
	v_mov_b32_e32 v33, v61
	v_and_b32_e32 v60, 0x7fffff, v16
	v_or_b32_e32 v38, 0x7e, v1
	v_cmp_ne_u64_e32 vcc, s[54:55], v[32:33]
	s_and_saveexec_b64 s[28:29], vcc
	s_xor_b64 s[36:37], exec, s[28:29]
	s_cbranch_execz .LBB2_3709
; %bb.3700:                             ;   in Loop: Header=BB2_3231 Depth=3
	v_and_b32_e32 v32, 0x7fffffff, v16
	v_mov_b32_e32 v33, v61
	v_cmp_gt_u64_e32 vcc, s[56:57], v[32:33]
	s_and_saveexec_b64 s[66:67], vcc
	s_cbranch_execz .LBB2_3708
; %bb.3701:                             ;   in Loop: Header=BB2_3231 Depth=3
	v_cmp_ne_u32_e32 vcc, 0, v16
	v_mov_b32_e32 v38, 0
	s_and_saveexec_b64 s[68:69], vcc
	s_cbranch_execz .LBB2_3707
; %bb.3702:                             ;   in Loop: Header=BB2_3231 Depth=3
	v_bfe_u32 v16, v16, 23, 8
	v_sub_u32_e32 v18, 0x79, v16
	v_cmp_gt_u32_e32 vcc, s93, v16
	v_add_u32_e32 v17, 0xffffff81, v16
	v_cndmask_b32_e32 v18, 0, v18, vcc
	v_cmp_eq_u32_e32 vcc, 0, v16
	v_mov_b32_e32 v16, 0xffffff82
	v_cndmask_b32_e32 v38, v17, v16, vcc
	v_mov_b32_e32 v16, 0x78
	v_or_b32_e32 v31, 0x800000, v60
	v_cndmask_b32_e32 v18, v18, v16, vcc
	v_cndmask_b32_e32 v60, v31, v60, vcc
	v_add_u32_e32 v16, 20, v18
	v_lshlrev_b64 v[16:17], v16, -1
	v_add_u32_e32 v31, 19, v18
	v_lshrrev_b64 v[34:35], v18, v[60:61]
	v_not_b32_e32 v17, v17
	v_not_b32_e32 v16, v16
	v_lshlrev_b64 v[32:33], v31, 1
	v_lshrrev_b32_e32 v31, 23, v34
	v_and_b32_e32 v17, 0, v17
	v_and_b32_e32 v16, v60, v16
	v_add3_u32 v38, v18, v38, v31
	v_bfe_u32 v18, v34, 20, 1
	v_add_u32_e32 v18, -1, v18
	v_cmp_eq_u64_e32 vcc, v[16:17], v[32:33]
	v_cndmask_b32_e32 v16, 0, v18, vcc
	v_add_u32_e32 v16, v16, v34
	v_and_b32_e32 v16, 0xfffff, v16
	v_add_co_u32_e32 v16, vcc, v16, v34
	v_add_u32_e32 v31, 6, v38
	v_addc_co_u32_e32 v17, vcc, 0, v35, vcc
	v_cmp_ne_u32_e32 vcc, 0, v31
                                        ; implicit-def: $vgpr18
	s_and_saveexec_b64 s[28:29], vcc
	s_xor_b64 s[28:29], exec, s[28:29]
; %bb.3703:                             ;   in Loop: Header=BB2_3231 Depth=3
	v_add_u32_e32 v18, 7, v38
	v_cmp_lt_u64_e32 vcc, s[58:59], v[16:17]
	v_cndmask_b32_e32 v18, v31, v18, vcc
	v_cndmask_b32_e64 v31, 0, 1, vcc
	v_lshrrev_b64 v[16:17], v31, v[16:17]
; %bb.3704:                             ;   in Loop: Header=BB2_3231 Depth=3
	s_andn2_saveexec_b64 s[28:29], s[28:29]
; %bb.3705:                             ;   in Loop: Header=BB2_3231 Depth=3
	v_bfe_u32 v18, v16, 23, 1
; %bb.3706:                             ;   in Loop: Header=BB2_3231 Depth=3
	s_or_b64 exec, exec, s[28:29]
	v_lshrrev_b64 v[16:17], 20, v[16:17]
	v_cmp_gt_i32_e32 vcc, 16, v18
	v_cndmask_b32_e32 v17, 0, v17, vcc
	v_cndmask_b32_e32 v16, 7, v16, vcc
	v_cmp_eq_u64_e64 s[28:29], 0, v[16:17]
	v_min_i32_e32 v17, 15, v18
	v_cmp_eq_u32_e32 vcc, 0, v18
	v_lshlrev_b32_e32 v17, 3, v17
	v_and_or_b32 v16, v16, 7, v17
	s_and_b64 s[28:29], vcc, s[28:29]
	v_cndmask_b32_e64 v16, v16, 0, s[28:29]
	v_or_b32_e32 v38, v16, v1
.LBB2_3707:                             ;   in Loop: Header=BB2_3231 Depth=3
	s_or_b64 exec, exec, s[68:69]
.LBB2_3708:                             ;   in Loop: Header=BB2_3231 Depth=3
	s_or_b64 exec, exec, s[66:67]
                                        ; implicit-def: $vgpr16
.LBB2_3709:                             ;   in Loop: Header=BB2_3231 Depth=3
	s_andn2_saveexec_b64 s[28:29], s[36:37]
; %bb.3710:                             ;   in Loop: Header=BB2_3231 Depth=3
	v_or_b32_sdwa v1, v16, s92 dst_sel:DWORD dst_unused:UNUSED_PAD src0_sel:BYTE_3 src1_sel:DWORD
	v_cmp_eq_u64_e32 vcc, 0, v[60:61]
	v_cndmask_b32_e32 v38, v1, v38, vcc
; %bb.3711:                             ;   in Loop: Header=BB2_3231 Depth=3
	s_or_b64 exec, exec, s[28:29]
	v_mov_b32_e32 v60, v13
	v_cmp_ne_u16_sdwa vcc, v13, v61 src0_sel:BYTE_0 src1_sel:DWORD
	v_mov_b32_e32 v16, 0
	v_mov_b32_e32 v1, 0
	s_and_saveexec_b64 s[28:29], vcc
	s_cbranch_execz .LBB2_3717
; %bb.3712:                             ;   in Loop: Header=BB2_3231 Depth=3
	v_cmp_ne_u16_sdwa vcc, v13, s91 src0_sel:BYTE_0 src1_sel:DWORD
	v_bfrev_b32_e32 v1, 1
	s_and_saveexec_b64 s[36:37], vcc
	s_cbranch_execz .LBB2_3716
; %bb.3713:                             ;   in Loop: Header=BB2_3231 Depth=3
	v_and_b32_e32 v17, 0x7f, v13
	v_cmp_ne_u32_e32 vcc, s92, v17
	v_mov_b32_e32 v1, 0x7f800001
	s_and_saveexec_b64 s[66:67], vcc
	s_cbranch_execz .LBB2_3715
; %bb.3714:                             ;   in Loop: Header=BB2_3231 Depth=3
	v_and_b32_e32 v1, 7, v13
	v_ffbh_u32_e32 v1, v1
	v_min_u32_e32 v1, 32, v1
	v_subrev_u32_e32 v31, 28, v1
	v_cmp_gt_u32_e32 vcc, 8, v17
	v_lshrrev_b32_e32 v18, 3, v17
	v_cndmask_b32_e32 v17, 0, v31, vcc
	v_sub_u32_e32 v1, 29, v1
	v_lshlrev_b64 v[32:33], v17, v[60:61]
	v_cndmask_b32_e32 v1, v18, v1, vcc
	v_lshlrev_b32_e32 v17, 20, v32
	v_lshlrev_b32_e32 v18, 24, v60
	v_and_b32_e32 v17, 0x700000, v17
	v_and_b32_e32 v18, 0x80000000, v18
	v_lshl_add_u32 v1, v1, 23, v0
	v_or3_b32 v1, v18, v1, v17
.LBB2_3715:                             ;   in Loop: Header=BB2_3231 Depth=3
	s_or_b64 exec, exec, s[66:67]
.LBB2_3716:                             ;   in Loop: Header=BB2_3231 Depth=3
	s_or_b64 exec, exec, s[36:37]
.LBB2_3717:                             ;   in Loop: Header=BB2_3231 Depth=3
	s_or_b64 exec, exec, s[28:29]
	v_cmp_ne_u16_sdwa vcc, v9, v61 src0_sel:BYTE_0 src1_sel:DWORD
	s_and_saveexec_b64 s[28:29], vcc
	s_cbranch_execz .LBB2_3723
; %bb.3718:                             ;   in Loop: Header=BB2_3231 Depth=3
	v_cmp_ne_u16_sdwa vcc, v9, s91 src0_sel:BYTE_0 src1_sel:DWORD
	v_bfrev_b32_e32 v16, 1
	s_and_saveexec_b64 s[36:37], vcc
	s_cbranch_execz .LBB2_3722
; %bb.3719:                             ;   in Loop: Header=BB2_3231 Depth=3
	v_and_b32_e32 v17, 0x7f, v9
	v_cmp_ne_u32_e32 vcc, s92, v17
	v_mov_b32_e32 v16, 0x7f800001
	s_and_saveexec_b64 s[66:67], vcc
	s_cbranch_execz .LBB2_3721
; %bb.3720:                             ;   in Loop: Header=BB2_3231 Depth=3
	v_and_b32_e32 v16, 7, v9
	v_ffbh_u32_e32 v16, v16
	v_min_u32_e32 v16, 32, v16
	v_lshrrev_b32_e32 v18, 3, v17
	v_subrev_u32_e32 v31, 28, v16
	v_sub_u32_e32 v16, 29, v16
	v_cmp_gt_u32_e32 vcc, 8, v17
	v_mov_b32_e32 v32, v9
	v_mov_b32_e32 v33, v61
	v_cndmask_b32_e32 v18, v18, v16, vcc
	v_cndmask_b32_e32 v16, 0, v31, vcc
	v_lshlrev_b64 v[16:17], v16, v[32:33]
	v_lshlrev_b32_e32 v16, 20, v16
	v_lshlrev_b32_e32 v17, 24, v32
	v_and_b32_e32 v16, 0x700000, v16
	v_and_b32_e32 v17, 0x80000000, v17
	v_lshl_add_u32 v18, v18, 23, v0
	v_or3_b32 v16, v17, v18, v16
.LBB2_3721:                             ;   in Loop: Header=BB2_3231 Depth=3
	s_or_b64 exec, exec, s[66:67]
.LBB2_3722:                             ;   in Loop: Header=BB2_3231 Depth=3
	s_or_b64 exec, exec, s[36:37]
.LBB2_3723:                             ;   in Loop: Header=BB2_3231 Depth=3
	s_or_b64 exec, exec, s[28:29]
	v_add_f32_e32 v18, v1, v16
	v_and_b32_sdwa v1, v18, s91 dst_sel:DWORD dst_unused:UNUSED_PAD src0_sel:BYTE_3 src1_sel:DWORD
	v_and_b32_e32 v32, 0x7f800000, v18
	v_mov_b32_e32 v33, v61
	v_and_b32_e32 v16, 0x7fffff, v18
	v_mov_b32_e32 v17, v61
	v_or_b32_e32 v39, 0x7e, v1
	v_cmp_ne_u64_e32 vcc, s[54:55], v[32:33]
	s_and_saveexec_b64 s[28:29], vcc
	s_xor_b64 s[36:37], exec, s[28:29]
	s_cbranch_execz .LBB2_3733
; %bb.3724:                             ;   in Loop: Header=BB2_3231 Depth=3
	v_and_b32_e32 v32, 0x7fffffff, v18
	v_mov_b32_e32 v33, v61
	v_cmp_gt_u64_e32 vcc, s[56:57], v[32:33]
	s_and_saveexec_b64 s[66:67], vcc
	s_cbranch_execz .LBB2_3732
; %bb.3725:                             ;   in Loop: Header=BB2_3231 Depth=3
	v_cmp_ne_u32_e32 vcc, 0, v18
	v_mov_b32_e32 v39, 0
	s_and_saveexec_b64 s[68:69], vcc
	s_cbranch_execz .LBB2_3731
; %bb.3726:                             ;   in Loop: Header=BB2_3231 Depth=3
	v_bfe_u32 v18, v18, 23, 8
	v_sub_u32_e32 v32, 0x79, v18
	v_cmp_gt_u32_e32 vcc, s93, v18
	v_add_u32_e32 v31, 0xffffff81, v18
	v_cndmask_b32_e32 v32, 0, v32, vcc
	v_cmp_eq_u32_e32 vcc, 0, v18
	v_mov_b32_e32 v18, 0xffffff82
	v_cndmask_b32_e32 v18, v31, v18, vcc
	v_mov_b32_e32 v31, 0x78
	v_cndmask_b32_e32 v31, v32, v31, vcc
	v_or_b32_e32 v33, 0x800000, v16
	v_add_u32_e32 v32, 20, v31
	v_cndmask_b32_e32 v16, v33, v16, vcc
	v_lshlrev_b64 v[32:33], v32, -1
	v_not_b32_e32 v32, v32
	v_and_b32_e32 v32, v16, v32
	v_lshrrev_b64 v[16:17], v31, v[16:17]
	v_not_b32_e32 v33, v33
	v_add_u32_e32 v34, 19, v31
	v_lshrrev_b32_e32 v39, 23, v16
	v_and_b32_e32 v33, 0, v33
	v_lshlrev_b64 v[34:35], v34, 1
	v_add3_u32 v39, v31, v18, v39
	v_bfe_u32 v18, v16, 20, 1
	v_add_u32_e32 v18, -1, v18
	v_cmp_eq_u64_e32 vcc, v[32:33], v[34:35]
	v_cndmask_b32_e32 v18, 0, v18, vcc
	v_add_u32_e32 v18, v18, v16
	v_and_b32_e32 v18, 0xfffff, v18
	v_add_co_u32_e32 v16, vcc, v18, v16
	v_add_u32_e32 v31, 6, v39
	v_addc_co_u32_e32 v17, vcc, 0, v17, vcc
	v_cmp_ne_u32_e32 vcc, 0, v31
                                        ; implicit-def: $vgpr18
	s_and_saveexec_b64 s[28:29], vcc
	s_xor_b64 s[28:29], exec, s[28:29]
; %bb.3727:                             ;   in Loop: Header=BB2_3231 Depth=3
	v_add_u32_e32 v18, 7, v39
	v_cmp_lt_u64_e32 vcc, s[58:59], v[16:17]
	v_cndmask_b32_e32 v18, v31, v18, vcc
	v_cndmask_b32_e64 v31, 0, 1, vcc
	v_lshrrev_b64 v[16:17], v31, v[16:17]
; %bb.3728:                             ;   in Loop: Header=BB2_3231 Depth=3
	s_andn2_saveexec_b64 s[28:29], s[28:29]
; %bb.3729:                             ;   in Loop: Header=BB2_3231 Depth=3
	v_bfe_u32 v18, v16, 23, 1
; %bb.3730:                             ;   in Loop: Header=BB2_3231 Depth=3
	s_or_b64 exec, exec, s[28:29]
	v_lshrrev_b64 v[16:17], 20, v[16:17]
	v_cmp_gt_i32_e32 vcc, 16, v18
	v_cndmask_b32_e32 v17, 0, v17, vcc
	v_cndmask_b32_e32 v16, 7, v16, vcc
	v_cmp_eq_u64_e64 s[28:29], 0, v[16:17]
	v_min_i32_e32 v17, 15, v18
	v_cmp_eq_u32_e32 vcc, 0, v18
	v_lshlrev_b32_e32 v17, 3, v17
	v_and_or_b32 v16, v16, 7, v17
	s_and_b64 s[28:29], vcc, s[28:29]
	v_cndmask_b32_e64 v16, v16, 0, s[28:29]
	v_or_b32_e32 v39, v16, v1
.LBB2_3731:                             ;   in Loop: Header=BB2_3231 Depth=3
	s_or_b64 exec, exec, s[68:69]
.LBB2_3732:                             ;   in Loop: Header=BB2_3231 Depth=3
	s_or_b64 exec, exec, s[66:67]
                                        ; implicit-def: $vgpr18
                                        ; implicit-def: $vgpr16_vgpr17
.LBB2_3733:                             ;   in Loop: Header=BB2_3231 Depth=3
	s_andn2_saveexec_b64 s[28:29], s[36:37]
; %bb.3734:                             ;   in Loop: Header=BB2_3231 Depth=3
	v_or_b32_sdwa v1, v18, s92 dst_sel:DWORD dst_unused:UNUSED_PAD src0_sel:BYTE_3 src1_sel:DWORD
	v_cmp_eq_u64_e32 vcc, 0, v[16:17]
	v_cndmask_b32_e32 v39, v1, v39, vcc
; %bb.3735:                             ;   in Loop: Header=BB2_3231 Depth=3
	s_or_b64 exec, exec, s[28:29]
	v_lshrrev_b16_e32 v16, 8, v60
	v_cmp_ne_u16_e32 vcc, 0, v16
	v_mov_b32_e32 v1, 0
	v_mov_b32_e32 v17, 0
	s_and_saveexec_b64 s[28:29], vcc
	s_cbranch_execz .LBB2_3741
; %bb.3736:                             ;   in Loop: Header=BB2_3231 Depth=3
	v_cmp_ne_u16_e32 vcc, s91, v16
	v_bfrev_b32_e32 v17, 1
	s_and_saveexec_b64 s[36:37], vcc
	s_cbranch_execz .LBB2_3740
; %bb.3737:                             ;   in Loop: Header=BB2_3231 Depth=3
	v_and_b32_e32 v18, 0x7f, v16
	v_cmp_ne_u32_e32 vcc, s92, v18
	v_mov_b32_e32 v17, 0x7f800001
	s_and_saveexec_b64 s[66:67], vcc
	s_cbranch_execz .LBB2_3739
; %bb.3738:                             ;   in Loop: Header=BB2_3231 Depth=3
	v_and_b32_e32 v31, 7, v16
	v_ffbh_u32_e32 v17, v31
	v_min_u32_e32 v33, 32, v17
	v_subrev_u32_e32 v17, 28, v33
	v_lshlrev_b64 v[16:17], v17, v[16:17]
	v_lshrrev_b32_e32 v32, 3, v18
	v_sub_u32_e32 v17, 29, v33
	v_and_b32_e32 v16, 7, v16
	v_cmp_gt_u32_e32 vcc, 8, v18
	v_cndmask_b32_e32 v17, v32, v17, vcc
	v_cndmask_b32_e32 v16, v31, v16, vcc
	v_lshlrev_b32_e32 v18, 16, v60
	v_lshlrev_b32_e32 v16, 20, v16
	v_and_b32_e32 v18, 0x80000000, v18
	v_lshl_add_u32 v17, v17, 23, v0
	v_or3_b32 v17, v18, v17, v16
.LBB2_3739:                             ;   in Loop: Header=BB2_3231 Depth=3
	s_or_b64 exec, exec, s[66:67]
.LBB2_3740:                             ;   in Loop: Header=BB2_3231 Depth=3
	s_or_b64 exec, exec, s[36:37]
.LBB2_3741:                             ;   in Loop: Header=BB2_3231 Depth=3
	s_or_b64 exec, exec, s[28:29]
	v_mov_b32_e32 v16, v9
	v_lshrrev_b16_e32 v18, 8, v16
	v_cmp_ne_u16_e32 vcc, 0, v18
	s_and_saveexec_b64 s[28:29], vcc
	s_cbranch_execz .LBB2_3747
; %bb.3742:                             ;   in Loop: Header=BB2_3231 Depth=3
	v_cmp_ne_u16_e32 vcc, s91, v18
	v_bfrev_b32_e32 v1, 1
	s_and_saveexec_b64 s[36:37], vcc
	s_cbranch_execz .LBB2_3746
; %bb.3743:                             ;   in Loop: Header=BB2_3231 Depth=3
	v_and_b32_e32 v31, 0x7f, v18
	v_cmp_ne_u32_e32 vcc, s92, v31
	v_mov_b32_e32 v1, 0x7f800001
	s_and_saveexec_b64 s[66:67], vcc
	s_cbranch_execz .LBB2_3745
; %bb.3744:                             ;   in Loop: Header=BB2_3231 Depth=3
	v_and_b32_e32 v1, 7, v18
	v_ffbh_u32_e32 v32, v1
	v_min_u32_e32 v35, 32, v32
	v_subrev_u32_e32 v32, 28, v35
	v_lshlrev_b64 v[32:33], v32, v[18:19]
	v_lshrrev_b32_e32 v34, 3, v31
	v_sub_u32_e32 v18, 29, v35
	v_and_b32_e32 v32, 7, v32
	v_cmp_gt_u32_e32 vcc, 8, v31
	v_cndmask_b32_e32 v18, v34, v18, vcc
	v_cndmask_b32_e32 v1, v1, v32, vcc
	v_lshlrev_b32_e32 v16, 16, v16
	v_lshlrev_b32_e32 v1, 20, v1
	v_and_b32_e32 v16, 0x80000000, v16
	v_lshl_add_u32 v18, v18, 23, v0
	v_or3_b32 v1, v16, v18, v1
.LBB2_3745:                             ;   in Loop: Header=BB2_3231 Depth=3
	s_or_b64 exec, exec, s[66:67]
.LBB2_3746:                             ;   in Loop: Header=BB2_3231 Depth=3
	s_or_b64 exec, exec, s[36:37]
.LBB2_3747:                             ;   in Loop: Header=BB2_3231 Depth=3
	s_or_b64 exec, exec, s[28:29]
	v_add_f32_e32 v16, v17, v1
	v_and_b32_sdwa v1, v16, s91 dst_sel:DWORD dst_unused:UNUSED_PAD src0_sel:BYTE_3 src1_sel:DWORD
	v_and_b32_e32 v32, 0x7f800000, v16
	v_mov_b32_e32 v33, v61
	v_and_b32_e32 v60, 0x7fffff, v16
	v_or_b32_e32 v18, 0x7e, v1
	v_cmp_ne_u64_e32 vcc, s[54:55], v[32:33]
	s_and_saveexec_b64 s[28:29], vcc
	s_xor_b64 s[36:37], exec, s[28:29]
	s_cbranch_execz .LBB2_3757
; %bb.3748:                             ;   in Loop: Header=BB2_3231 Depth=3
	v_and_b32_e32 v32, 0x7fffffff, v16
	v_mov_b32_e32 v33, v61
	v_cmp_gt_u64_e32 vcc, s[56:57], v[32:33]
	s_and_saveexec_b64 s[66:67], vcc
	s_cbranch_execz .LBB2_3756
; %bb.3749:                             ;   in Loop: Header=BB2_3231 Depth=3
	v_cmp_ne_u32_e32 vcc, 0, v16
	v_mov_b32_e32 v18, 0
	s_and_saveexec_b64 s[68:69], vcc
	s_cbranch_execz .LBB2_3755
; %bb.3750:                             ;   in Loop: Header=BB2_3231 Depth=3
	v_bfe_u32 v16, v16, 23, 8
	v_sub_u32_e32 v18, 0x79, v16
	v_cmp_gt_u32_e32 vcc, s93, v16
	v_add_u32_e32 v17, 0xffffff81, v16
	v_cndmask_b32_e32 v18, 0, v18, vcc
	v_cmp_eq_u32_e32 vcc, 0, v16
	v_mov_b32_e32 v16, 0xffffff82
	v_cndmask_b32_e32 v54, v17, v16, vcc
	v_mov_b32_e32 v16, 0x78
	v_or_b32_e32 v31, 0x800000, v60
	v_cndmask_b32_e32 v18, v18, v16, vcc
	v_cndmask_b32_e32 v60, v31, v60, vcc
	v_add_u32_e32 v16, 20, v18
	v_lshlrev_b64 v[16:17], v16, -1
	v_add_u32_e32 v31, 19, v18
	v_lshrrev_b64 v[34:35], v18, v[60:61]
	v_not_b32_e32 v17, v17
	v_not_b32_e32 v16, v16
	v_lshlrev_b64 v[32:33], v31, 1
	v_lshrrev_b32_e32 v31, 23, v34
	v_and_b32_e32 v17, 0, v17
	v_and_b32_e32 v16, v60, v16
	v_add3_u32 v54, v18, v54, v31
	v_bfe_u32 v18, v34, 20, 1
	v_add_u32_e32 v18, -1, v18
	v_cmp_eq_u64_e32 vcc, v[16:17], v[32:33]
	v_cndmask_b32_e32 v16, 0, v18, vcc
	v_add_u32_e32 v16, v16, v34
	v_and_b32_e32 v16, 0xfffff, v16
	v_add_co_u32_e32 v16, vcc, v16, v34
	v_add_u32_e32 v31, 6, v54
	v_addc_co_u32_e32 v17, vcc, 0, v35, vcc
	v_cmp_ne_u32_e32 vcc, 0, v31
                                        ; implicit-def: $vgpr18
	s_and_saveexec_b64 s[28:29], vcc
	s_xor_b64 s[28:29], exec, s[28:29]
; %bb.3751:                             ;   in Loop: Header=BB2_3231 Depth=3
	v_add_u32_e32 v18, 7, v54
	v_cmp_lt_u64_e32 vcc, s[58:59], v[16:17]
	v_cndmask_b32_e32 v18, v31, v18, vcc
	v_cndmask_b32_e64 v31, 0, 1, vcc
	v_lshrrev_b64 v[16:17], v31, v[16:17]
; %bb.3752:                             ;   in Loop: Header=BB2_3231 Depth=3
	s_andn2_saveexec_b64 s[28:29], s[28:29]
; %bb.3753:                             ;   in Loop: Header=BB2_3231 Depth=3
	v_bfe_u32 v18, v16, 23, 1
; %bb.3754:                             ;   in Loop: Header=BB2_3231 Depth=3
	s_or_b64 exec, exec, s[28:29]
	v_lshrrev_b64 v[16:17], 20, v[16:17]
	v_cmp_gt_i32_e32 vcc, 16, v18
	v_cndmask_b32_e32 v17, 0, v17, vcc
	v_cndmask_b32_e32 v16, 7, v16, vcc
	v_cmp_eq_u64_e64 s[28:29], 0, v[16:17]
	v_min_i32_e32 v17, 15, v18
	v_cmp_eq_u32_e32 vcc, 0, v18
	v_lshlrev_b32_e32 v17, 3, v17
	v_and_or_b32 v16, v16, 7, v17
	s_and_b64 s[28:29], vcc, s[28:29]
	v_cndmask_b32_e64 v16, v16, 0, s[28:29]
	v_or_b32_e32 v18, v16, v1
.LBB2_3755:                             ;   in Loop: Header=BB2_3231 Depth=3
	s_or_b64 exec, exec, s[68:69]
.LBB2_3756:                             ;   in Loop: Header=BB2_3231 Depth=3
	s_or_b64 exec, exec, s[66:67]
                                        ; implicit-def: $vgpr16
.LBB2_3757:                             ;   in Loop: Header=BB2_3231 Depth=3
	s_andn2_saveexec_b64 s[28:29], s[36:37]
; %bb.3758:                             ;   in Loop: Header=BB2_3231 Depth=3
	v_or_b32_sdwa v1, v16, s92 dst_sel:DWORD dst_unused:UNUSED_PAD src0_sel:BYTE_3 src1_sel:DWORD
	v_cmp_eq_u64_e32 vcc, 0, v[60:61]
	v_cndmask_b32_e32 v18, v1, v18, vcc
; %bb.3759:                             ;   in Loop: Header=BB2_3231 Depth=3
	s_or_b64 exec, exec, s[28:29]
	v_lshrrev_b32_e32 v16, 16, v13
	v_cmp_ne_u16_sdwa vcc, v16, v61 src0_sel:BYTE_0 src1_sel:DWORD
	v_mov_b32_e32 v1, 0
	v_mov_b32_e32 v17, 0
	s_and_saveexec_b64 s[28:29], vcc
	s_cbranch_execz .LBB2_3765
; %bb.3760:                             ;   in Loop: Header=BB2_3231 Depth=3
	v_cmp_ne_u16_sdwa vcc, v16, s91 src0_sel:BYTE_0 src1_sel:DWORD
	v_bfrev_b32_e32 v17, 1
	s_and_saveexec_b64 s[36:37], vcc
	s_cbranch_execz .LBB2_3764
; %bb.3761:                             ;   in Loop: Header=BB2_3231 Depth=3
	v_bfe_u32 v31, v13, 16, 7
	v_cmp_ne_u32_e32 vcc, s92, v31
	v_mov_b32_e32 v17, 0x7f800001
	s_and_saveexec_b64 s[66:67], vcc
	s_cbranch_execz .LBB2_3763
; %bb.3762:                             ;   in Loop: Header=BB2_3231 Depth=3
	v_and_b32_e32 v17, 7, v16
	v_ffbh_u32_e32 v32, v17
	v_min_u32_e32 v35, 32, v32
	v_subrev_u32_e32 v32, 28, v35
	v_lshlrev_b64 v[32:33], v32, v[16:17]
	v_lshrrev_b32_e32 v34, 3, v31
	v_sub_u32_e32 v33, 29, v35
	v_and_b32_e32 v32, 7, v32
	v_cmp_gt_u32_e32 vcc, 8, v31
	v_cndmask_b32_e32 v31, v34, v33, vcc
	v_cndmask_b32_e32 v17, v17, v32, vcc
	v_lshlrev_b32_e32 v16, 24, v16
	v_lshlrev_b32_e32 v17, 20, v17
	v_and_b32_e32 v16, 0x80000000, v16
	v_lshl_add_u32 v31, v31, 23, v0
	v_or3_b32 v17, v16, v31, v17
.LBB2_3763:                             ;   in Loop: Header=BB2_3231 Depth=3
	s_or_b64 exec, exec, s[66:67]
.LBB2_3764:                             ;   in Loop: Header=BB2_3231 Depth=3
	s_or_b64 exec, exec, s[36:37]
.LBB2_3765:                             ;   in Loop: Header=BB2_3231 Depth=3
	s_or_b64 exec, exec, s[28:29]
	v_lshrrev_b32_e32 v16, 16, v9
	v_cmp_ne_u16_sdwa vcc, v16, v61 src0_sel:BYTE_0 src1_sel:DWORD
	s_and_saveexec_b64 s[28:29], vcc
	s_cbranch_execz .LBB2_3771
; %bb.3766:                             ;   in Loop: Header=BB2_3231 Depth=3
	v_cmp_ne_u16_sdwa vcc, v16, s91 src0_sel:BYTE_0 src1_sel:DWORD
	v_bfrev_b32_e32 v1, 1
	s_and_saveexec_b64 s[36:37], vcc
	s_cbranch_execz .LBB2_3770
; %bb.3767:                             ;   in Loop: Header=BB2_3231 Depth=3
	v_bfe_u32 v31, v9, 16, 7
	v_cmp_ne_u32_e32 vcc, s92, v31
	v_mov_b32_e32 v1, 0x7f800001
	s_and_saveexec_b64 s[66:67], vcc
	s_cbranch_execz .LBB2_3769
; %bb.3768:                             ;   in Loop: Header=BB2_3231 Depth=3
	v_and_b32_e32 v1, 7, v16
	v_ffbh_u32_e32 v32, v1
	v_min_u32_e32 v35, 32, v32
	v_subrev_u32_e32 v32, 28, v35
	v_lshlrev_b64 v[32:33], v32, v[16:17]
	v_lshrrev_b32_e32 v34, 3, v31
	v_sub_u32_e32 v16, 29, v35
	v_and_b32_e32 v32, 7, v32
	v_cmp_gt_u32_e32 vcc, 8, v31
	v_cndmask_b32_e32 v16, v34, v16, vcc
	v_cndmask_b32_e32 v1, v1, v32, vcc
	v_lshlrev_b32_e32 v31, 8, v9
	v_lshlrev_b32_e32 v1, 20, v1
	v_and_b32_e32 v31, 0x80000000, v31
	v_lshl_add_u32 v16, v16, 23, v0
	v_or3_b32 v1, v31, v16, v1
.LBB2_3769:                             ;   in Loop: Header=BB2_3231 Depth=3
	s_or_b64 exec, exec, s[66:67]
.LBB2_3770:                             ;   in Loop: Header=BB2_3231 Depth=3
	s_or_b64 exec, exec, s[36:37]
.LBB2_3771:                             ;   in Loop: Header=BB2_3231 Depth=3
	s_or_b64 exec, exec, s[28:29]
	v_add_f32_e32 v17, v17, v1
	v_and_b32_sdwa v1, v17, s91 dst_sel:DWORD dst_unused:UNUSED_PAD src0_sel:BYTE_3 src1_sel:DWORD
	v_and_b32_e32 v32, 0x7f800000, v17
	v_mov_b32_e32 v33, v61
	v_and_b32_e32 v60, 0x7fffff, v17
	v_or_b32_e32 v16, 0x7e, v1
	v_cmp_ne_u64_e32 vcc, s[54:55], v[32:33]
	s_and_saveexec_b64 s[28:29], vcc
	s_xor_b64 s[36:37], exec, s[28:29]
	s_cbranch_execz .LBB2_3781
; %bb.3772:                             ;   in Loop: Header=BB2_3231 Depth=3
	v_and_b32_e32 v32, 0x7fffffff, v17
	v_mov_b32_e32 v33, v61
	v_cmp_gt_u64_e32 vcc, s[56:57], v[32:33]
	s_and_saveexec_b64 s[66:67], vcc
	s_cbranch_execz .LBB2_3780
; %bb.3773:                             ;   in Loop: Header=BB2_3231 Depth=3
	v_cmp_ne_u32_e32 vcc, 0, v17
	v_mov_b32_e32 v16, 0
	s_and_saveexec_b64 s[68:69], vcc
	s_cbranch_execz .LBB2_3779
; %bb.3774:                             ;   in Loop: Header=BB2_3231 Depth=3
	v_bfe_u32 v16, v17, 23, 8
	v_sub_u32_e32 v31, 0x79, v16
	v_cmp_gt_u32_e32 vcc, s93, v16
	v_add_u32_e32 v17, 0xffffff81, v16
	v_cndmask_b32_e32 v31, 0, v31, vcc
	v_cmp_eq_u32_e32 vcc, 0, v16
	v_mov_b32_e32 v16, 0xffffff82
	v_cndmask_b32_e32 v54, v17, v16, vcc
	v_mov_b32_e32 v16, 0x78
	v_or_b32_e32 v32, 0x800000, v60
	v_cndmask_b32_e32 v31, v31, v16, vcc
	v_cndmask_b32_e32 v60, v32, v60, vcc
	v_add_u32_e32 v16, 20, v31
	v_lshlrev_b64 v[16:17], v16, -1
	v_lshrrev_b64 v[34:35], v31, v[60:61]
	v_not_b32_e32 v17, v17
	v_not_b32_e32 v16, v16
	v_add_u32_e32 v32, 19, v31
	v_lshrrev_b32_e32 v40, 23, v34
	v_and_b32_e32 v17, 0, v17
	v_and_b32_e32 v16, v60, v16
	v_lshlrev_b64 v[32:33], v32, 1
	v_add3_u32 v40, v31, v54, v40
	v_bfe_u32 v31, v34, 20, 1
	v_add_u32_e32 v31, -1, v31
	v_cmp_eq_u64_e32 vcc, v[16:17], v[32:33]
	v_cndmask_b32_e32 v16, 0, v31, vcc
	v_add_u32_e32 v16, v16, v34
	v_and_b32_e32 v16, 0xfffff, v16
	v_add_co_u32_e32 v16, vcc, v16, v34
	v_add_u32_e32 v54, 6, v40
	v_addc_co_u32_e32 v17, vcc, 0, v35, vcc
	v_cmp_ne_u32_e32 vcc, 0, v54
                                        ; implicit-def: $vgpr31
	s_and_saveexec_b64 s[28:29], vcc
	s_xor_b64 s[28:29], exec, s[28:29]
; %bb.3775:                             ;   in Loop: Header=BB2_3231 Depth=3
	v_cmp_lt_u64_e32 vcc, s[58:59], v[16:17]
	v_add_u32_e32 v31, 7, v40
	v_cndmask_b32_e64 v32, 0, 1, vcc
	v_cndmask_b32_e32 v31, v54, v31, vcc
	v_lshrrev_b64 v[16:17], v32, v[16:17]
; %bb.3776:                             ;   in Loop: Header=BB2_3231 Depth=3
	s_andn2_saveexec_b64 s[28:29], s[28:29]
; %bb.3777:                             ;   in Loop: Header=BB2_3231 Depth=3
	v_bfe_u32 v31, v16, 23, 1
; %bb.3778:                             ;   in Loop: Header=BB2_3231 Depth=3
	s_or_b64 exec, exec, s[28:29]
	v_lshrrev_b64 v[16:17], 20, v[16:17]
	v_cmp_gt_i32_e32 vcc, 16, v31
	v_cndmask_b32_e32 v17, 0, v17, vcc
	v_cndmask_b32_e32 v16, 7, v16, vcc
	v_cmp_eq_u64_e64 s[28:29], 0, v[16:17]
	v_min_i32_e32 v17, 15, v31
	v_lshlrev_b32_e32 v17, 3, v17
	v_cmp_eq_u32_e32 vcc, 0, v31
	v_and_b32_e32 v17, 0xf8, v17
	v_and_or_b32 v16, v16, 7, v17
	s_and_b64 s[28:29], vcc, s[28:29]
	v_cndmask_b32_e64 v16, v16, 0, s[28:29]
	v_or_b32_e32 v16, v16, v1
.LBB2_3779:                             ;   in Loop: Header=BB2_3231 Depth=3
	s_or_b64 exec, exec, s[68:69]
.LBB2_3780:                             ;   in Loop: Header=BB2_3231 Depth=3
	s_or_b64 exec, exec, s[66:67]
                                        ; implicit-def: $vgpr17
.LBB2_3781:                             ;   in Loop: Header=BB2_3231 Depth=3
	s_andn2_saveexec_b64 s[28:29], s[36:37]
; %bb.3782:                             ;   in Loop: Header=BB2_3231 Depth=3
	v_or_b32_sdwa v1, v17, s92 dst_sel:DWORD dst_unused:UNUSED_PAD src0_sel:BYTE_3 src1_sel:DWORD
	v_cmp_eq_u64_e32 vcc, 0, v[60:61]
	v_cndmask_b32_e32 v16, v1, v16, vcc
; %bb.3783:                             ;   in Loop: Header=BB2_3231 Depth=3
	s_or_b64 exec, exec, s[28:29]
	v_cmp_lt_u64_e32 vcc, s[44:45], v[12:13]
	v_mov_b32_e32 v1, 0
	v_mov_b32_e32 v17, 0
	s_and_saveexec_b64 s[28:29], vcc
	s_cbranch_execz .LBB2_3789
; %bb.3784:                             ;   in Loop: Header=BB2_3231 Depth=3
	v_lshrrev_b32_e32 v12, 24, v13
	v_cmp_ne_u32_e32 vcc, s91, v12
	v_bfrev_b32_e32 v17, 1
	s_and_saveexec_b64 s[36:37], vcc
	s_cbranch_execz .LBB2_3788
; %bb.3785:                             ;   in Loop: Header=BB2_3231 Depth=3
	v_bfe_u32 v13, v13, 24, 7
	v_cmp_ne_u32_e32 vcc, s92, v13
	v_mov_b32_e32 v17, 0x7f800001
	s_and_saveexec_b64 s[66:67], vcc
	s_cbranch_execz .LBB2_3787
; %bb.3786:                             ;   in Loop: Header=BB2_3231 Depth=3
	v_and_b32_e32 v17, 7, v12
	v_ffbh_u32_e32 v32, v17
	v_min_u32_e32 v34, 32, v32
	v_subrev_u32_e32 v32, 28, v34
	v_lshlrev_b64 v[32:33], v32, v[12:13]
	v_lshrrev_b32_e32 v31, 3, v13
	v_sub_u32_e32 v33, 29, v34
	v_and_b32_e32 v32, 7, v32
	v_cmp_gt_u32_e32 vcc, 8, v13
	v_cndmask_b32_e32 v13, v31, v33, vcc
	v_cndmask_b32_e32 v17, v17, v32, vcc
	v_lshlrev_b32_e32 v12, 24, v12
	v_lshlrev_b32_e32 v17, 20, v17
	v_and_b32_e32 v12, 0x80000000, v12
	v_lshl_add_u32 v13, v13, 23, v0
	v_or3_b32 v17, v12, v13, v17
.LBB2_3787:                             ;   in Loop: Header=BB2_3231 Depth=3
	s_or_b64 exec, exec, s[66:67]
.LBB2_3788:                             ;   in Loop: Header=BB2_3231 Depth=3
	s_or_b64 exec, exec, s[36:37]
.LBB2_3789:                             ;   in Loop: Header=BB2_3231 Depth=3
	s_or_b64 exec, exec, s[28:29]
	v_cmp_lt_u64_e32 vcc, s[44:45], v[8:9]
	s_and_saveexec_b64 s[28:29], vcc
	s_cbranch_execz .LBB2_3795
; %bb.3790:                             ;   in Loop: Header=BB2_3231 Depth=3
	v_lshrrev_b32_e32 v8, 24, v9
	v_cmp_ne_u32_e32 vcc, s91, v8
	v_bfrev_b32_e32 v1, 1
	s_and_saveexec_b64 s[36:37], vcc
	s_cbranch_execz .LBB2_3794
; %bb.3791:                             ;   in Loop: Header=BB2_3231 Depth=3
	v_bfe_u32 v9, v9, 24, 7
	v_cmp_ne_u32_e32 vcc, s92, v9
	v_mov_b32_e32 v1, 0x7f800001
	s_and_saveexec_b64 s[66:67], vcc
	s_cbranch_execz .LBB2_3793
; %bb.3792:                             ;   in Loop: Header=BB2_3231 Depth=3
	v_and_b32_e32 v1, 7, v8
	v_ffbh_u32_e32 v12, v1
	v_min_u32_e32 v32, 32, v12
	v_subrev_u32_e32 v12, 28, v32
	v_lshlrev_b64 v[12:13], v12, v[8:9]
	v_lshrrev_b32_e32 v31, 3, v9
	v_sub_u32_e32 v13, 29, v32
	v_and_b32_e32 v12, 7, v12
	v_cmp_gt_u32_e32 vcc, 8, v9
	v_cndmask_b32_e32 v9, v31, v13, vcc
	v_cndmask_b32_e32 v1, v1, v12, vcc
	v_lshlrev_b32_e32 v8, 24, v8
	v_lshlrev_b32_e32 v1, 20, v1
	v_and_b32_e32 v8, 0x80000000, v8
	v_lshl_add_u32 v9, v9, 23, v0
	v_or3_b32 v1, v8, v9, v1
.LBB2_3793:                             ;   in Loop: Header=BB2_3231 Depth=3
	s_or_b64 exec, exec, s[66:67]
.LBB2_3794:                             ;   in Loop: Header=BB2_3231 Depth=3
	s_or_b64 exec, exec, s[36:37]
.LBB2_3795:                             ;   in Loop: Header=BB2_3231 Depth=3
	s_or_b64 exec, exec, s[28:29]
	v_add_f32_e32 v8, v17, v1
	v_and_b32_sdwa v1, v8, s91 dst_sel:DWORD dst_unused:UNUSED_PAD src0_sel:BYTE_3 src1_sel:DWORD
	v_and_b32_e32 v32, 0x7f800000, v8
	v_mov_b32_e32 v33, v61
	v_and_b32_e32 v60, 0x7fffff, v8
	v_or_b32_e32 v13, 0x7e, v1
	v_cmp_ne_u64_e32 vcc, s[54:55], v[32:33]
	s_and_saveexec_b64 s[28:29], vcc
	s_xor_b64 s[36:37], exec, s[28:29]
	s_cbranch_execz .LBB2_3805
; %bb.3796:                             ;   in Loop: Header=BB2_3231 Depth=3
	v_and_b32_e32 v32, 0x7fffffff, v8
	v_mov_b32_e32 v33, v61
	v_cmp_gt_u64_e32 vcc, s[56:57], v[32:33]
	s_and_saveexec_b64 s[66:67], vcc
	s_cbranch_execz .LBB2_3804
; %bb.3797:                             ;   in Loop: Header=BB2_3231 Depth=3
	v_cmp_ne_u32_e32 vcc, 0, v8
	v_mov_b32_e32 v13, 0
	s_and_saveexec_b64 s[68:69], vcc
	s_cbranch_execz .LBB2_3803
; %bb.3798:                             ;   in Loop: Header=BB2_3231 Depth=3
	v_bfe_u32 v8, v8, 23, 8
	v_sub_u32_e32 v12, 0x79, v8
	v_cmp_gt_u32_e32 vcc, s93, v8
	v_add_u32_e32 v9, 0xffffff81, v8
	v_cndmask_b32_e32 v12, 0, v12, vcc
	v_cmp_eq_u32_e32 vcc, 0, v8
	v_mov_b32_e32 v8, 0xffffff82
	v_cndmask_b32_e32 v17, v9, v8, vcc
	v_mov_b32_e32 v8, 0x78
	v_or_b32_e32 v13, 0x800000, v60
	v_cndmask_b32_e32 v12, v12, v8, vcc
	v_cndmask_b32_e32 v60, v13, v60, vcc
	v_add_u32_e32 v8, 20, v12
	v_lshlrev_b64 v[8:9], v8, -1
	v_add_u32_e32 v13, 19, v12
	v_lshrrev_b64 v[34:35], v12, v[60:61]
	v_not_b32_e32 v9, v9
	v_not_b32_e32 v8, v8
	v_lshlrev_b64 v[32:33], v13, 1
	v_lshrrev_b32_e32 v13, 23, v34
	v_and_b32_e32 v9, 0, v9
	v_and_b32_e32 v8, v60, v8
	v_add3_u32 v17, v12, v17, v13
	v_bfe_u32 v12, v34, 20, 1
	v_add_u32_e32 v12, -1, v12
	v_cmp_eq_u64_e32 vcc, v[8:9], v[32:33]
	v_cndmask_b32_e32 v8, 0, v12, vcc
	v_add_u32_e32 v8, v8, v34
	v_and_b32_e32 v8, 0xfffff, v8
	v_add_co_u32_e32 v8, vcc, v8, v34
	v_add_u32_e32 v13, 6, v17
	v_addc_co_u32_e32 v9, vcc, 0, v35, vcc
	v_cmp_ne_u32_e32 vcc, 0, v13
                                        ; implicit-def: $vgpr12
	s_and_saveexec_b64 s[28:29], vcc
	s_xor_b64 s[28:29], exec, s[28:29]
; %bb.3799:                             ;   in Loop: Header=BB2_3231 Depth=3
	v_add_u32_e32 v12, 7, v17
	v_cmp_lt_u64_e32 vcc, s[58:59], v[8:9]
	v_cndmask_b32_e32 v12, v13, v12, vcc
	v_cndmask_b32_e64 v13, 0, 1, vcc
	v_lshrrev_b64 v[8:9], v13, v[8:9]
; %bb.3800:                             ;   in Loop: Header=BB2_3231 Depth=3
	s_andn2_saveexec_b64 s[28:29], s[28:29]
; %bb.3801:                             ;   in Loop: Header=BB2_3231 Depth=3
	v_bfe_u32 v12, v8, 23, 1
; %bb.3802:                             ;   in Loop: Header=BB2_3231 Depth=3
	s_or_b64 exec, exec, s[28:29]
	v_lshrrev_b64 v[8:9], 20, v[8:9]
	v_cmp_gt_i32_e32 vcc, 16, v12
	v_cndmask_b32_e32 v9, 0, v9, vcc
	v_cndmask_b32_e32 v8, 7, v8, vcc
	v_cmp_eq_u64_e64 s[28:29], 0, v[8:9]
	v_min_i32_e32 v9, 15, v12
	v_lshlrev_b32_e32 v9, 3, v9
	v_cmp_eq_u32_e32 vcc, 0, v12
	v_and_b32_e32 v9, 0xf8, v9
	v_and_or_b32 v8, v8, 7, v9
	s_and_b64 s[28:29], vcc, s[28:29]
	v_cndmask_b32_e64 v8, v8, 0, s[28:29]
	v_or_b32_e32 v13, v8, v1
.LBB2_3803:                             ;   in Loop: Header=BB2_3231 Depth=3
	s_or_b64 exec, exec, s[68:69]
.LBB2_3804:                             ;   in Loop: Header=BB2_3231 Depth=3
	s_or_b64 exec, exec, s[66:67]
                                        ; implicit-def: $vgpr8
.LBB2_3805:                             ;   in Loop: Header=BB2_3231 Depth=3
	s_andn2_saveexec_b64 s[28:29], s[36:37]
; %bb.3806:                             ;   in Loop: Header=BB2_3231 Depth=3
	v_or_b32_sdwa v1, v8, s92 dst_sel:DWORD dst_unused:UNUSED_PAD src0_sel:BYTE_3 src1_sel:DWORD
	v_cmp_eq_u64_e32 vcc, 0, v[60:61]
	v_cndmask_b32_e32 v13, v1, v13, vcc
; %bb.3807:                             ;   in Loop: Header=BB2_3231 Depth=3
	s_or_b64 exec, exec, s[28:29]
	v_cmp_ne_u16_sdwa vcc, v14, v61 src0_sel:BYTE_0 src1_sel:DWORD
	v_mov_b32_e32 v1, 0
	v_mov_b32_e32 v8, 0
	s_and_saveexec_b64 s[28:29], vcc
	s_cbranch_execz .LBB2_3813
; %bb.3808:                             ;   in Loop: Header=BB2_3231 Depth=3
	v_cmp_ne_u16_sdwa vcc, v14, s91 src0_sel:BYTE_0 src1_sel:DWORD
	v_bfrev_b32_e32 v8, 1
	s_and_saveexec_b64 s[36:37], vcc
	s_cbranch_execz .LBB2_3812
; %bb.3809:                             ;   in Loop: Header=BB2_3231 Depth=3
	v_and_b32_e32 v9, 0x7f, v14
	v_cmp_ne_u32_e32 vcc, s92, v9
	v_mov_b32_e32 v8, 0x7f800001
	s_and_saveexec_b64 s[66:67], vcc
	s_cbranch_execz .LBB2_3811
; %bb.3810:                             ;   in Loop: Header=BB2_3231 Depth=3
	v_and_b32_e32 v8, 7, v14
	v_ffbh_u32_e32 v8, v8
	v_min_u32_e32 v8, 32, v8
	v_lshrrev_b32_e32 v12, 3, v9
	v_subrev_u32_e32 v17, 28, v8
	v_sub_u32_e32 v8, 29, v8
	v_cmp_gt_u32_e32 vcc, 8, v9
	v_cndmask_b32_e32 v12, v12, v8, vcc
	v_cndmask_b32_e32 v8, 0, v17, vcc
	v_lshlrev_b64 v[8:9], v8, v[14:15]
	v_lshlrev_b32_e32 v8, 20, v8
	v_lshlrev_b32_e32 v9, 24, v14
	v_and_b32_e32 v8, 0x700000, v8
	v_and_b32_e32 v9, 0x80000000, v9
	v_lshl_add_u32 v12, v12, 23, v0
	v_or3_b32 v8, v9, v12, v8
.LBB2_3811:                             ;   in Loop: Header=BB2_3231 Depth=3
	s_or_b64 exec, exec, s[66:67]
.LBB2_3812:                             ;   in Loop: Header=BB2_3231 Depth=3
	s_or_b64 exec, exec, s[36:37]
.LBB2_3813:                             ;   in Loop: Header=BB2_3231 Depth=3
	s_or_b64 exec, exec, s[28:29]
	v_cmp_ne_u16_sdwa vcc, v10, v61 src0_sel:BYTE_0 src1_sel:DWORD
	s_and_saveexec_b64 s[28:29], vcc
	s_cbranch_execz .LBB2_3819
; %bb.3814:                             ;   in Loop: Header=BB2_3231 Depth=3
	v_cmp_ne_u16_sdwa vcc, v10, s91 src0_sel:BYTE_0 src1_sel:DWORD
	v_bfrev_b32_e32 v1, 1
	s_and_saveexec_b64 s[36:37], vcc
	s_cbranch_execz .LBB2_3818
; %bb.3815:                             ;   in Loop: Header=BB2_3231 Depth=3
	v_and_b32_e32 v9, 0x7f, v10
	v_cmp_ne_u32_e32 vcc, s92, v9
	v_mov_b32_e32 v1, 0x7f800001
	s_and_saveexec_b64 s[66:67], vcc
	s_cbranch_execz .LBB2_3817
; %bb.3816:                             ;   in Loop: Header=BB2_3231 Depth=3
	v_and_b32_e32 v1, 7, v10
	v_ffbh_u32_e32 v1, v1
	v_min_u32_e32 v1, 32, v1
	v_subrev_u32_e32 v17, 28, v1
	v_cmp_gt_u32_e32 vcc, 8, v9
	v_lshrrev_b32_e32 v12, 3, v9
	v_cndmask_b32_e32 v9, 0, v17, vcc
	v_sub_u32_e32 v1, 29, v1
	v_lshlrev_b64 v[32:33], v9, v[10:11]
	v_cndmask_b32_e32 v1, v12, v1, vcc
	v_lshlrev_b32_e32 v9, 20, v32
	v_lshlrev_b32_e32 v12, 24, v10
	v_and_b32_e32 v9, 0x700000, v9
	v_and_b32_e32 v12, 0x80000000, v12
	v_lshl_add_u32 v1, v1, 23, v0
	v_or3_b32 v1, v12, v1, v9
.LBB2_3817:                             ;   in Loop: Header=BB2_3231 Depth=3
	s_or_b64 exec, exec, s[66:67]
.LBB2_3818:                             ;   in Loop: Header=BB2_3231 Depth=3
	s_or_b64 exec, exec, s[36:37]
.LBB2_3819:                             ;   in Loop: Header=BB2_3231 Depth=3
	s_or_b64 exec, exec, s[28:29]
	v_add_f32_e32 v8, v8, v1
	v_and_b32_sdwa v1, v8, s91 dst_sel:DWORD dst_unused:UNUSED_PAD src0_sel:BYTE_3 src1_sel:DWORD
	v_and_b32_e32 v32, 0x7f800000, v8
	v_mov_b32_e32 v33, v61
	v_and_b32_e32 v60, 0x7fffff, v8
	v_or_b32_e32 v17, 0x7e, v1
	v_cmp_ne_u64_e32 vcc, s[54:55], v[32:33]
	s_and_saveexec_b64 s[28:29], vcc
	s_xor_b64 s[36:37], exec, s[28:29]
	s_cbranch_execz .LBB2_3829
; %bb.3820:                             ;   in Loop: Header=BB2_3231 Depth=3
	v_and_b32_e32 v32, 0x7fffffff, v8
	v_mov_b32_e32 v33, v61
	v_cmp_gt_u64_e32 vcc, s[56:57], v[32:33]
	s_and_saveexec_b64 s[66:67], vcc
	s_cbranch_execz .LBB2_3828
; %bb.3821:                             ;   in Loop: Header=BB2_3231 Depth=3
	v_cmp_ne_u32_e32 vcc, 0, v8
	v_mov_b32_e32 v17, 0
	s_and_saveexec_b64 s[68:69], vcc
	s_cbranch_execz .LBB2_3827
; %bb.3822:                             ;   in Loop: Header=BB2_3231 Depth=3
	v_bfe_u32 v8, v8, 23, 8
	v_sub_u32_e32 v12, 0x79, v8
	v_cmp_gt_u32_e32 vcc, s93, v8
	v_add_u32_e32 v9, 0xffffff81, v8
	v_cndmask_b32_e32 v12, 0, v12, vcc
	v_cmp_eq_u32_e32 vcc, 0, v8
	v_mov_b32_e32 v8, 0xffffff82
	v_cndmask_b32_e32 v31, v9, v8, vcc
	v_mov_b32_e32 v8, 0x78
	v_or_b32_e32 v17, 0x800000, v60
	v_cndmask_b32_e32 v12, v12, v8, vcc
	v_cndmask_b32_e32 v60, v17, v60, vcc
	v_add_u32_e32 v8, 20, v12
	v_lshlrev_b64 v[8:9], v8, -1
	v_add_u32_e32 v17, 19, v12
	v_lshrrev_b64 v[34:35], v12, v[60:61]
	v_not_b32_e32 v9, v9
	v_not_b32_e32 v8, v8
	v_lshlrev_b64 v[32:33], v17, 1
	v_lshrrev_b32_e32 v17, 23, v34
	v_and_b32_e32 v9, 0, v9
	v_and_b32_e32 v8, v60, v8
	v_add3_u32 v31, v12, v31, v17
	v_bfe_u32 v12, v34, 20, 1
	v_add_u32_e32 v12, -1, v12
	v_cmp_eq_u64_e32 vcc, v[8:9], v[32:33]
	v_cndmask_b32_e32 v8, 0, v12, vcc
	v_add_u32_e32 v8, v8, v34
	v_and_b32_e32 v8, 0xfffff, v8
	v_add_co_u32_e32 v8, vcc, v8, v34
	v_add_u32_e32 v17, 6, v31
	v_addc_co_u32_e32 v9, vcc, 0, v35, vcc
	v_cmp_ne_u32_e32 vcc, 0, v17
                                        ; implicit-def: $vgpr12
	s_and_saveexec_b64 s[28:29], vcc
	s_xor_b64 s[28:29], exec, s[28:29]
; %bb.3823:                             ;   in Loop: Header=BB2_3231 Depth=3
	v_add_u32_e32 v12, 7, v31
	v_cmp_lt_u64_e32 vcc, s[58:59], v[8:9]
	v_cndmask_b32_e32 v12, v17, v12, vcc
	v_cndmask_b32_e64 v17, 0, 1, vcc
	v_lshrrev_b64 v[8:9], v17, v[8:9]
; %bb.3824:                             ;   in Loop: Header=BB2_3231 Depth=3
	s_andn2_saveexec_b64 s[28:29], s[28:29]
; %bb.3825:                             ;   in Loop: Header=BB2_3231 Depth=3
	v_bfe_u32 v12, v8, 23, 1
; %bb.3826:                             ;   in Loop: Header=BB2_3231 Depth=3
	s_or_b64 exec, exec, s[28:29]
	v_lshrrev_b64 v[8:9], 20, v[8:9]
	v_cmp_gt_i32_e32 vcc, 16, v12
	v_cndmask_b32_e32 v9, 0, v9, vcc
	v_cndmask_b32_e32 v8, 7, v8, vcc
	v_cmp_eq_u64_e64 s[28:29], 0, v[8:9]
	v_min_i32_e32 v9, 15, v12
	v_cmp_eq_u32_e32 vcc, 0, v12
	v_lshlrev_b32_e32 v9, 3, v9
	v_and_or_b32 v8, v8, 7, v9
	s_and_b64 s[28:29], vcc, s[28:29]
	v_cndmask_b32_e64 v8, v8, 0, s[28:29]
	v_or_b32_e32 v17, v8, v1
.LBB2_3827:                             ;   in Loop: Header=BB2_3231 Depth=3
	s_or_b64 exec, exec, s[68:69]
.LBB2_3828:                             ;   in Loop: Header=BB2_3231 Depth=3
	s_or_b64 exec, exec, s[66:67]
                                        ; implicit-def: $vgpr8
.LBB2_3829:                             ;   in Loop: Header=BB2_3231 Depth=3
	s_andn2_saveexec_b64 s[28:29], s[36:37]
; %bb.3830:                             ;   in Loop: Header=BB2_3231 Depth=3
	v_or_b32_sdwa v1, v8, s92 dst_sel:DWORD dst_unused:UNUSED_PAD src0_sel:BYTE_3 src1_sel:DWORD
	v_cmp_eq_u64_e32 vcc, 0, v[60:61]
	v_cndmask_b32_e32 v17, v1, v17, vcc
; %bb.3831:                             ;   in Loop: Header=BB2_3231 Depth=3
	s_or_b64 exec, exec, s[28:29]
	v_lshrrev_b16_e32 v8, 8, v14
	v_cmp_ne_u16_e32 vcc, 0, v8
	v_mov_b32_e32 v1, 0
	v_mov_b32_e32 v9, 0
	s_and_saveexec_b64 s[28:29], vcc
	s_cbranch_execz .LBB2_3837
; %bb.3832:                             ;   in Loop: Header=BB2_3231 Depth=3
	v_cmp_ne_u16_e32 vcc, s91, v8
	v_bfrev_b32_e32 v9, 1
	s_and_saveexec_b64 s[36:37], vcc
	s_cbranch_execz .LBB2_3836
; %bb.3833:                             ;   in Loop: Header=BB2_3231 Depth=3
	v_and_b32_e32 v12, 0x7f, v8
	v_cmp_ne_u32_e32 vcc, s92, v12
	v_mov_b32_e32 v9, 0x7f800001
	s_and_saveexec_b64 s[66:67], vcc
	s_cbranch_execz .LBB2_3835
; %bb.3834:                             ;   in Loop: Header=BB2_3231 Depth=3
	v_and_b32_e32 v31, 7, v8
	v_ffbh_u32_e32 v9, v31
	v_min_u32_e32 v33, 32, v9
	v_subrev_u32_e32 v9, 28, v33
	v_lshlrev_b64 v[8:9], v9, v[8:9]
	v_lshrrev_b32_e32 v32, 3, v12
	v_sub_u32_e32 v9, 29, v33
	v_and_b32_e32 v8, 7, v8
	v_cmp_gt_u32_e32 vcc, 8, v12
	v_cndmask_b32_e32 v9, v32, v9, vcc
	v_cndmask_b32_e32 v8, v31, v8, vcc
	v_lshlrev_b32_e32 v12, 16, v14
	v_lshlrev_b32_e32 v8, 20, v8
	v_and_b32_e32 v12, 0x80000000, v12
	v_lshl_add_u32 v9, v9, 23, v0
	v_or3_b32 v9, v12, v9, v8
.LBB2_3835:                             ;   in Loop: Header=BB2_3231 Depth=3
	s_or_b64 exec, exec, s[66:67]
.LBB2_3836:                             ;   in Loop: Header=BB2_3231 Depth=3
	s_or_b64 exec, exec, s[36:37]
.LBB2_3837:                             ;   in Loop: Header=BB2_3231 Depth=3
	s_or_b64 exec, exec, s[28:29]
	v_lshrrev_b16_e32 v8, 8, v10
	v_cmp_ne_u16_e32 vcc, 0, v8
	s_and_saveexec_b64 s[28:29], vcc
	s_cbranch_execz .LBB2_3843
; %bb.3838:                             ;   in Loop: Header=BB2_3231 Depth=3
	v_cmp_ne_u16_e32 vcc, s91, v8
	v_bfrev_b32_e32 v1, 1
	s_and_saveexec_b64 s[36:37], vcc
	s_cbranch_execz .LBB2_3842
; %bb.3839:                             ;   in Loop: Header=BB2_3231 Depth=3
	v_and_b32_e32 v12, 0x7f, v8
	v_cmp_ne_u32_e32 vcc, s92, v12
	v_mov_b32_e32 v1, 0x7f800001
	s_and_saveexec_b64 s[66:67], vcc
	s_cbranch_execz .LBB2_3841
; %bb.3840:                             ;   in Loop: Header=BB2_3231 Depth=3
	v_and_b32_e32 v1, 7, v8
	v_ffbh_u32_e32 v32, v1
	v_min_u32_e32 v34, 32, v32
	v_subrev_u32_e32 v32, 28, v34
	v_lshlrev_b64 v[32:33], v32, v[8:9]
	v_lshrrev_b32_e32 v31, 3, v12
	v_sub_u32_e32 v8, 29, v34
	v_and_b32_e32 v32, 7, v32
	v_cmp_gt_u32_e32 vcc, 8, v12
	v_cndmask_b32_e32 v8, v31, v8, vcc
	v_cndmask_b32_e32 v1, v1, v32, vcc
	v_lshlrev_b32_e32 v12, 16, v10
	v_lshlrev_b32_e32 v1, 20, v1
	v_and_b32_e32 v12, 0x80000000, v12
	v_lshl_add_u32 v8, v8, 23, v0
	v_or3_b32 v1, v12, v8, v1
.LBB2_3841:                             ;   in Loop: Header=BB2_3231 Depth=3
	s_or_b64 exec, exec, s[66:67]
.LBB2_3842:                             ;   in Loop: Header=BB2_3231 Depth=3
	s_or_b64 exec, exec, s[36:37]
.LBB2_3843:                             ;   in Loop: Header=BB2_3231 Depth=3
	s_or_b64 exec, exec, s[28:29]
	v_add_f32_e32 v8, v9, v1
	v_and_b32_sdwa v1, v8, s91 dst_sel:DWORD dst_unused:UNUSED_PAD src0_sel:BYTE_3 src1_sel:DWORD
	v_and_b32_e32 v32, 0x7f800000, v8
	v_mov_b32_e32 v33, v61
	v_and_b32_e32 v60, 0x7fffff, v8
	v_or_b32_e32 v31, 0x7e, v1
	v_cmp_ne_u64_e32 vcc, s[54:55], v[32:33]
	s_and_saveexec_b64 s[28:29], vcc
	s_xor_b64 s[36:37], exec, s[28:29]
	s_cbranch_execz .LBB2_3853
; %bb.3844:                             ;   in Loop: Header=BB2_3231 Depth=3
	v_and_b32_e32 v32, 0x7fffffff, v8
	v_mov_b32_e32 v33, v61
	v_cmp_gt_u64_e32 vcc, s[56:57], v[32:33]
	s_and_saveexec_b64 s[66:67], vcc
	s_cbranch_execz .LBB2_3852
; %bb.3845:                             ;   in Loop: Header=BB2_3231 Depth=3
	v_cmp_ne_u32_e32 vcc, 0, v8
	v_mov_b32_e32 v31, 0
	s_and_saveexec_b64 s[68:69], vcc
	s_cbranch_execz .LBB2_3851
; %bb.3846:                             ;   in Loop: Header=BB2_3231 Depth=3
	v_bfe_u32 v8, v8, 23, 8
	v_sub_u32_e32 v12, 0x79, v8
	v_cmp_gt_u32_e32 vcc, s93, v8
	v_add_u32_e32 v9, 0xffffff81, v8
	v_cndmask_b32_e32 v12, 0, v12, vcc
	v_cmp_eq_u32_e32 vcc, 0, v8
	v_mov_b32_e32 v8, 0xffffff82
	v_cndmask_b32_e32 v54, v9, v8, vcc
	v_mov_b32_e32 v8, 0x78
	v_or_b32_e32 v31, 0x800000, v60
	v_cndmask_b32_e32 v12, v12, v8, vcc
	v_cndmask_b32_e32 v60, v31, v60, vcc
	v_add_u32_e32 v8, 20, v12
	v_lshlrev_b64 v[8:9], v8, -1
	v_add_u32_e32 v31, 19, v12
	v_lshrrev_b64 v[34:35], v12, v[60:61]
	v_not_b32_e32 v9, v9
	v_not_b32_e32 v8, v8
	v_lshlrev_b64 v[32:33], v31, 1
	v_lshrrev_b32_e32 v31, 23, v34
	v_and_b32_e32 v9, 0, v9
	v_and_b32_e32 v8, v60, v8
	v_add3_u32 v54, v12, v54, v31
	v_bfe_u32 v12, v34, 20, 1
	v_add_u32_e32 v12, -1, v12
	v_cmp_eq_u64_e32 vcc, v[8:9], v[32:33]
	v_cndmask_b32_e32 v8, 0, v12, vcc
	v_add_u32_e32 v8, v8, v34
	v_and_b32_e32 v8, 0xfffff, v8
	v_add_co_u32_e32 v8, vcc, v8, v34
	v_add_u32_e32 v31, 6, v54
	v_addc_co_u32_e32 v9, vcc, 0, v35, vcc
	v_cmp_ne_u32_e32 vcc, 0, v31
                                        ; implicit-def: $vgpr12
	s_and_saveexec_b64 s[28:29], vcc
	s_xor_b64 s[28:29], exec, s[28:29]
; %bb.3847:                             ;   in Loop: Header=BB2_3231 Depth=3
	v_add_u32_e32 v12, 7, v54
	v_cmp_lt_u64_e32 vcc, s[58:59], v[8:9]
	v_cndmask_b32_e32 v12, v31, v12, vcc
	v_cndmask_b32_e64 v31, 0, 1, vcc
	v_lshrrev_b64 v[8:9], v31, v[8:9]
; %bb.3848:                             ;   in Loop: Header=BB2_3231 Depth=3
	s_andn2_saveexec_b64 s[28:29], s[28:29]
; %bb.3849:                             ;   in Loop: Header=BB2_3231 Depth=3
	v_bfe_u32 v12, v8, 23, 1
; %bb.3850:                             ;   in Loop: Header=BB2_3231 Depth=3
	s_or_b64 exec, exec, s[28:29]
	v_lshrrev_b64 v[8:9], 20, v[8:9]
	v_cmp_gt_i32_e32 vcc, 16, v12
	v_cndmask_b32_e32 v9, 0, v9, vcc
	v_cndmask_b32_e32 v8, 7, v8, vcc
	v_cmp_eq_u64_e64 s[28:29], 0, v[8:9]
	v_min_i32_e32 v9, 15, v12
	v_cmp_eq_u32_e32 vcc, 0, v12
	v_lshlrev_b32_e32 v9, 3, v9
	v_and_or_b32 v8, v8, 7, v9
	s_and_b64 s[28:29], vcc, s[28:29]
	v_cndmask_b32_e64 v8, v8, 0, s[28:29]
	v_or_b32_e32 v31, v8, v1
.LBB2_3851:                             ;   in Loop: Header=BB2_3231 Depth=3
	s_or_b64 exec, exec, s[68:69]
.LBB2_3852:                             ;   in Loop: Header=BB2_3231 Depth=3
	s_or_b64 exec, exec, s[66:67]
                                        ; implicit-def: $vgpr8
.LBB2_3853:                             ;   in Loop: Header=BB2_3231 Depth=3
	s_andn2_saveexec_b64 s[28:29], s[36:37]
; %bb.3854:                             ;   in Loop: Header=BB2_3231 Depth=3
	v_or_b32_sdwa v1, v8, s92 dst_sel:DWORD dst_unused:UNUSED_PAD src0_sel:BYTE_3 src1_sel:DWORD
	v_cmp_eq_u64_e32 vcc, 0, v[60:61]
	v_cndmask_b32_e32 v31, v1, v31, vcc
; %bb.3855:                             ;   in Loop: Header=BB2_3231 Depth=3
	s_or_b64 exec, exec, s[28:29]
	v_lshrrev_b32_e32 v8, 16, v14
	v_cmp_ne_u16_sdwa vcc, v8, v61 src0_sel:BYTE_0 src1_sel:DWORD
	v_mov_b32_e32 v1, 0
	v_mov_b32_e32 v9, 0
	s_and_saveexec_b64 s[28:29], vcc
	s_cbranch_execz .LBB2_3861
; %bb.3856:                             ;   in Loop: Header=BB2_3231 Depth=3
	v_cmp_ne_u16_sdwa vcc, v8, s91 src0_sel:BYTE_0 src1_sel:DWORD
	v_bfrev_b32_e32 v9, 1
	s_and_saveexec_b64 s[36:37], vcc
	s_cbranch_execz .LBB2_3860
; %bb.3857:                             ;   in Loop: Header=BB2_3231 Depth=3
	v_bfe_u32 v12, v14, 16, 7
	v_cmp_ne_u32_e32 vcc, s92, v12
	v_mov_b32_e32 v9, 0x7f800001
	s_and_saveexec_b64 s[66:67], vcc
	s_cbranch_execz .LBB2_3859
; %bb.3858:                             ;   in Loop: Header=BB2_3231 Depth=3
	v_and_b32_e32 v9, 7, v8
	v_ffbh_u32_e32 v32, v9
	v_min_u32_e32 v35, 32, v32
	v_subrev_u32_e32 v32, 28, v35
	v_lshlrev_b64 v[32:33], v32, v[8:9]
	v_lshrrev_b32_e32 v34, 3, v12
	v_sub_u32_e32 v33, 29, v35
	v_and_b32_e32 v32, 7, v32
	v_cmp_gt_u32_e32 vcc, 8, v12
	v_cndmask_b32_e32 v12, v34, v33, vcc
	v_cndmask_b32_e32 v9, v9, v32, vcc
	v_lshlrev_b32_e32 v8, 24, v8
	v_lshlrev_b32_e32 v9, 20, v9
	v_and_b32_e32 v8, 0x80000000, v8
	v_lshl_add_u32 v12, v12, 23, v0
	v_or3_b32 v9, v8, v12, v9
.LBB2_3859:                             ;   in Loop: Header=BB2_3231 Depth=3
	s_or_b64 exec, exec, s[66:67]
.LBB2_3860:                             ;   in Loop: Header=BB2_3231 Depth=3
	s_or_b64 exec, exec, s[36:37]
.LBB2_3861:                             ;   in Loop: Header=BB2_3231 Depth=3
	s_or_b64 exec, exec, s[28:29]
	v_lshrrev_b32_e32 v8, 16, v10
	v_cmp_ne_u16_sdwa vcc, v8, v61 src0_sel:BYTE_0 src1_sel:DWORD
	s_and_saveexec_b64 s[28:29], vcc
	s_cbranch_execz .LBB2_3867
; %bb.3862:                             ;   in Loop: Header=BB2_3231 Depth=3
	v_cmp_ne_u16_sdwa vcc, v8, s91 src0_sel:BYTE_0 src1_sel:DWORD
	v_bfrev_b32_e32 v1, 1
	s_and_saveexec_b64 s[36:37], vcc
	s_cbranch_execz .LBB2_3866
; %bb.3863:                             ;   in Loop: Header=BB2_3231 Depth=3
	v_bfe_u32 v12, v10, 16, 7
	v_cmp_ne_u32_e32 vcc, s92, v12
	v_mov_b32_e32 v1, 0x7f800001
	s_and_saveexec_b64 s[66:67], vcc
	s_cbranch_execz .LBB2_3865
; %bb.3864:                             ;   in Loop: Header=BB2_3231 Depth=3
	v_and_b32_e32 v1, 7, v8
	v_ffbh_u32_e32 v32, v1
	v_min_u32_e32 v35, 32, v32
	v_subrev_u32_e32 v32, 28, v35
	v_lshlrev_b64 v[32:33], v32, v[8:9]
	v_lshrrev_b32_e32 v34, 3, v12
	v_sub_u32_e32 v8, 29, v35
	v_and_b32_e32 v32, 7, v32
	v_cmp_gt_u32_e32 vcc, 8, v12
	v_cndmask_b32_e32 v8, v34, v8, vcc
	v_cndmask_b32_e32 v1, v1, v32, vcc
	v_lshlrev_b32_e32 v12, 8, v10
	v_lshlrev_b32_e32 v1, 20, v1
	v_and_b32_e32 v12, 0x80000000, v12
	v_lshl_add_u32 v8, v8, 23, v0
	v_or3_b32 v1, v12, v8, v1
.LBB2_3865:                             ;   in Loop: Header=BB2_3231 Depth=3
	s_or_b64 exec, exec, s[66:67]
.LBB2_3866:                             ;   in Loop: Header=BB2_3231 Depth=3
	s_or_b64 exec, exec, s[36:37]
.LBB2_3867:                             ;   in Loop: Header=BB2_3231 Depth=3
	s_or_b64 exec, exec, s[28:29]
	v_add_f32_e32 v8, v9, v1
	v_and_b32_sdwa v12, v8, s91 dst_sel:DWORD dst_unused:UNUSED_PAD src0_sel:BYTE_3 src1_sel:DWORD
	v_and_b32_e32 v32, 0x7f800000, v8
	v_mov_b32_e32 v33, v61
	v_and_b32_e32 v60, 0x7fffff, v8
	v_or_b32_e32 v1, 0x7e, v12
	v_cmp_ne_u64_e32 vcc, s[54:55], v[32:33]
	s_and_saveexec_b64 s[28:29], vcc
	s_xor_b64 s[36:37], exec, s[28:29]
	s_cbranch_execz .LBB2_3877
; %bb.3868:                             ;   in Loop: Header=BB2_3231 Depth=3
	v_and_b32_e32 v32, 0x7fffffff, v8
	v_mov_b32_e32 v33, v61
	v_cmp_gt_u64_e32 vcc, s[56:57], v[32:33]
	s_and_saveexec_b64 s[66:67], vcc
	s_cbranch_execz .LBB2_3876
; %bb.3869:                             ;   in Loop: Header=BB2_3231 Depth=3
	v_cmp_ne_u32_e32 vcc, 0, v8
	v_mov_b32_e32 v1, 0
	s_and_saveexec_b64 s[68:69], vcc
	s_cbranch_execz .LBB2_3875
; %bb.3870:                             ;   in Loop: Header=BB2_3231 Depth=3
	v_bfe_u32 v1, v8, 23, 8
	v_sub_u32_e32 v9, 0x79, v1
	v_cmp_gt_u32_e32 vcc, s93, v1
	v_add_u32_e32 v8, 0xffffff81, v1
	v_cndmask_b32_e32 v9, 0, v9, vcc
	v_cmp_eq_u32_e32 vcc, 0, v1
	v_mov_b32_e32 v1, 0xffffff82
	v_cndmask_b32_e32 v1, v8, v1, vcc
	v_mov_b32_e32 v8, 0x78
	v_or_b32_e32 v32, 0x800000, v60
	v_cndmask_b32_e32 v54, v9, v8, vcc
	v_cndmask_b32_e32 v60, v32, v60, vcc
	v_add_u32_e32 v8, 20, v54
	v_lshlrev_b64 v[8:9], v8, -1
	v_lshrrev_b64 v[34:35], v54, v[60:61]
	v_not_b32_e32 v9, v9
	v_not_b32_e32 v8, v8
	v_add_u32_e32 v32, 19, v54
	v_lshrrev_b32_e32 v40, 23, v34
	v_and_b32_e32 v9, 0, v9
	v_and_b32_e32 v8, v60, v8
	v_lshlrev_b64 v[32:33], v32, 1
	v_add3_u32 v40, v54, v1, v40
	v_bfe_u32 v1, v34, 20, 1
	v_add_u32_e32 v1, -1, v1
	v_cmp_eq_u64_e32 vcc, v[8:9], v[32:33]
	v_cndmask_b32_e32 v1, 0, v1, vcc
	v_add_u32_e32 v1, v1, v34
	v_and_b32_e32 v1, 0xfffff, v1
	v_add_co_u32_e32 v8, vcc, v1, v34
	v_add_u32_e32 v54, 6, v40
	v_addc_co_u32_e32 v9, vcc, 0, v35, vcc
	v_cmp_ne_u32_e32 vcc, 0, v54
                                        ; implicit-def: $vgpr1
	s_and_saveexec_b64 s[28:29], vcc
	s_xor_b64 s[28:29], exec, s[28:29]
; %bb.3871:                             ;   in Loop: Header=BB2_3231 Depth=3
	v_cmp_lt_u64_e32 vcc, s[58:59], v[8:9]
	v_add_u32_e32 v1, 7, v40
	v_cndmask_b32_e64 v32, 0, 1, vcc
	v_cndmask_b32_e32 v1, v54, v1, vcc
	v_lshrrev_b64 v[8:9], v32, v[8:9]
; %bb.3872:                             ;   in Loop: Header=BB2_3231 Depth=3
	s_andn2_saveexec_b64 s[28:29], s[28:29]
; %bb.3873:                             ;   in Loop: Header=BB2_3231 Depth=3
	v_bfe_u32 v1, v8, 23, 1
; %bb.3874:                             ;   in Loop: Header=BB2_3231 Depth=3
	s_or_b64 exec, exec, s[28:29]
	v_lshrrev_b64 v[8:9], 20, v[8:9]
	v_cmp_gt_i32_e32 vcc, 16, v1
	v_cndmask_b32_e32 v9, 0, v9, vcc
	v_cndmask_b32_e32 v8, 7, v8, vcc
	v_cmp_eq_u32_e32 vcc, 0, v1
	v_min_i32_e32 v1, 15, v1
	v_cmp_eq_u64_e64 s[28:29], 0, v[8:9]
	v_lshlrev_b32_e32 v1, 3, v1
	v_and_or_b32 v1, v8, 7, v1
	s_and_b64 s[28:29], vcc, s[28:29]
	v_cndmask_b32_e64 v1, v1, 0, s[28:29]
	v_or_b32_e32 v1, v1, v12
.LBB2_3875:                             ;   in Loop: Header=BB2_3231 Depth=3
	s_or_b64 exec, exec, s[68:69]
.LBB2_3876:                             ;   in Loop: Header=BB2_3231 Depth=3
	s_or_b64 exec, exec, s[66:67]
                                        ; implicit-def: $vgpr8
.LBB2_3877:                             ;   in Loop: Header=BB2_3231 Depth=3
	s_andn2_saveexec_b64 s[28:29], s[36:37]
; %bb.3878:                             ;   in Loop: Header=BB2_3231 Depth=3
	v_or_b32_sdwa v8, v8, s92 dst_sel:DWORD dst_unused:UNUSED_PAD src0_sel:BYTE_3 src1_sel:DWORD
	v_cmp_eq_u64_e32 vcc, 0, v[60:61]
	v_cndmask_b32_e32 v1, v8, v1, vcc
; %bb.3879:                             ;   in Loop: Header=BB2_3231 Depth=3
	s_or_b64 exec, exec, s[28:29]
	v_cmp_lt_u32_e32 vcc, s45, v14
	v_mov_b32_e32 v9, 0
	v_mov_b32_e32 v12, 0
	s_and_saveexec_b64 s[28:29], vcc
	s_cbranch_execz .LBB2_3885
; %bb.3880:                             ;   in Loop: Header=BB2_3231 Depth=3
	v_lshrrev_b32_e32 v8, 24, v14
	v_cmp_ne_u32_e32 vcc, s91, v8
	v_bfrev_b32_e32 v12, 1
	s_and_saveexec_b64 s[36:37], vcc
	s_cbranch_execz .LBB2_3884
; %bb.3881:                             ;   in Loop: Header=BB2_3231 Depth=3
	v_bfe_u32 v54, v14, 24, 7
	v_cmp_ne_u32_e32 vcc, s92, v54
	v_mov_b32_e32 v12, 0x7f800001
	s_and_saveexec_b64 s[66:67], vcc
	s_cbranch_execz .LBB2_3883
; %bb.3882:                             ;   in Loop: Header=BB2_3231 Depth=3
	v_and_b32_e32 v12, 7, v8
	v_ffbh_u32_e32 v32, v12
	v_min_u32_e32 v35, 32, v32
	v_subrev_u32_e32 v32, 28, v35
	v_lshlrev_b64 v[32:33], v32, v[8:9]
	v_lshrrev_b32_e32 v34, 3, v54
	v_sub_u32_e32 v33, 29, v35
	v_and_b32_e32 v32, 7, v32
	v_cmp_gt_u32_e32 vcc, 8, v54
	v_cndmask_b32_e32 v33, v34, v33, vcc
	v_cndmask_b32_e32 v12, v12, v32, vcc
	v_lshlrev_b32_e32 v8, 24, v8
	v_lshlrev_b32_e32 v12, 20, v12
	v_and_b32_e32 v8, 0x80000000, v8
	v_lshl_add_u32 v32, v33, 23, v0
	v_or3_b32 v12, v8, v32, v12
.LBB2_3883:                             ;   in Loop: Header=BB2_3231 Depth=3
	s_or_b64 exec, exec, s[66:67]
.LBB2_3884:                             ;   in Loop: Header=BB2_3231 Depth=3
	s_or_b64 exec, exec, s[36:37]
.LBB2_3885:                             ;   in Loop: Header=BB2_3231 Depth=3
	s_or_b64 exec, exec, s[28:29]
	v_cmp_lt_u32_e32 vcc, s45, v10
	s_and_saveexec_b64 s[28:29], vcc
	s_cbranch_execz .LBB2_3891
; %bb.3886:                             ;   in Loop: Header=BB2_3231 Depth=3
	v_lshrrev_b32_e32 v8, 24, v10
	v_cmp_ne_u32_e32 vcc, s91, v8
	v_bfrev_b32_e32 v9, 1
	s_and_saveexec_b64 s[36:37], vcc
	s_cbranch_execz .LBB2_3890
; %bb.3887:                             ;   in Loop: Header=BB2_3231 Depth=3
	v_bfe_u32 v54, v10, 24, 7
	v_cmp_ne_u32_e32 vcc, s92, v54
	v_mov_b32_e32 v9, 0x7f800001
	s_and_saveexec_b64 s[66:67], vcc
	s_cbranch_execz .LBB2_3889
; %bb.3888:                             ;   in Loop: Header=BB2_3231 Depth=3
	v_and_b32_e32 v9, 7, v8
	v_ffbh_u32_e32 v32, v9
	v_min_u32_e32 v35, 32, v32
	v_subrev_u32_e32 v32, 28, v35
	v_lshlrev_b64 v[32:33], v32, v[8:9]
	v_lshrrev_b32_e32 v34, 3, v54
	v_sub_u32_e32 v33, 29, v35
	v_and_b32_e32 v32, 7, v32
	v_cmp_gt_u32_e32 vcc, 8, v54
	v_cndmask_b32_e32 v33, v34, v33, vcc
	v_cndmask_b32_e32 v9, v9, v32, vcc
	v_lshlrev_b32_e32 v8, 24, v8
	v_lshlrev_b32_e32 v9, 20, v9
	v_and_b32_e32 v8, 0x80000000, v8
	v_lshl_add_u32 v32, v33, 23, v0
	v_or3_b32 v9, v8, v32, v9
.LBB2_3889:                             ;   in Loop: Header=BB2_3231 Depth=3
	s_or_b64 exec, exec, s[66:67]
.LBB2_3890:                             ;   in Loop: Header=BB2_3231 Depth=3
	s_or_b64 exec, exec, s[36:37]
.LBB2_3891:                             ;   in Loop: Header=BB2_3231 Depth=3
	s_or_b64 exec, exec, s[28:29]
	v_add_f32_e32 v8, v12, v9
	v_and_b32_sdwa v12, v8, s91 dst_sel:DWORD dst_unused:UNUSED_PAD src0_sel:BYTE_3 src1_sel:DWORD
	v_and_b32_e32 v32, 0x7f800000, v8
	v_mov_b32_e32 v33, v61
	v_and_b32_e32 v60, 0x7fffff, v8
	v_or_b32_e32 v56, 0x7e, v12
	v_cmp_ne_u64_e32 vcc, s[54:55], v[32:33]
	s_and_saveexec_b64 s[28:29], vcc
	s_xor_b64 s[36:37], exec, s[28:29]
	s_cbranch_execz .LBB2_3901
; %bb.3892:                             ;   in Loop: Header=BB2_3231 Depth=3
	v_and_b32_e32 v32, 0x7fffffff, v8
	v_mov_b32_e32 v33, v61
	v_cmp_gt_u64_e32 vcc, s[56:57], v[32:33]
	s_and_saveexec_b64 s[66:67], vcc
	s_cbranch_execz .LBB2_3900
; %bb.3893:                             ;   in Loop: Header=BB2_3231 Depth=3
	v_cmp_ne_u32_e32 vcc, 0, v8
	v_mov_b32_e32 v56, 0
	s_and_saveexec_b64 s[68:69], vcc
	s_cbranch_execz .LBB2_3899
; %bb.3894:                             ;   in Loop: Header=BB2_3231 Depth=3
	v_bfe_u32 v8, v8, 23, 8
	v_sub_u32_e32 v32, 0x79, v8
	v_cmp_gt_u32_e32 vcc, s93, v8
	v_add_u32_e32 v9, 0xffffff81, v8
	v_cndmask_b32_e32 v32, 0, v32, vcc
	v_cmp_eq_u32_e32 vcc, 0, v8
	v_mov_b32_e32 v8, 0xffffff82
	v_cndmask_b32_e32 v54, v9, v8, vcc
	v_mov_b32_e32 v8, 0x78
	v_or_b32_e32 v33, 0x800000, v60
	v_cndmask_b32_e32 v40, v32, v8, vcc
	v_cndmask_b32_e32 v60, v33, v60, vcc
	v_add_u32_e32 v8, 20, v40
	v_lshlrev_b64 v[8:9], v8, -1
	v_lshrrev_b64 v[34:35], v40, v[60:61]
	v_not_b32_e32 v9, v9
	v_not_b32_e32 v8, v8
	v_add_u32_e32 v32, 19, v40
	v_lshrrev_b32_e32 v41, 23, v34
	v_and_b32_e32 v9, 0, v9
	v_and_b32_e32 v8, v60, v8
	v_lshlrev_b64 v[32:33], v32, 1
	v_add3_u32 v56, v40, v54, v41
	v_bfe_u32 v54, v34, 20, 1
	v_add_u32_e32 v54, -1, v54
	v_cmp_eq_u64_e32 vcc, v[8:9], v[32:33]
	v_cndmask_b32_e32 v8, 0, v54, vcc
	v_add_u32_e32 v8, v8, v34
	v_and_b32_e32 v8, 0xfffff, v8
	v_add_co_u32_e32 v8, vcc, v8, v34
	v_add_u32_e32 v40, 6, v56
	v_addc_co_u32_e32 v9, vcc, 0, v35, vcc
	v_cmp_ne_u32_e32 vcc, 0, v40
                                        ; implicit-def: $vgpr54
	s_and_saveexec_b64 s[28:29], vcc
	s_xor_b64 s[28:29], exec, s[28:29]
; %bb.3895:                             ;   in Loop: Header=BB2_3231 Depth=3
	v_add_u32_e32 v32, 7, v56
	v_cmp_lt_u64_e32 vcc, s[58:59], v[8:9]
	v_cndmask_b32_e32 v54, v40, v32, vcc
	v_cndmask_b32_e64 v32, 0, 1, vcc
	v_lshrrev_b64 v[8:9], v32, v[8:9]
; %bb.3896:                             ;   in Loop: Header=BB2_3231 Depth=3
	s_andn2_saveexec_b64 s[28:29], s[28:29]
; %bb.3897:                             ;   in Loop: Header=BB2_3231 Depth=3
	v_bfe_u32 v54, v8, 23, 1
; %bb.3898:                             ;   in Loop: Header=BB2_3231 Depth=3
	s_or_b64 exec, exec, s[28:29]
	v_lshrrev_b64 v[8:9], 20, v[8:9]
	v_cmp_gt_i32_e32 vcc, 16, v54
	v_cndmask_b32_e32 v9, 0, v9, vcc
	v_cndmask_b32_e32 v8, 7, v8, vcc
	v_cmp_eq_u64_e64 s[28:29], 0, v[8:9]
	v_min_i32_e32 v9, 15, v54
	v_cmp_eq_u32_e32 vcc, 0, v54
	v_lshlrev_b32_e32 v9, 3, v9
	v_and_or_b32 v8, v8, 7, v9
	s_and_b64 s[28:29], vcc, s[28:29]
	v_cndmask_b32_e64 v8, v8, 0, s[28:29]
	v_or_b32_e32 v56, v8, v12
.LBB2_3899:                             ;   in Loop: Header=BB2_3231 Depth=3
	s_or_b64 exec, exec, s[68:69]
.LBB2_3900:                             ;   in Loop: Header=BB2_3231 Depth=3
	s_or_b64 exec, exec, s[66:67]
                                        ; implicit-def: $vgpr8
.LBB2_3901:                             ;   in Loop: Header=BB2_3231 Depth=3
	s_andn2_saveexec_b64 s[28:29], s[36:37]
; %bb.3902:                             ;   in Loop: Header=BB2_3231 Depth=3
	v_or_b32_sdwa v8, v8, s92 dst_sel:DWORD dst_unused:UNUSED_PAD src0_sel:BYTE_3 src1_sel:DWORD
	v_cmp_eq_u64_e32 vcc, 0, v[60:61]
	v_cndmask_b32_e32 v56, v8, v56, vcc
; %bb.3903:                             ;   in Loop: Header=BB2_3231 Depth=3
	s_or_b64 exec, exec, s[28:29]
	v_mov_b32_e32 v60, v15
	v_cmp_ne_u16_sdwa vcc, v15, v61 src0_sel:BYTE_0 src1_sel:DWORD
	v_mov_b32_e32 v9, 0
	v_mov_b32_e32 v8, 0
	s_and_saveexec_b64 s[28:29], vcc
	s_cbranch_execz .LBB2_3909
; %bb.3904:                             ;   in Loop: Header=BB2_3231 Depth=3
	v_cmp_ne_u16_sdwa vcc, v15, s91 src0_sel:BYTE_0 src1_sel:DWORD
	v_bfrev_b32_e32 v8, 1
	s_and_saveexec_b64 s[36:37], vcc
	s_cbranch_execz .LBB2_3908
; %bb.3905:                             ;   in Loop: Header=BB2_3231 Depth=3
	v_and_b32_e32 v12, 0x7f, v15
	v_cmp_ne_u32_e32 vcc, s92, v12
	v_mov_b32_e32 v8, 0x7f800001
	s_and_saveexec_b64 s[66:67], vcc
	s_cbranch_execz .LBB2_3907
; %bb.3906:                             ;   in Loop: Header=BB2_3231 Depth=3
	v_and_b32_e32 v8, 7, v15
	v_ffbh_u32_e32 v8, v8
	v_min_u32_e32 v8, 32, v8
	v_subrev_u32_e32 v33, 28, v8
	v_cmp_gt_u32_e32 vcc, 8, v12
	v_lshrrev_b32_e32 v32, 3, v12
	v_sub_u32_e32 v8, 29, v8
	v_cndmask_b32_e32 v12, 0, v33, vcc
	v_cndmask_b32_e32 v8, v32, v8, vcc
	v_lshlrev_b64 v[32:33], v12, v[60:61]
	v_lshlrev_b32_e32 v12, 20, v32
	v_lshlrev_b32_e32 v32, 24, v60
	v_and_b32_e32 v12, 0x700000, v12
	v_and_b32_e32 v32, 0x80000000, v32
	v_lshl_add_u32 v8, v8, 23, v0
	v_or3_b32 v8, v32, v8, v12
.LBB2_3907:                             ;   in Loop: Header=BB2_3231 Depth=3
	s_or_b64 exec, exec, s[66:67]
.LBB2_3908:                             ;   in Loop: Header=BB2_3231 Depth=3
	s_or_b64 exec, exec, s[36:37]
.LBB2_3909:                             ;   in Loop: Header=BB2_3231 Depth=3
	s_or_b64 exec, exec, s[28:29]
	v_cmp_ne_u16_sdwa vcc, v11, v61 src0_sel:BYTE_0 src1_sel:DWORD
	s_and_saveexec_b64 s[28:29], vcc
	s_cbranch_execz .LBB2_3915
; %bb.3910:                             ;   in Loop: Header=BB2_3231 Depth=3
	v_cmp_ne_u16_sdwa vcc, v11, s91 src0_sel:BYTE_0 src1_sel:DWORD
	v_bfrev_b32_e32 v9, 1
	s_and_saveexec_b64 s[36:37], vcc
	s_cbranch_execz .LBB2_3914
; %bb.3911:                             ;   in Loop: Header=BB2_3231 Depth=3
	v_and_b32_e32 v12, 0x7f, v11
	v_cmp_ne_u32_e32 vcc, s92, v12
	v_mov_b32_e32 v9, 0x7f800001
	s_and_saveexec_b64 s[66:67], vcc
	s_cbranch_execz .LBB2_3913
; %bb.3912:                             ;   in Loop: Header=BB2_3231 Depth=3
	v_and_b32_e32 v9, 7, v11
	v_ffbh_u32_e32 v9, v9
	v_min_u32_e32 v9, 32, v9
	v_subrev_u32_e32 v35, 28, v9
	v_cmp_gt_u32_e32 vcc, 8, v12
	v_mov_b32_e32 v32, v11
	v_mov_b32_e32 v33, v61
	v_lshrrev_b32_e32 v34, 3, v12
	v_sub_u32_e32 v9, 29, v9
	v_cndmask_b32_e32 v12, 0, v35, vcc
	v_cndmask_b32_e32 v9, v34, v9, vcc
	v_lshlrev_b64 v[34:35], v12, v[32:33]
	v_lshlrev_b32_e32 v12, 20, v34
	v_lshlrev_b32_e32 v32, 24, v32
	v_and_b32_e32 v12, 0x700000, v12
	v_and_b32_e32 v32, 0x80000000, v32
	v_lshl_add_u32 v9, v9, 23, v0
	v_or3_b32 v9, v32, v9, v12
.LBB2_3913:                             ;   in Loop: Header=BB2_3231 Depth=3
	s_or_b64 exec, exec, s[66:67]
.LBB2_3914:                             ;   in Loop: Header=BB2_3231 Depth=3
	s_or_b64 exec, exec, s[36:37]
.LBB2_3915:                             ;   in Loop: Header=BB2_3231 Depth=3
	s_or_b64 exec, exec, s[28:29]
	v_add_f32_e32 v54, v8, v9
	v_and_b32_sdwa v12, v54, s91 dst_sel:DWORD dst_unused:UNUSED_PAD src0_sel:BYTE_3 src1_sel:DWORD
	v_and_b32_e32 v32, 0x7f800000, v54
	v_mov_b32_e32 v33, v61
	v_and_b32_e32 v8, 0x7fffff, v54
	v_mov_b32_e32 v9, v61
	v_or_b32_e32 v58, 0x7e, v12
	v_cmp_ne_u64_e32 vcc, s[54:55], v[32:33]
	s_and_saveexec_b64 s[28:29], vcc
	s_xor_b64 s[36:37], exec, s[28:29]
	s_cbranch_execz .LBB2_3925
; %bb.3916:                             ;   in Loop: Header=BB2_3231 Depth=3
	v_and_b32_e32 v32, 0x7fffffff, v54
	v_mov_b32_e32 v33, v61
	v_cmp_gt_u64_e32 vcc, s[56:57], v[32:33]
	s_and_saveexec_b64 s[66:67], vcc
	s_cbranch_execz .LBB2_3924
; %bb.3917:                             ;   in Loop: Header=BB2_3231 Depth=3
	v_cmp_ne_u32_e32 vcc, 0, v54
	v_mov_b32_e32 v58, 0
	s_and_saveexec_b64 s[68:69], vcc
	s_cbranch_execz .LBB2_3923
; %bb.3918:                             ;   in Loop: Header=BB2_3231 Depth=3
	v_bfe_u32 v32, v54, 23, 8
	v_sub_u32_e32 v34, 0x79, v32
	v_cmp_gt_u32_e32 vcc, s93, v32
	v_add_u32_e32 v33, 0xffffff81, v32
	v_cndmask_b32_e32 v34, 0, v34, vcc
	v_cmp_eq_u32_e32 vcc, 0, v32
	v_mov_b32_e32 v32, 0xffffff82
	v_cndmask_b32_e32 v54, v33, v32, vcc
	v_mov_b32_e32 v32, 0x78
	v_cndmask_b32_e32 v40, v34, v32, vcc
	v_add_u32_e32 v32, 20, v40
	v_or_b32_e32 v35, 0x800000, v8
	v_lshlrev_b64 v[32:33], v32, -1
	v_cndmask_b32_e32 v8, v35, v8, vcc
	v_not_b32_e32 v32, v32
	v_and_b32_e32 v32, v8, v32
	v_lshrrev_b64 v[8:9], v40, v[8:9]
	v_not_b32_e32 v33, v33
	v_add_u32_e32 v34, 19, v40
	v_lshrrev_b32_e32 v41, 23, v8
	v_and_b32_e32 v33, 0, v33
	v_lshlrev_b64 v[34:35], v34, 1
	v_add3_u32 v58, v40, v54, v41
	v_bfe_u32 v54, v8, 20, 1
	v_add_u32_e32 v54, -1, v54
	v_cmp_eq_u64_e32 vcc, v[32:33], v[34:35]
	v_cndmask_b32_e32 v32, 0, v54, vcc
	v_add_u32_e32 v32, v32, v8
	v_and_b32_e32 v32, 0xfffff, v32
	v_add_co_u32_e32 v8, vcc, v32, v8
	v_add_u32_e32 v40, 6, v58
	v_addc_co_u32_e32 v9, vcc, 0, v9, vcc
	v_cmp_ne_u32_e32 vcc, 0, v40
                                        ; implicit-def: $vgpr54
	s_and_saveexec_b64 s[28:29], vcc
	s_xor_b64 s[28:29], exec, s[28:29]
; %bb.3919:                             ;   in Loop: Header=BB2_3231 Depth=3
	v_add_u32_e32 v32, 7, v58
	v_cmp_lt_u64_e32 vcc, s[58:59], v[8:9]
	v_cndmask_b32_e32 v54, v40, v32, vcc
	v_cndmask_b32_e64 v32, 0, 1, vcc
	v_lshrrev_b64 v[8:9], v32, v[8:9]
; %bb.3920:                             ;   in Loop: Header=BB2_3231 Depth=3
	s_andn2_saveexec_b64 s[28:29], s[28:29]
; %bb.3921:                             ;   in Loop: Header=BB2_3231 Depth=3
	v_bfe_u32 v54, v8, 23, 1
; %bb.3922:                             ;   in Loop: Header=BB2_3231 Depth=3
	s_or_b64 exec, exec, s[28:29]
	v_lshrrev_b64 v[8:9], 20, v[8:9]
	v_cmp_gt_i32_e32 vcc, 16, v54
	v_cndmask_b32_e32 v9, 0, v9, vcc
	v_cndmask_b32_e32 v8, 7, v8, vcc
	v_cmp_eq_u64_e64 s[28:29], 0, v[8:9]
	v_min_i32_e32 v9, 15, v54
	v_cmp_eq_u32_e32 vcc, 0, v54
	v_lshlrev_b32_e32 v9, 3, v9
	v_and_or_b32 v8, v8, 7, v9
	s_and_b64 s[28:29], vcc, s[28:29]
	v_cndmask_b32_e64 v8, v8, 0, s[28:29]
	v_or_b32_e32 v58, v8, v12
.LBB2_3923:                             ;   in Loop: Header=BB2_3231 Depth=3
	s_or_b64 exec, exec, s[68:69]
.LBB2_3924:                             ;   in Loop: Header=BB2_3231 Depth=3
	s_or_b64 exec, exec, s[66:67]
                                        ; implicit-def: $vgpr54
                                        ; implicit-def: $vgpr8_vgpr9
.LBB2_3925:                             ;   in Loop: Header=BB2_3231 Depth=3
	s_andn2_saveexec_b64 s[28:29], s[36:37]
; %bb.3926:                             ;   in Loop: Header=BB2_3231 Depth=3
	v_or_b32_sdwa v12, v54, s92 dst_sel:DWORD dst_unused:UNUSED_PAD src0_sel:BYTE_3 src1_sel:DWORD
	v_cmp_eq_u64_e32 vcc, 0, v[8:9]
	v_cndmask_b32_e32 v58, v12, v58, vcc
; %bb.3927:                             ;   in Loop: Header=BB2_3231 Depth=3
	s_or_b64 exec, exec, s[28:29]
	v_lshrrev_b16_e32 v8, 8, v60
	v_cmp_ne_u16_e32 vcc, 0, v8
	v_mov_b32_e32 v9, 0
	v_mov_b32_e32 v54, 0
	s_and_saveexec_b64 s[28:29], vcc
	s_cbranch_execz .LBB2_3933
; %bb.3928:                             ;   in Loop: Header=BB2_3231 Depth=3
	v_cmp_ne_u16_e32 vcc, s91, v8
	v_bfrev_b32_e32 v54, 1
	s_and_saveexec_b64 s[36:37], vcc
	s_cbranch_execz .LBB2_3932
; %bb.3929:                             ;   in Loop: Header=BB2_3231 Depth=3
	v_and_b32_e32 v12, 0x7f, v8
	v_cmp_ne_u32_e32 vcc, s92, v12
	v_mov_b32_e32 v54, 0x7f800001
	s_and_saveexec_b64 s[66:67], vcc
	s_cbranch_execz .LBB2_3931
; %bb.3930:                             ;   in Loop: Header=BB2_3231 Depth=3
	v_and_b32_e32 v34, 7, v8
	v_ffbh_u32_e32 v32, v34
	v_min_u32_e32 v54, 32, v32
	v_subrev_u32_e32 v32, 28, v54
	v_lshlrev_b64 v[32:33], v32, v[8:9]
	v_lshrrev_b32_e32 v35, 3, v12
	v_sub_u32_e32 v8, 29, v54
	v_and_b32_e32 v32, 7, v32
	v_cmp_gt_u32_e32 vcc, 8, v12
	v_cndmask_b32_e32 v8, v35, v8, vcc
	v_cndmask_b32_e32 v12, v34, v32, vcc
	v_lshlrev_b32_e32 v32, 16, v60
	v_lshlrev_b32_e32 v12, 20, v12
	v_and_b32_e32 v32, 0x80000000, v32
	v_lshl_add_u32 v8, v8, 23, v0
	v_or3_b32 v54, v32, v8, v12
.LBB2_3931:                             ;   in Loop: Header=BB2_3231 Depth=3
	s_or_b64 exec, exec, s[66:67]
.LBB2_3932:                             ;   in Loop: Header=BB2_3231 Depth=3
	s_or_b64 exec, exec, s[36:37]
.LBB2_3933:                             ;   in Loop: Header=BB2_3231 Depth=3
	s_or_b64 exec, exec, s[28:29]
	v_mov_b32_e32 v8, v11
	v_lshrrev_b16_e32 v12, 8, v8
	v_cmp_ne_u16_e32 vcc, 0, v12
	s_and_saveexec_b64 s[28:29], vcc
	s_cbranch_execz .LBB2_3939
; %bb.3934:                             ;   in Loop: Header=BB2_3231 Depth=3
	v_cmp_ne_u16_e32 vcc, s91, v12
	v_bfrev_b32_e32 v9, 1
	s_and_saveexec_b64 s[36:37], vcc
	s_cbranch_execz .LBB2_3938
; %bb.3935:                             ;   in Loop: Header=BB2_3231 Depth=3
	v_and_b32_e32 v40, 0x7f, v12
	v_cmp_ne_u32_e32 vcc, s92, v40
	v_mov_b32_e32 v9, 0x7f800001
	s_and_saveexec_b64 s[66:67], vcc
	s_cbranch_execz .LBB2_3937
; %bb.3936:                             ;   in Loop: Header=BB2_3231 Depth=3
	v_and_b32_e32 v9, 7, v12
	v_ffbh_u32_e32 v32, v9
	v_min_u32_e32 v35, 32, v32
	v_subrev_u32_e32 v32, 28, v35
	v_lshlrev_b64 v[32:33], v32, v[12:13]
	v_lshrrev_b32_e32 v34, 3, v40
	v_sub_u32_e32 v12, 29, v35
	v_and_b32_e32 v32, 7, v32
	v_cmp_gt_u32_e32 vcc, 8, v40
	v_cndmask_b32_e32 v12, v34, v12, vcc
	v_cndmask_b32_e32 v9, v9, v32, vcc
	v_lshlrev_b32_e32 v8, 16, v8
	v_lshlrev_b32_e32 v9, 20, v9
	v_and_b32_e32 v8, 0x80000000, v8
	v_lshl_add_u32 v12, v12, 23, v0
	v_or3_b32 v9, v8, v12, v9
.LBB2_3937:                             ;   in Loop: Header=BB2_3231 Depth=3
	s_or_b64 exec, exec, s[66:67]
.LBB2_3938:                             ;   in Loop: Header=BB2_3231 Depth=3
	s_or_b64 exec, exec, s[36:37]
.LBB2_3939:                             ;   in Loop: Header=BB2_3231 Depth=3
	s_or_b64 exec, exec, s[28:29]
	v_add_f32_e32 v8, v54, v9
	v_and_b32_sdwa v54, v8, s91 dst_sel:DWORD dst_unused:UNUSED_PAD src0_sel:BYTE_3 src1_sel:DWORD
	v_and_b32_e32 v32, 0x7f800000, v8
	v_mov_b32_e32 v33, v61
	v_and_b32_e32 v60, 0x7fffff, v8
	v_or_b32_e32 v12, 0x7e, v54
	v_cmp_ne_u64_e32 vcc, s[54:55], v[32:33]
	s_and_saveexec_b64 s[28:29], vcc
	s_xor_b64 s[36:37], exec, s[28:29]
	s_cbranch_execz .LBB2_3949
; %bb.3940:                             ;   in Loop: Header=BB2_3231 Depth=3
	v_and_b32_e32 v32, 0x7fffffff, v8
	v_mov_b32_e32 v33, v61
	v_cmp_gt_u64_e32 vcc, s[56:57], v[32:33]
	s_and_saveexec_b64 s[66:67], vcc
	s_cbranch_execz .LBB2_3948
; %bb.3941:                             ;   in Loop: Header=BB2_3231 Depth=3
	v_cmp_ne_u32_e32 vcc, 0, v8
	v_mov_b32_e32 v12, 0
	s_and_saveexec_b64 s[68:69], vcc
	s_cbranch_execz .LBB2_3947
; %bb.3942:                             ;   in Loop: Header=BB2_3231 Depth=3
	v_bfe_u32 v8, v8, 23, 8
	v_sub_u32_e32 v12, 0x79, v8
	v_cmp_gt_u32_e32 vcc, s93, v8
	v_add_u32_e32 v9, 0xffffff81, v8
	v_cndmask_b32_e32 v12, 0, v12, vcc
	v_cmp_eq_u32_e32 vcc, 0, v8
	v_mov_b32_e32 v8, 0xffffff82
	v_cndmask_b32_e32 v40, v9, v8, vcc
	v_mov_b32_e32 v8, 0x78
	v_or_b32_e32 v32, 0x800000, v60
	v_cndmask_b32_e32 v12, v12, v8, vcc
	v_cndmask_b32_e32 v60, v32, v60, vcc
	v_add_u32_e32 v8, 20, v12
	v_lshlrev_b64 v[8:9], v8, -1
	v_lshrrev_b64 v[34:35], v12, v[60:61]
	v_not_b32_e32 v9, v9
	v_not_b32_e32 v8, v8
	v_add_u32_e32 v32, 19, v12
	v_lshrrev_b32_e32 v41, 23, v34
	v_and_b32_e32 v9, 0, v9
	v_and_b32_e32 v8, v60, v8
	v_lshlrev_b64 v[32:33], v32, 1
	v_add3_u32 v59, v12, v40, v41
	v_bfe_u32 v12, v34, 20, 1
	v_add_u32_e32 v12, -1, v12
	v_cmp_eq_u64_e32 vcc, v[8:9], v[32:33]
	v_cndmask_b32_e32 v8, 0, v12, vcc
	v_add_u32_e32 v8, v8, v34
	v_and_b32_e32 v8, 0xfffff, v8
	v_add_co_u32_e32 v8, vcc, v8, v34
	v_add_u32_e32 v40, 6, v59
	v_addc_co_u32_e32 v9, vcc, 0, v35, vcc
	v_cmp_ne_u32_e32 vcc, 0, v40
                                        ; implicit-def: $vgpr12
	s_and_saveexec_b64 s[28:29], vcc
	s_xor_b64 s[28:29], exec, s[28:29]
; %bb.3943:                             ;   in Loop: Header=BB2_3231 Depth=3
	v_cmp_lt_u64_e32 vcc, s[58:59], v[8:9]
	v_add_u32_e32 v12, 7, v59
	v_cndmask_b32_e64 v32, 0, 1, vcc
	v_cndmask_b32_e32 v12, v40, v12, vcc
	v_lshrrev_b64 v[8:9], v32, v[8:9]
; %bb.3944:                             ;   in Loop: Header=BB2_3231 Depth=3
	s_andn2_saveexec_b64 s[28:29], s[28:29]
; %bb.3945:                             ;   in Loop: Header=BB2_3231 Depth=3
	v_bfe_u32 v12, v8, 23, 1
; %bb.3946:                             ;   in Loop: Header=BB2_3231 Depth=3
	s_or_b64 exec, exec, s[28:29]
	v_lshrrev_b64 v[8:9], 20, v[8:9]
	v_cmp_gt_i32_e32 vcc, 16, v12
	v_cndmask_b32_e32 v9, 0, v9, vcc
	v_cndmask_b32_e32 v8, 7, v8, vcc
	v_cmp_eq_u64_e64 s[28:29], 0, v[8:9]
	v_min_i32_e32 v9, 15, v12
	v_cmp_eq_u32_e32 vcc, 0, v12
	v_lshlrev_b32_e32 v9, 3, v9
	v_and_or_b32 v8, v8, 7, v9
	s_and_b64 s[28:29], vcc, s[28:29]
	v_cndmask_b32_e64 v8, v8, 0, s[28:29]
	v_or_b32_e32 v12, v8, v54
.LBB2_3947:                             ;   in Loop: Header=BB2_3231 Depth=3
	s_or_b64 exec, exec, s[68:69]
.LBB2_3948:                             ;   in Loop: Header=BB2_3231 Depth=3
	s_or_b64 exec, exec, s[66:67]
                                        ; implicit-def: $vgpr8
.LBB2_3949:                             ;   in Loop: Header=BB2_3231 Depth=3
	s_andn2_saveexec_b64 s[28:29], s[36:37]
; %bb.3950:                             ;   in Loop: Header=BB2_3231 Depth=3
	v_or_b32_sdwa v8, v8, s92 dst_sel:DWORD dst_unused:UNUSED_PAD src0_sel:BYTE_3 src1_sel:DWORD
	v_cmp_eq_u64_e32 vcc, 0, v[60:61]
	v_cndmask_b32_e32 v12, v8, v12, vcc
; %bb.3951:                             ;   in Loop: Header=BB2_3231 Depth=3
	s_or_b64 exec, exec, s[28:29]
	v_lshrrev_b32_e32 v8, 16, v15
	v_cmp_ne_u16_sdwa vcc, v8, v61 src0_sel:BYTE_0 src1_sel:DWORD
	v_mov_b32_e32 v9, 0
	v_mov_b32_e32 v54, 0
	s_and_saveexec_b64 s[28:29], vcc
	s_cbranch_execz .LBB2_3957
; %bb.3952:                             ;   in Loop: Header=BB2_3231 Depth=3
	v_cmp_ne_u16_sdwa vcc, v8, s91 src0_sel:BYTE_0 src1_sel:DWORD
	v_bfrev_b32_e32 v54, 1
	s_and_saveexec_b64 s[36:37], vcc
	s_cbranch_execz .LBB2_3956
; %bb.3953:                             ;   in Loop: Header=BB2_3231 Depth=3
	v_bfe_u32 v40, v15, 16, 7
	v_cmp_ne_u32_e32 vcc, s92, v40
	v_mov_b32_e32 v54, 0x7f800001
	s_and_saveexec_b64 s[66:67], vcc
	s_cbranch_execz .LBB2_3955
; %bb.3954:                             ;   in Loop: Header=BB2_3231 Depth=3
	v_and_b32_e32 v34, 7, v8
	v_ffbh_u32_e32 v32, v34
	v_min_u32_e32 v54, 32, v32
	v_subrev_u32_e32 v32, 28, v54
	v_lshlrev_b64 v[32:33], v32, v[8:9]
	v_lshrrev_b32_e32 v35, 3, v40
	v_sub_u32_e32 v33, 29, v54
	v_and_b32_e32 v32, 7, v32
	v_cmp_gt_u32_e32 vcc, 8, v40
	v_cndmask_b32_e32 v33, v35, v33, vcc
	v_cndmask_b32_e32 v32, v34, v32, vcc
	v_lshlrev_b32_e32 v8, 24, v8
	v_lshlrev_b32_e32 v32, 20, v32
	v_and_b32_e32 v8, 0x80000000, v8
	v_lshl_add_u32 v33, v33, 23, v0
	v_or3_b32 v54, v8, v33, v32
.LBB2_3955:                             ;   in Loop: Header=BB2_3231 Depth=3
	s_or_b64 exec, exec, s[66:67]
.LBB2_3956:                             ;   in Loop: Header=BB2_3231 Depth=3
	s_or_b64 exec, exec, s[36:37]
.LBB2_3957:                             ;   in Loop: Header=BB2_3231 Depth=3
	s_or_b64 exec, exec, s[28:29]
	v_lshrrev_b32_e32 v8, 16, v11
	v_cmp_ne_u16_sdwa vcc, v8, v61 src0_sel:BYTE_0 src1_sel:DWORD
	s_and_saveexec_b64 s[28:29], vcc
	s_cbranch_execz .LBB2_3963
; %bb.3958:                             ;   in Loop: Header=BB2_3231 Depth=3
	v_cmp_ne_u16_sdwa vcc, v8, s91 src0_sel:BYTE_0 src1_sel:DWORD
	v_bfrev_b32_e32 v9, 1
	s_and_saveexec_b64 s[36:37], vcc
	s_cbranch_execz .LBB2_3962
; %bb.3959:                             ;   in Loop: Header=BB2_3231 Depth=3
	v_bfe_u32 v40, v11, 16, 7
	v_cmp_ne_u32_e32 vcc, s92, v40
	v_mov_b32_e32 v9, 0x7f800001
	s_and_saveexec_b64 s[66:67], vcc
	s_cbranch_execz .LBB2_3961
; %bb.3960:                             ;   in Loop: Header=BB2_3231 Depth=3
	v_and_b32_e32 v32, 7, v8
	v_ffbh_u32_e32 v9, v32
	v_min_u32_e32 v34, 32, v9
	v_subrev_u32_e32 v9, 28, v34
	v_lshlrev_b64 v[8:9], v9, v[8:9]
	v_lshrrev_b32_e32 v33, 3, v40
	v_sub_u32_e32 v9, 29, v34
	v_and_b32_e32 v8, 7, v8
	v_cmp_gt_u32_e32 vcc, 8, v40
	v_cndmask_b32_e32 v9, v33, v9, vcc
	v_cndmask_b32_e32 v8, v32, v8, vcc
	v_lshlrev_b32_e32 v32, 8, v11
	v_lshlrev_b32_e32 v8, 20, v8
	v_and_b32_e32 v32, 0x80000000, v32
	v_lshl_add_u32 v9, v9, 23, v0
	v_or3_b32 v9, v32, v9, v8
.LBB2_3961:                             ;   in Loop: Header=BB2_3231 Depth=3
	s_or_b64 exec, exec, s[66:67]
.LBB2_3962:                             ;   in Loop: Header=BB2_3231 Depth=3
	s_or_b64 exec, exec, s[36:37]
.LBB2_3963:                             ;   in Loop: Header=BB2_3231 Depth=3
	s_or_b64 exec, exec, s[28:29]
	v_add_f32_e32 v8, v54, v9
	v_and_b32_sdwa v59, v8, s91 dst_sel:DWORD dst_unused:UNUSED_PAD src0_sel:BYTE_3 src1_sel:DWORD
	v_and_b32_e32 v32, 0x7f800000, v8
	v_mov_b32_e32 v33, v61
	v_and_b32_e32 v60, 0x7fffff, v8
	v_or_b32_e32 v54, 0x7e, v59
	v_cmp_ne_u64_e32 vcc, s[54:55], v[32:33]
	s_and_saveexec_b64 s[28:29], vcc
	s_xor_b64 s[36:37], exec, s[28:29]
	s_cbranch_execz .LBB2_3973
; %bb.3964:                             ;   in Loop: Header=BB2_3231 Depth=3
	v_and_b32_e32 v32, 0x7fffffff, v8
	v_mov_b32_e32 v33, v61
	v_cmp_gt_u64_e32 vcc, s[56:57], v[32:33]
	s_and_saveexec_b64 s[66:67], vcc
	s_cbranch_execz .LBB2_3972
; %bb.3965:                             ;   in Loop: Header=BB2_3231 Depth=3
	v_cmp_ne_u32_e32 vcc, 0, v8
	v_mov_b32_e32 v54, 0
	s_and_saveexec_b64 s[68:69], vcc
	s_cbranch_execz .LBB2_3971
; %bb.3966:                             ;   in Loop: Header=BB2_3231 Depth=3
	v_bfe_u32 v8, v8, 23, 8
	v_sub_u32_e32 v32, 0x79, v8
	v_cmp_gt_u32_e32 vcc, s93, v8
	v_add_u32_e32 v9, 0xffffff81, v8
	v_cndmask_b32_e32 v32, 0, v32, vcc
	v_cmp_eq_u32_e32 vcc, 0, v8
	v_mov_b32_e32 v8, 0xffffff82
	v_cndmask_b32_e32 v54, v9, v8, vcc
	v_mov_b32_e32 v8, 0x78
	v_or_b32_e32 v33, 0x800000, v60
	v_cndmask_b32_e32 v40, v32, v8, vcc
	v_cndmask_b32_e32 v60, v33, v60, vcc
	v_add_u32_e32 v8, 20, v40
	v_lshlrev_b64 v[8:9], v8, -1
	v_lshrrev_b64 v[34:35], v40, v[60:61]
	v_not_b32_e32 v9, v9
	v_not_b32_e32 v8, v8
	v_add_u32_e32 v32, 19, v40
	v_lshrrev_b32_e32 v41, 23, v34
	v_and_b32_e32 v9, 0, v9
	v_and_b32_e32 v8, v60, v8
	v_lshlrev_b64 v[32:33], v32, 1
	v_add3_u32 v60, v40, v54, v41
	v_bfe_u32 v54, v34, 20, 1
	v_add_u32_e32 v54, -1, v54
	v_cmp_eq_u64_e32 vcc, v[8:9], v[32:33]
	v_cndmask_b32_e32 v8, 0, v54, vcc
	v_add_u32_e32 v8, v8, v34
	v_and_b32_e32 v8, 0xfffff, v8
	v_add_co_u32_e32 v8, vcc, v8, v34
	v_add_u32_e32 v40, 6, v60
	v_addc_co_u32_e32 v9, vcc, 0, v35, vcc
	v_cmp_ne_u32_e32 vcc, 0, v40
                                        ; implicit-def: $vgpr54
	s_and_saveexec_b64 s[28:29], vcc
	s_xor_b64 s[28:29], exec, s[28:29]
; %bb.3967:                             ;   in Loop: Header=BB2_3231 Depth=3
	v_add_u32_e32 v32, 7, v60
	v_cmp_lt_u64_e32 vcc, s[58:59], v[8:9]
	v_cndmask_b32_e32 v54, v40, v32, vcc
	v_cndmask_b32_e64 v32, 0, 1, vcc
	v_lshrrev_b64 v[8:9], v32, v[8:9]
; %bb.3968:                             ;   in Loop: Header=BB2_3231 Depth=3
	s_andn2_saveexec_b64 s[28:29], s[28:29]
; %bb.3969:                             ;   in Loop: Header=BB2_3231 Depth=3
	v_bfe_u32 v54, v8, 23, 1
; %bb.3970:                             ;   in Loop: Header=BB2_3231 Depth=3
	s_or_b64 exec, exec, s[28:29]
	v_lshrrev_b64 v[8:9], 20, v[8:9]
	v_cmp_gt_i32_e32 vcc, 16, v54
	v_cndmask_b32_e32 v9, 0, v9, vcc
	v_cndmask_b32_e32 v8, 7, v8, vcc
	v_cmp_eq_u64_e64 s[28:29], 0, v[8:9]
	v_min_i32_e32 v9, 15, v54
	v_lshlrev_b32_e32 v9, 3, v9
	v_cmp_eq_u32_e32 vcc, 0, v54
	v_and_b32_e32 v9, 0xf8, v9
	v_and_or_b32 v8, v8, 7, v9
	s_and_b64 s[28:29], vcc, s[28:29]
	v_cndmask_b32_e64 v8, v8, 0, s[28:29]
	v_or_b32_e32 v54, v8, v59
.LBB2_3971:                             ;   in Loop: Header=BB2_3231 Depth=3
	s_or_b64 exec, exec, s[68:69]
.LBB2_3972:                             ;   in Loop: Header=BB2_3231 Depth=3
	s_or_b64 exec, exec, s[66:67]
                                        ; implicit-def: $vgpr8
.LBB2_3973:                             ;   in Loop: Header=BB2_3231 Depth=3
	s_andn2_saveexec_b64 s[28:29], s[36:37]
; %bb.3974:                             ;   in Loop: Header=BB2_3231 Depth=3
	v_or_b32_sdwa v8, v8, s92 dst_sel:DWORD dst_unused:UNUSED_PAD src0_sel:BYTE_3 src1_sel:DWORD
	v_cmp_eq_u64_e32 vcc, 0, v[60:61]
	v_cndmask_b32_e32 v54, v8, v54, vcc
; %bb.3975:                             ;   in Loop: Header=BB2_3231 Depth=3
	s_or_b64 exec, exec, s[28:29]
	v_cmp_lt_u64_e32 vcc, s[44:45], v[14:15]
	v_mov_b32_e32 v9, 0
	v_mov_b32_e32 v14, 0
	s_and_saveexec_b64 s[28:29], vcc
	s_cbranch_execz .LBB2_3981
; %bb.3976:                             ;   in Loop: Header=BB2_3231 Depth=3
	v_lshrrev_b32_e32 v8, 24, v15
	v_cmp_ne_u32_e32 vcc, s91, v8
	v_bfrev_b32_e32 v14, 1
	s_and_saveexec_b64 s[36:37], vcc
	s_cbranch_execz .LBB2_3980
; %bb.3977:                             ;   in Loop: Header=BB2_3231 Depth=3
	v_bfe_u32 v15, v15, 24, 7
	v_cmp_ne_u32_e32 vcc, s92, v15
	v_mov_b32_e32 v14, 0x7f800001
	s_and_saveexec_b64 s[66:67], vcc
	s_cbranch_execz .LBB2_3979
; %bb.3978:                             ;   in Loop: Header=BB2_3231 Depth=3
	v_and_b32_e32 v14, 7, v8
	v_ffbh_u32_e32 v32, v14
	v_min_u32_e32 v35, 32, v32
	v_subrev_u32_e32 v32, 28, v35
	v_lshlrev_b64 v[32:33], v32, v[8:9]
	v_lshrrev_b32_e32 v34, 3, v15
	v_sub_u32_e32 v33, 29, v35
	v_and_b32_e32 v32, 7, v32
	v_cmp_gt_u32_e32 vcc, 8, v15
	v_cndmask_b32_e32 v15, v34, v33, vcc
	v_cndmask_b32_e32 v14, v14, v32, vcc
	v_lshlrev_b32_e32 v8, 24, v8
	v_lshlrev_b32_e32 v14, 20, v14
	v_and_b32_e32 v8, 0x80000000, v8
	v_lshl_add_u32 v15, v15, 23, v0
	v_or3_b32 v14, v8, v15, v14
.LBB2_3979:                             ;   in Loop: Header=BB2_3231 Depth=3
	s_or_b64 exec, exec, s[66:67]
.LBB2_3980:                             ;   in Loop: Header=BB2_3231 Depth=3
	s_or_b64 exec, exec, s[36:37]
.LBB2_3981:                             ;   in Loop: Header=BB2_3231 Depth=3
	s_or_b64 exec, exec, s[28:29]
	v_cmp_lt_u64_e32 vcc, s[44:45], v[10:11]
	s_and_saveexec_b64 s[28:29], vcc
	s_cbranch_execz .LBB2_3987
; %bb.3982:                             ;   in Loop: Header=BB2_3231 Depth=3
	v_lshrrev_b32_e32 v8, 24, v11
	v_cmp_ne_u32_e32 vcc, s91, v8
	v_bfrev_b32_e32 v9, 1
	s_and_saveexec_b64 s[36:37], vcc
	s_cbranch_execz .LBB2_3986
; %bb.3983:                             ;   in Loop: Header=BB2_3231 Depth=3
	v_bfe_u32 v10, v11, 24, 7
	v_cmp_ne_u32_e32 vcc, s92, v10
	v_mov_b32_e32 v9, 0x7f800001
	s_and_saveexec_b64 s[66:67], vcc
	s_cbranch_execz .LBB2_3985
; %bb.3984:                             ;   in Loop: Header=BB2_3231 Depth=3
	v_and_b32_e32 v9, 7, v8
	v_ffbh_u32_e32 v15, v9
	v_min_u32_e32 v15, 32, v15
	v_subrev_u32_e32 v32, 28, v15
	v_lshlrev_b64 v[32:33], v32, v[8:9]
	v_lshrrev_b32_e32 v11, 3, v10
	v_sub_u32_e32 v15, 29, v15
	v_and_b32_e32 v32, 7, v32
	v_cmp_gt_u32_e32 vcc, 8, v10
	v_cndmask_b32_e32 v10, v11, v15, vcc
	v_cndmask_b32_e32 v9, v9, v32, vcc
	v_lshlrev_b32_e32 v8, 24, v8
	v_lshlrev_b32_e32 v9, 20, v9
	v_and_b32_e32 v8, 0x80000000, v8
	v_lshl_add_u32 v10, v10, 23, v0
	v_or3_b32 v9, v8, v10, v9
.LBB2_3985:                             ;   in Loop: Header=BB2_3231 Depth=3
	s_or_b64 exec, exec, s[66:67]
.LBB2_3986:                             ;   in Loop: Header=BB2_3231 Depth=3
	s_or_b64 exec, exec, s[36:37]
.LBB2_3987:                             ;   in Loop: Header=BB2_3231 Depth=3
	s_or_b64 exec, exec, s[28:29]
	v_add_f32_e32 v9, v14, v9
	v_and_b32_sdwa v10, v9, s91 dst_sel:DWORD dst_unused:UNUSED_PAD src0_sel:BYTE_3 src1_sel:DWORD
	v_and_b32_e32 v14, 0x7f800000, v9
	v_mov_b32_e32 v15, v61
	v_and_b32_e32 v60, 0x7fffff, v9
	v_or_b32_e32 v8, 0x7e, v10
	v_cmp_ne_u64_e32 vcc, s[54:55], v[14:15]
	s_and_saveexec_b64 s[28:29], vcc
	s_xor_b64 s[36:37], exec, s[28:29]
	s_cbranch_execz .LBB2_3997
; %bb.3988:                             ;   in Loop: Header=BB2_3231 Depth=3
	v_and_b32_e32 v14, 0x7fffffff, v9
	v_mov_b32_e32 v15, v61
	v_cmp_gt_u64_e32 vcc, s[56:57], v[14:15]
	s_and_saveexec_b64 s[66:67], vcc
	s_cbranch_execz .LBB2_3996
; %bb.3989:                             ;   in Loop: Header=BB2_3231 Depth=3
	v_cmp_ne_u32_e32 vcc, 0, v9
	v_mov_b32_e32 v8, 0
	s_and_saveexec_b64 s[68:69], vcc
	s_cbranch_execz .LBB2_3995
; %bb.3990:                             ;   in Loop: Header=BB2_3231 Depth=3
	v_bfe_u32 v8, v9, 23, 8
	v_sub_u32_e32 v11, 0x79, v8
	v_cmp_gt_u32_e32 vcc, s93, v8
	v_add_u32_e32 v9, 0xffffff81, v8
	v_cndmask_b32_e32 v11, 0, v11, vcc
	v_cmp_eq_u32_e32 vcc, 0, v8
	v_mov_b32_e32 v8, 0xffffff82
	v_cndmask_b32_e32 v15, v9, v8, vcc
	v_mov_b32_e32 v8, 0x78
	v_or_b32_e32 v14, 0x800000, v60
	v_cndmask_b32_e32 v11, v11, v8, vcc
	v_cndmask_b32_e32 v60, v14, v60, vcc
	v_add_u32_e32 v8, 20, v11
	v_lshlrev_b64 v[8:9], v8, -1
	v_add_u32_e32 v14, 19, v11
	v_lshrrev_b64 v[34:35], v11, v[60:61]
	v_not_b32_e32 v9, v9
	v_not_b32_e32 v8, v8
	v_lshlrev_b64 v[32:33], v14, 1
	v_lshrrev_b32_e32 v14, 23, v34
	v_and_b32_e32 v9, 0, v9
	v_and_b32_e32 v8, v60, v8
	v_add3_u32 v15, v11, v15, v14
	v_bfe_u32 v11, v34, 20, 1
	v_add_u32_e32 v11, -1, v11
	v_cmp_eq_u64_e32 vcc, v[8:9], v[32:33]
	v_cndmask_b32_e32 v8, 0, v11, vcc
	v_add_u32_e32 v8, v8, v34
	v_and_b32_e32 v8, 0xfffff, v8
	v_add_co_u32_e32 v8, vcc, v8, v34
	v_add_u32_e32 v14, 6, v15
	v_addc_co_u32_e32 v9, vcc, 0, v35, vcc
	v_cmp_ne_u32_e32 vcc, 0, v14
                                        ; implicit-def: $vgpr11
	s_and_saveexec_b64 s[28:29], vcc
	s_xor_b64 s[28:29], exec, s[28:29]
; %bb.3991:                             ;   in Loop: Header=BB2_3231 Depth=3
	v_add_u32_e32 v11, 7, v15
	v_cmp_lt_u64_e32 vcc, s[58:59], v[8:9]
	v_cndmask_b32_e32 v11, v14, v11, vcc
	v_cndmask_b32_e64 v14, 0, 1, vcc
	v_lshrrev_b64 v[8:9], v14, v[8:9]
; %bb.3992:                             ;   in Loop: Header=BB2_3231 Depth=3
	s_andn2_saveexec_b64 s[28:29], s[28:29]
; %bb.3993:                             ;   in Loop: Header=BB2_3231 Depth=3
	v_bfe_u32 v11, v8, 23, 1
; %bb.3994:                             ;   in Loop: Header=BB2_3231 Depth=3
	s_or_b64 exec, exec, s[28:29]
	v_lshrrev_b64 v[8:9], 20, v[8:9]
	v_cmp_gt_i32_e32 vcc, 16, v11
	v_cndmask_b32_e32 v9, 0, v9, vcc
	v_cndmask_b32_e32 v8, 7, v8, vcc
	v_cmp_eq_u64_e64 s[28:29], 0, v[8:9]
	v_min_i32_e32 v9, 15, v11
	v_lshlrev_b32_e32 v9, 3, v9
	v_cmp_eq_u32_e32 vcc, 0, v11
	v_and_b32_e32 v9, 0xf8, v9
	v_and_or_b32 v8, v8, 7, v9
	s_and_b64 s[28:29], vcc, s[28:29]
	v_cndmask_b32_e64 v8, v8, 0, s[28:29]
	v_or_b32_e32 v8, v8, v10
.LBB2_3995:                             ;   in Loop: Header=BB2_3231 Depth=3
	s_or_b64 exec, exec, s[68:69]
.LBB2_3996:                             ;   in Loop: Header=BB2_3231 Depth=3
	s_or_b64 exec, exec, s[66:67]
                                        ; implicit-def: $vgpr9
.LBB2_3997:                             ;   in Loop: Header=BB2_3231 Depth=3
	s_andn2_saveexec_b64 s[28:29], s[36:37]
	s_cbranch_execz .LBB2_3230
; %bb.3998:                             ;   in Loop: Header=BB2_3231 Depth=3
	v_or_b32_sdwa v9, v9, s92 dst_sel:DWORD dst_unused:UNUSED_PAD src0_sel:BYTE_3 src1_sel:DWORD
	v_cmp_eq_u64_e32 vcc, 0, v[60:61]
	v_cndmask_b32_e32 v8, v9, v8, vcc
	s_branch .LBB2_3230
.LBB2_3999:                             ;   in Loop: Header=BB2_1783 Depth=2
	s_or_b64 exec, exec, s[34:35]
.LBB2_4000:                             ;   in Loop: Header=BB2_1783 Depth=2
	s_or_b64 exec, exec, s[30:31]
	buffer_load_dword v1, off, s[0:3], s33 offset:184 ; 4-byte Folded Reload
	v_lshlrev_b32_e32 v2, 11, v7
	s_mov_b64 s[28:29], 0
                                        ; implicit-def: $vgpr14
                                        ; implicit-def: $vgpr15
                                        ; implicit-def: $vgpr4
	s_waitcnt vmcnt(0)
	v_cmp_ne_u32_e32 vcc, v1, v2
	v_mov_b32_e32 v1, 0
	s_and_saveexec_b64 s[34:35], vcc
	s_cbranch_execz .LBB2_4392
; %bb.4001:                             ;   in Loop: Header=BB2_1783 Depth=2
	buffer_load_dword v1, off, s[0:3], s33 offset:184 ; 4-byte Folded Reload
	v_accvgpr_read_b32 v3, a40
	s_waitcnt vmcnt(0)
	v_sub_u32_e32 v4, v1, v2
	v_lshlrev_b32_e32 v1, 6, v6
	v_sub_u32_e32 v1, v3, v1
	v_ashrrev_i32_e32 v3, 31, v1
	v_lshrrev_b32_e32 v3, 26, v3
	v_ashrrev_i32_e32 v6, 31, v4
	v_add_u32_e32 v3, v1, v3
	v_lshrrev_b32_e32 v6, 22, v6
	v_ashrrev_i32_e32 v5, 6, v3
	v_and_b32_e32 v3, 0xffffffc0, v3
	v_add_u32_e32 v6, v4, v6
	v_sub_u32_e32 v3, v1, v3
	v_ashrrev_i32_e32 v7, 10, v6
	v_and_b32_e32 v6, 0xfffffc00, v6
	v_lshlrev_b32_e32 v1, 4, v3
	v_sub_u32_e32 v23, v4, v6
	v_lshl_add_u32 v1, v5, 10, v1
	v_cmp_lt_i32_e32 vcc, 15, v23
	v_sub_u32_e32 v24, v4, v1
	v_addc_co_u32_e64 v4, s[28:29], 0, v7, vcc
	v_sub_u32_e32 v7, v4, v5
	v_cmp_lt_i32_e64 s[28:29], 15, v24
	s_and_saveexec_b64 s[36:37], s[28:29]
	s_cbranch_execz .LBB2_4389
; %bb.4002:                             ;   in Loop: Header=BB2_1783 Depth=2
	s_trap 2
	ds_read_b128 v[8:11], v0
	ds_read_b64 v[12:13], v0
	v_add_u32_e32 v1, v1, v2
	v_ashrrev_i32_e32 v14, 31, v1
	s_mov_b64 s[66:67], 0
	s_waitcnt lgkmcnt(0)
	v_add_co_u32_e64 v4, s[28:29], v8, v1
	v_addc_co_u32_e64 v5, s[28:29], v9, v14, s[28:29]
	v_add_co_u32_e64 v16, s[28:29], v10, v1
	v_addc_co_u32_e64 v17, s[28:29], v11, v14, s[28:29]
	v_add_co_u32_e64 v18, s[28:29], v12, v1
	v_addc_co_u32_e64 v19, s[28:29], v13, v14, s[28:29]
	s_branch .LBB2_4004
.LBB2_4003:                             ;   in Loop: Header=BB2_4004 Depth=3
	s_or_b64 exec, exec, s[30:31]
	v_lshlrev_b32_e32 v9, 8, v22
	v_perm_b32 v9, v9, v29, s94
	v_lshl_or_b32 v9, v20, 16, v9
	v_lshl_or_b32 v29, v13, 24, v9
	v_and_b32_e32 v9, 0xff, v27
	v_lshlrev_b32_e32 v11, 8, v26
	v_lshlrev_b32_e32 v10, 24, v28
	;; [unrolled: 1-line block ×3, first 2 shown]
	v_perm_b32 v11, v11, v25, s94
	v_or3_b32 v28, v10, v9, v11
	v_and_b32_e32 v9, 0xff, v30
	v_lshlrev_b32_e32 v1, 8, v1
	v_lshlrev_b32_e32 v10, 24, v31
	;; [unrolled: 1-line block ×3, first 2 shown]
	v_perm_b32 v1, v1, v21, s94
	v_or3_b32 v30, v10, v9, v1
	v_lshlrev_b32_e32 v1, 8, v12
	v_perm_b32 v1, v1, v36, s94
	v_lshl_or_b32 v1, v37, 16, v1
	v_lshl_or_b32 v31, v8, 24, v1
	v_accvgpr_read_b32 v1, a42
	v_add_co_u32_e64 v4, s[28:29], v4, v1
	v_accvgpr_read_b32 v8, a43
	v_addc_co_u32_e64 v5, s[28:29], v5, v8, s[28:29]
	v_add_co_u32_e64 v16, s[28:29], v16, v1
	v_addc_co_u32_e64 v17, s[28:29], v17, v8, s[28:29]
	global_store_dwordx4 v[18:19], v[28:31], off glc slc
	v_add_co_u32_e64 v18, s[28:29], v18, v1
	v_accvgpr_read_b32 v1, a28
	v_addc_co_u32_e64 v19, s[28:29], v19, v8, s[28:29]
	v_sub_u32_e32 v24, v24, v1
	v_cmp_gt_i32_e64 s[28:29], 16, v24
	v_accvgpr_read_b32 v8, a22
	s_or_b64 s[66:67], s[28:29], s[66:67]
	v_sub_u32_e32 v7, v7, v8
	s_andn2_b64 exec, exec, s[66:67]
	s_cbranch_execz .LBB2_4388
.LBB2_4004:                             ;   Parent Loop BB2_47 Depth=1
                                        ;     Parent Loop BB2_1783 Depth=2
                                        ; =>    This Inner Loop Header: Depth=3
	global_load_dwordx4 v[12:15], v[4:5], off glc slc
	global_load_dwordx4 v[8:11], v[16:17], off glc slc
	v_mov_b32_e32 v1, 0
	v_mov_b32_e32 v20, 0
	s_waitcnt vmcnt(1)
	v_cmp_ne_u16_sdwa s[28:29], v12, v61 src0_sel:BYTE_0 src1_sel:DWORD
	s_and_saveexec_b64 s[30:31], s[28:29]
	s_cbranch_execz .LBB2_4010
; %bb.4005:                             ;   in Loop: Header=BB2_4004 Depth=3
	v_cmp_ne_u16_sdwa s[28:29], v12, s91 src0_sel:BYTE_0 src1_sel:DWORD
	v_bfrev_b32_e32 v20, 1
	s_and_saveexec_b64 s[68:69], s[28:29]
	s_cbranch_execz .LBB2_4009
; %bb.4006:                             ;   in Loop: Header=BB2_4004 Depth=3
	v_and_b32_e32 v21, 0x7f, v12
	v_cmp_ne_u32_e64 s[28:29], s92, v21
	v_mov_b32_e32 v20, 0x7f800001
	s_and_saveexec_b64 s[70:71], s[28:29]
	s_cbranch_execz .LBB2_4008
; %bb.4007:                             ;   in Loop: Header=BB2_4004 Depth=3
	v_and_b32_e32 v20, 7, v12
	v_ffbh_u32_e32 v20, v20
	v_min_u32_e32 v20, 32, v20
	v_lshrrev_b32_e32 v22, 3, v21
	v_subrev_u32_e32 v25, 28, v20
	v_sub_u32_e32 v20, 29, v20
	v_cmp_gt_u32_e64 s[28:29], 8, v21
	v_cndmask_b32_e64 v22, v22, v20, s[28:29]
	v_cndmask_b32_e64 v20, 0, v25, s[28:29]
	v_lshlrev_b64 v[20:21], v20, v[12:13]
	v_lshlrev_b32_e32 v20, 20, v20
	v_lshlrev_b32_e32 v21, 24, v12
	v_and_b32_e32 v20, 0x700000, v20
	v_and_b32_e32 v21, 0x80000000, v21
	v_lshl_add_u32 v22, v22, 23, v0
	v_or3_b32 v20, v21, v22, v20
.LBB2_4008:                             ;   in Loop: Header=BB2_4004 Depth=3
	s_or_b64 exec, exec, s[70:71]
.LBB2_4009:                             ;   in Loop: Header=BB2_4004 Depth=3
	s_or_b64 exec, exec, s[68:69]
.LBB2_4010:                             ;   in Loop: Header=BB2_4004 Depth=3
	s_or_b64 exec, exec, s[30:31]
	s_waitcnt vmcnt(0)
	v_cmp_ne_u16_sdwa s[28:29], v8, v61 src0_sel:BYTE_0 src1_sel:DWORD
	s_and_saveexec_b64 s[30:31], s[28:29]
	s_cbranch_execz .LBB2_4016
; %bb.4011:                             ;   in Loop: Header=BB2_4004 Depth=3
	v_cmp_ne_u16_sdwa s[28:29], v8, s91 src0_sel:BYTE_0 src1_sel:DWORD
	v_bfrev_b32_e32 v1, 1
	s_and_saveexec_b64 s[68:69], s[28:29]
	s_cbranch_execz .LBB2_4015
; %bb.4012:                             ;   in Loop: Header=BB2_4004 Depth=3
	v_and_b32_e32 v21, 0x7f, v8
	v_cmp_ne_u32_e64 s[28:29], s92, v21
	v_mov_b32_e32 v1, 0x7f800001
	s_and_saveexec_b64 s[70:71], s[28:29]
	s_cbranch_execz .LBB2_4014
; %bb.4013:                             ;   in Loop: Header=BB2_4004 Depth=3
	v_and_b32_e32 v1, 7, v8
	v_ffbh_u32_e32 v1, v1
	v_min_u32_e32 v1, 32, v1
	v_subrev_u32_e32 v25, 28, v1
	v_cmp_gt_u32_e64 s[28:29], 8, v21
	v_lshrrev_b32_e32 v22, 3, v21
	v_cndmask_b32_e64 v21, 0, v25, s[28:29]
	v_sub_u32_e32 v1, 29, v1
	v_lshlrev_b64 v[26:27], v21, v[8:9]
	v_cndmask_b32_e64 v1, v22, v1, s[28:29]
	v_lshlrev_b32_e32 v21, 20, v26
	v_lshlrev_b32_e32 v22, 24, v8
	v_and_b32_e32 v21, 0x700000, v21
	v_and_b32_e32 v22, 0x80000000, v22
	v_lshl_add_u32 v1, v1, 23, v0
	v_or3_b32 v1, v22, v1, v21
.LBB2_4014:                             ;   in Loop: Header=BB2_4004 Depth=3
	s_or_b64 exec, exec, s[70:71]
.LBB2_4015:                             ;   in Loop: Header=BB2_4004 Depth=3
	s_or_b64 exec, exec, s[68:69]
.LBB2_4016:                             ;   in Loop: Header=BB2_4004 Depth=3
	s_or_b64 exec, exec, s[30:31]
	v_add_f32_e32 v20, v20, v1
	v_and_b32_sdwa v1, v20, s91 dst_sel:DWORD dst_unused:UNUSED_PAD src0_sel:BYTE_3 src1_sel:DWORD
	v_and_b32_e32 v26, 0x7f800000, v20
	v_mov_b32_e32 v27, v61
	v_and_b32_e32 v60, 0x7fffff, v20
	v_or_b32_e32 v25, 0x7e, v1
	v_cmp_ne_u64_e64 s[28:29], s[54:55], v[26:27]
	s_and_saveexec_b64 s[30:31], s[28:29]
	s_xor_b64 s[68:69], exec, s[30:31]
	s_cbranch_execz .LBB2_4026
; %bb.4017:                             ;   in Loop: Header=BB2_4004 Depth=3
	v_and_b32_e32 v26, 0x7fffffff, v20
	v_mov_b32_e32 v27, v61
	v_cmp_gt_u64_e64 s[28:29], s[56:57], v[26:27]
	s_and_saveexec_b64 s[70:71], s[28:29]
	s_cbranch_execz .LBB2_4025
; %bb.4018:                             ;   in Loop: Header=BB2_4004 Depth=3
	v_cmp_ne_u32_e64 s[28:29], 0, v20
	v_mov_b32_e32 v25, 0
	s_and_saveexec_b64 s[72:73], s[28:29]
	s_cbranch_execz .LBB2_4024
; %bb.4019:                             ;   in Loop: Header=BB2_4004 Depth=3
	v_bfe_u32 v20, v20, 23, 8
	v_sub_u32_e32 v22, 0x79, v20
	v_cmp_gt_u32_e64 s[28:29], s93, v20
	v_add_u32_e32 v21, 0xffffff81, v20
	v_cndmask_b32_e64 v22, 0, v22, s[28:29]
	v_cmp_eq_u32_e64 s[28:29], 0, v20
	v_mov_b32_e32 v20, 0xffffff82
	v_cndmask_b32_e64 v26, v21, v20, s[28:29]
	v_mov_b32_e32 v20, 0x78
	v_or_b32_e32 v25, 0x800000, v60
	v_cndmask_b32_e64 v22, v22, v20, s[28:29]
	v_cndmask_b32_e64 v60, v25, v60, s[28:29]
	v_add_u32_e32 v20, 20, v22
	v_lshlrev_b64 v[20:21], v20, -1
	v_add_u32_e32 v25, 19, v22
	v_lshrrev_b64 v[30:31], v22, v[60:61]
	v_not_b32_e32 v21, v21
	v_not_b32_e32 v20, v20
	v_lshlrev_b64 v[28:29], v25, 1
	v_lshrrev_b32_e32 v25, 23, v30
	v_and_b32_e32 v21, 0, v21
	v_and_b32_e32 v20, v60, v20
	v_add3_u32 v26, v22, v26, v25
	v_bfe_u32 v22, v30, 20, 1
	v_add_u32_e32 v22, -1, v22
	v_cmp_eq_u64_e64 s[28:29], v[20:21], v[28:29]
	v_cndmask_b32_e64 v20, 0, v22, s[28:29]
	v_add_u32_e32 v20, v20, v30
	v_and_b32_e32 v20, 0xfffff, v20
	v_add_co_u32_e64 v20, s[28:29], v20, v30
	v_add_u32_e32 v25, 6, v26
	v_addc_co_u32_e64 v21, s[28:29], 0, v31, s[28:29]
	v_cmp_ne_u32_e64 s[28:29], 0, v25
                                        ; implicit-def: $vgpr22
	s_and_saveexec_b64 s[30:31], s[28:29]
	s_xor_b64 s[30:31], exec, s[30:31]
; %bb.4020:                             ;   in Loop: Header=BB2_4004 Depth=3
	v_add_u32_e32 v22, 7, v26
	v_cmp_lt_u64_e64 s[28:29], s[58:59], v[20:21]
	v_cndmask_b32_e64 v22, v25, v22, s[28:29]
	v_cndmask_b32_e64 v25, 0, 1, s[28:29]
	v_lshrrev_b64 v[20:21], v25, v[20:21]
; %bb.4021:                             ;   in Loop: Header=BB2_4004 Depth=3
	s_andn2_saveexec_b64 s[28:29], s[30:31]
; %bb.4022:                             ;   in Loop: Header=BB2_4004 Depth=3
	v_bfe_u32 v22, v20, 23, 1
; %bb.4023:                             ;   in Loop: Header=BB2_4004 Depth=3
	s_or_b64 exec, exec, s[28:29]
	v_lshrrev_b64 v[20:21], 20, v[20:21]
	v_cmp_gt_i32_e64 s[28:29], 16, v22
	v_cndmask_b32_e64 v21, 0, v21, s[28:29]
	v_cndmask_b32_e64 v20, 7, v20, s[28:29]
	v_cmp_eq_u64_e64 s[30:31], 0, v[20:21]
	v_min_i32_e32 v21, 15, v22
	v_cmp_eq_u32_e64 s[28:29], 0, v22
	v_lshlrev_b32_e32 v21, 3, v21
	v_and_or_b32 v20, v20, 7, v21
	s_and_b64 s[28:29], s[28:29], s[30:31]
	v_cndmask_b32_e64 v20, v20, 0, s[28:29]
	v_or_b32_e32 v25, v20, v1
.LBB2_4024:                             ;   in Loop: Header=BB2_4004 Depth=3
	s_or_b64 exec, exec, s[72:73]
.LBB2_4025:                             ;   in Loop: Header=BB2_4004 Depth=3
	s_or_b64 exec, exec, s[70:71]
                                        ; implicit-def: $vgpr20
.LBB2_4026:                             ;   in Loop: Header=BB2_4004 Depth=3
	s_andn2_saveexec_b64 s[30:31], s[68:69]
; %bb.4027:                             ;   in Loop: Header=BB2_4004 Depth=3
	v_or_b32_sdwa v1, v20, s92 dst_sel:DWORD dst_unused:UNUSED_PAD src0_sel:BYTE_3 src1_sel:DWORD
	v_cmp_eq_u64_e64 s[28:29], 0, v[60:61]
	v_cndmask_b32_e64 v25, v1, v25, s[28:29]
; %bb.4028:                             ;   in Loop: Header=BB2_4004 Depth=3
	s_or_b64 exec, exec, s[30:31]
	v_lshrrev_b16_e32 v20, 8, v12
	v_cmp_ne_u16_e64 s[28:29], 0, v20
	v_mov_b32_e32 v1, 0
	v_mov_b32_e32 v21, 0
	s_and_saveexec_b64 s[30:31], s[28:29]
	s_cbranch_execz .LBB2_4034
; %bb.4029:                             ;   in Loop: Header=BB2_4004 Depth=3
	v_cmp_ne_u16_e64 s[28:29], s91, v20
	v_bfrev_b32_e32 v21, 1
	s_and_saveexec_b64 s[68:69], s[28:29]
	s_cbranch_execz .LBB2_4033
; %bb.4030:                             ;   in Loop: Header=BB2_4004 Depth=3
	v_and_b32_e32 v22, 0x7f, v20
	v_cmp_ne_u32_e64 s[28:29], s92, v22
	v_mov_b32_e32 v21, 0x7f800001
	s_and_saveexec_b64 s[70:71], s[28:29]
	s_cbranch_execz .LBB2_4032
; %bb.4031:                             ;   in Loop: Header=BB2_4004 Depth=3
	v_and_b32_e32 v26, 7, v20
	v_ffbh_u32_e32 v21, v26
	v_min_u32_e32 v28, 32, v21
	v_subrev_u32_e32 v21, 28, v28
	v_lshlrev_b64 v[20:21], v21, v[20:21]
	v_lshrrev_b32_e32 v27, 3, v22
	v_sub_u32_e32 v21, 29, v28
	v_and_b32_e32 v20, 7, v20
	v_cmp_gt_u32_e64 s[28:29], 8, v22
	v_cndmask_b32_e64 v21, v27, v21, s[28:29]
	v_cndmask_b32_e64 v20, v26, v20, s[28:29]
	v_lshlrev_b32_e32 v22, 16, v12
	v_lshlrev_b32_e32 v20, 20, v20
	v_and_b32_e32 v22, 0x80000000, v22
	v_lshl_add_u32 v21, v21, 23, v0
	v_or3_b32 v21, v22, v21, v20
.LBB2_4032:                             ;   in Loop: Header=BB2_4004 Depth=3
	s_or_b64 exec, exec, s[70:71]
.LBB2_4033:                             ;   in Loop: Header=BB2_4004 Depth=3
	s_or_b64 exec, exec, s[68:69]
.LBB2_4034:                             ;   in Loop: Header=BB2_4004 Depth=3
	s_or_b64 exec, exec, s[30:31]
	v_lshrrev_b16_e32 v20, 8, v8
	v_cmp_ne_u16_e64 s[28:29], 0, v20
	s_and_saveexec_b64 s[30:31], s[28:29]
	s_cbranch_execz .LBB2_4040
; %bb.4035:                             ;   in Loop: Header=BB2_4004 Depth=3
	v_cmp_ne_u16_e64 s[28:29], s91, v20
	v_bfrev_b32_e32 v1, 1
	s_and_saveexec_b64 s[68:69], s[28:29]
	s_cbranch_execz .LBB2_4039
; %bb.4036:                             ;   in Loop: Header=BB2_4004 Depth=3
	v_and_b32_e32 v22, 0x7f, v20
	v_cmp_ne_u32_e64 s[28:29], s92, v22
	v_mov_b32_e32 v1, 0x7f800001
	s_and_saveexec_b64 s[70:71], s[28:29]
	s_cbranch_execz .LBB2_4038
; %bb.4037:                             ;   in Loop: Header=BB2_4004 Depth=3
	v_and_b32_e32 v1, 7, v20
	v_ffbh_u32_e32 v26, v1
	v_min_u32_e32 v29, 32, v26
	v_subrev_u32_e32 v26, 28, v29
	v_lshlrev_b64 v[26:27], v26, v[20:21]
	v_lshrrev_b32_e32 v28, 3, v22
	v_sub_u32_e32 v20, 29, v29
	v_and_b32_e32 v26, 7, v26
	v_cmp_gt_u32_e64 s[28:29], 8, v22
	v_cndmask_b32_e64 v20, v28, v20, s[28:29]
	v_cndmask_b32_e64 v1, v1, v26, s[28:29]
	v_lshlrev_b32_e32 v22, 16, v8
	v_lshlrev_b32_e32 v1, 20, v1
	v_and_b32_e32 v22, 0x80000000, v22
	v_lshl_add_u32 v20, v20, 23, v0
	v_or3_b32 v1, v22, v20, v1
.LBB2_4038:                             ;   in Loop: Header=BB2_4004 Depth=3
	s_or_b64 exec, exec, s[70:71]
.LBB2_4039:                             ;   in Loop: Header=BB2_4004 Depth=3
	s_or_b64 exec, exec, s[68:69]
.LBB2_4040:                             ;   in Loop: Header=BB2_4004 Depth=3
	s_or_b64 exec, exec, s[30:31]
	v_add_f32_e32 v20, v21, v1
	v_and_b32_sdwa v1, v20, s91 dst_sel:DWORD dst_unused:UNUSED_PAD src0_sel:BYTE_3 src1_sel:DWORD
	v_and_b32_e32 v28, 0x7f800000, v20
	v_mov_b32_e32 v29, v61
	v_and_b32_e32 v60, 0x7fffff, v20
	v_or_b32_e32 v26, 0x7e, v1
	v_cmp_ne_u64_e64 s[28:29], s[54:55], v[28:29]
	s_and_saveexec_b64 s[30:31], s[28:29]
	s_xor_b64 s[68:69], exec, s[30:31]
	s_cbranch_execz .LBB2_4050
; %bb.4041:                             ;   in Loop: Header=BB2_4004 Depth=3
	v_and_b32_e32 v28, 0x7fffffff, v20
	v_mov_b32_e32 v29, v61
	v_cmp_gt_u64_e64 s[28:29], s[56:57], v[28:29]
	s_and_saveexec_b64 s[70:71], s[28:29]
	s_cbranch_execz .LBB2_4049
; %bb.4042:                             ;   in Loop: Header=BB2_4004 Depth=3
	v_cmp_ne_u32_e64 s[28:29], 0, v20
	v_mov_b32_e32 v26, 0
	s_and_saveexec_b64 s[72:73], s[28:29]
	s_cbranch_execz .LBB2_4048
; %bb.4043:                             ;   in Loop: Header=BB2_4004 Depth=3
	v_bfe_u32 v20, v20, 23, 8
	v_sub_u32_e32 v22, 0x79, v20
	v_cmp_gt_u32_e64 s[28:29], s93, v20
	v_add_u32_e32 v21, 0xffffff81, v20
	v_cndmask_b32_e64 v22, 0, v22, s[28:29]
	v_cmp_eq_u32_e64 s[28:29], 0, v20
	v_mov_b32_e32 v20, 0xffffff82
	v_cndmask_b32_e64 v27, v21, v20, s[28:29]
	v_mov_b32_e32 v20, 0x78
	v_or_b32_e32 v26, 0x800000, v60
	v_cndmask_b32_e64 v22, v22, v20, s[28:29]
	v_cndmask_b32_e64 v60, v26, v60, s[28:29]
	v_add_u32_e32 v20, 20, v22
	v_lshlrev_b64 v[20:21], v20, -1
	v_add_u32_e32 v26, 19, v22
	v_lshrrev_b64 v[30:31], v22, v[60:61]
	v_not_b32_e32 v21, v21
	v_not_b32_e32 v20, v20
	v_lshlrev_b64 v[28:29], v26, 1
	v_lshrrev_b32_e32 v26, 23, v30
	v_and_b32_e32 v21, 0, v21
	v_and_b32_e32 v20, v60, v20
	v_add3_u32 v27, v22, v27, v26
	v_bfe_u32 v22, v30, 20, 1
	v_add_u32_e32 v22, -1, v22
	v_cmp_eq_u64_e64 s[28:29], v[20:21], v[28:29]
	v_cndmask_b32_e64 v20, 0, v22, s[28:29]
	v_add_u32_e32 v20, v20, v30
	v_and_b32_e32 v20, 0xfffff, v20
	v_add_co_u32_e64 v20, s[28:29], v20, v30
	v_add_u32_e32 v26, 6, v27
	v_addc_co_u32_e64 v21, s[28:29], 0, v31, s[28:29]
	v_cmp_ne_u32_e64 s[28:29], 0, v26
                                        ; implicit-def: $vgpr22
	s_and_saveexec_b64 s[30:31], s[28:29]
	s_xor_b64 s[30:31], exec, s[30:31]
; %bb.4044:                             ;   in Loop: Header=BB2_4004 Depth=3
	v_add_u32_e32 v22, 7, v27
	v_cmp_lt_u64_e64 s[28:29], s[58:59], v[20:21]
	v_cndmask_b32_e64 v22, v26, v22, s[28:29]
	v_cndmask_b32_e64 v26, 0, 1, s[28:29]
	v_lshrrev_b64 v[20:21], v26, v[20:21]
; %bb.4045:                             ;   in Loop: Header=BB2_4004 Depth=3
	s_andn2_saveexec_b64 s[28:29], s[30:31]
; %bb.4046:                             ;   in Loop: Header=BB2_4004 Depth=3
	v_bfe_u32 v22, v20, 23, 1
; %bb.4047:                             ;   in Loop: Header=BB2_4004 Depth=3
	s_or_b64 exec, exec, s[28:29]
	v_lshrrev_b64 v[20:21], 20, v[20:21]
	v_cmp_gt_i32_e64 s[28:29], 16, v22
	v_cndmask_b32_e64 v21, 0, v21, s[28:29]
	v_cndmask_b32_e64 v20, 7, v20, s[28:29]
	v_cmp_eq_u64_e64 s[30:31], 0, v[20:21]
	v_min_i32_e32 v21, 15, v22
	v_cmp_eq_u32_e64 s[28:29], 0, v22
	v_lshlrev_b32_e32 v21, 3, v21
	v_and_or_b32 v20, v20, 7, v21
	s_and_b64 s[28:29], s[28:29], s[30:31]
	v_cndmask_b32_e64 v20, v20, 0, s[28:29]
	v_or_b32_e32 v26, v20, v1
.LBB2_4048:                             ;   in Loop: Header=BB2_4004 Depth=3
	s_or_b64 exec, exec, s[72:73]
.LBB2_4049:                             ;   in Loop: Header=BB2_4004 Depth=3
	s_or_b64 exec, exec, s[70:71]
                                        ; implicit-def: $vgpr20
.LBB2_4050:                             ;   in Loop: Header=BB2_4004 Depth=3
	s_andn2_saveexec_b64 s[30:31], s[68:69]
; %bb.4051:                             ;   in Loop: Header=BB2_4004 Depth=3
	v_or_b32_sdwa v1, v20, s92 dst_sel:DWORD dst_unused:UNUSED_PAD src0_sel:BYTE_3 src1_sel:DWORD
	v_cmp_eq_u64_e64 s[28:29], 0, v[60:61]
	v_cndmask_b32_e64 v26, v1, v26, s[28:29]
; %bb.4052:                             ;   in Loop: Header=BB2_4004 Depth=3
	s_or_b64 exec, exec, s[30:31]
	v_lshrrev_b32_e32 v20, 16, v12
	v_cmp_ne_u16_sdwa s[28:29], v20, v61 src0_sel:BYTE_0 src1_sel:DWORD
	v_mov_b32_e32 v1, 0
	v_mov_b32_e32 v21, 0
	s_and_saveexec_b64 s[30:31], s[28:29]
	s_cbranch_execz .LBB2_4058
; %bb.4053:                             ;   in Loop: Header=BB2_4004 Depth=3
	v_cmp_ne_u16_sdwa s[28:29], v20, s91 src0_sel:BYTE_0 src1_sel:DWORD
	v_bfrev_b32_e32 v21, 1
	s_and_saveexec_b64 s[68:69], s[28:29]
	s_cbranch_execz .LBB2_4057
; %bb.4054:                             ;   in Loop: Header=BB2_4004 Depth=3
	v_bfe_u32 v22, v12, 16, 7
	v_cmp_ne_u32_e64 s[28:29], s92, v22
	v_mov_b32_e32 v21, 0x7f800001
	s_and_saveexec_b64 s[70:71], s[28:29]
	s_cbranch_execz .LBB2_4056
; %bb.4055:                             ;   in Loop: Header=BB2_4004 Depth=3
	v_and_b32_e32 v21, 7, v20
	v_ffbh_u32_e32 v28, v21
	v_min_u32_e32 v30, 32, v28
	v_subrev_u32_e32 v28, 28, v30
	v_lshlrev_b64 v[28:29], v28, v[20:21]
	v_lshrrev_b32_e32 v27, 3, v22
	v_sub_u32_e32 v29, 29, v30
	v_and_b32_e32 v28, 7, v28
	v_cmp_gt_u32_e64 s[28:29], 8, v22
	v_cndmask_b32_e64 v22, v27, v29, s[28:29]
	v_cndmask_b32_e64 v21, v21, v28, s[28:29]
	v_lshlrev_b32_e32 v20, 24, v20
	v_lshlrev_b32_e32 v21, 20, v21
	v_and_b32_e32 v20, 0x80000000, v20
	v_lshl_add_u32 v22, v22, 23, v0
	v_or3_b32 v21, v20, v22, v21
.LBB2_4056:                             ;   in Loop: Header=BB2_4004 Depth=3
	s_or_b64 exec, exec, s[70:71]
.LBB2_4057:                             ;   in Loop: Header=BB2_4004 Depth=3
	s_or_b64 exec, exec, s[68:69]
.LBB2_4058:                             ;   in Loop: Header=BB2_4004 Depth=3
	s_or_b64 exec, exec, s[30:31]
	v_lshrrev_b32_e32 v20, 16, v8
	v_cmp_ne_u16_sdwa s[28:29], v20, v61 src0_sel:BYTE_0 src1_sel:DWORD
	s_and_saveexec_b64 s[30:31], s[28:29]
	s_cbranch_execz .LBB2_4064
; %bb.4059:                             ;   in Loop: Header=BB2_4004 Depth=3
	v_cmp_ne_u16_sdwa s[28:29], v20, s91 src0_sel:BYTE_0 src1_sel:DWORD
	v_bfrev_b32_e32 v1, 1
	s_and_saveexec_b64 s[68:69], s[28:29]
	s_cbranch_execz .LBB2_4063
; %bb.4060:                             ;   in Loop: Header=BB2_4004 Depth=3
	v_bfe_u32 v22, v8, 16, 7
	v_cmp_ne_u32_e64 s[28:29], s92, v22
	v_mov_b32_e32 v1, 0x7f800001
	s_and_saveexec_b64 s[70:71], s[28:29]
	s_cbranch_execz .LBB2_4062
; %bb.4061:                             ;   in Loop: Header=BB2_4004 Depth=3
	v_and_b32_e32 v1, 7, v20
	v_ffbh_u32_e32 v28, v1
	v_min_u32_e32 v30, 32, v28
	v_subrev_u32_e32 v28, 28, v30
	v_lshlrev_b64 v[28:29], v28, v[20:21]
	v_lshrrev_b32_e32 v27, 3, v22
	v_sub_u32_e32 v20, 29, v30
	v_and_b32_e32 v28, 7, v28
	v_cmp_gt_u32_e64 s[28:29], 8, v22
	v_cndmask_b32_e64 v20, v27, v20, s[28:29]
	v_cndmask_b32_e64 v1, v1, v28, s[28:29]
	v_lshlrev_b32_e32 v22, 8, v8
	v_lshlrev_b32_e32 v1, 20, v1
	v_and_b32_e32 v22, 0x80000000, v22
	v_lshl_add_u32 v20, v20, 23, v0
	v_or3_b32 v1, v22, v20, v1
.LBB2_4062:                             ;   in Loop: Header=BB2_4004 Depth=3
	s_or_b64 exec, exec, s[70:71]
.LBB2_4063:                             ;   in Loop: Header=BB2_4004 Depth=3
	s_or_b64 exec, exec, s[68:69]
.LBB2_4064:                             ;   in Loop: Header=BB2_4004 Depth=3
	s_or_b64 exec, exec, s[30:31]
	v_add_f32_e32 v20, v21, v1
	v_and_b32_sdwa v1, v20, s91 dst_sel:DWORD dst_unused:UNUSED_PAD src0_sel:BYTE_3 src1_sel:DWORD
	v_and_b32_e32 v28, 0x7f800000, v20
	v_mov_b32_e32 v29, v61
	v_and_b32_e32 v60, 0x7fffff, v20
	v_or_b32_e32 v27, 0x7e, v1
	v_cmp_ne_u64_e64 s[28:29], s[54:55], v[28:29]
	s_and_saveexec_b64 s[30:31], s[28:29]
	s_xor_b64 s[68:69], exec, s[30:31]
	s_cbranch_execz .LBB2_4074
; %bb.4065:                             ;   in Loop: Header=BB2_4004 Depth=3
	v_and_b32_e32 v28, 0x7fffffff, v20
	v_mov_b32_e32 v29, v61
	v_cmp_gt_u64_e64 s[28:29], s[56:57], v[28:29]
	s_and_saveexec_b64 s[70:71], s[28:29]
	s_cbranch_execz .LBB2_4073
; %bb.4066:                             ;   in Loop: Header=BB2_4004 Depth=3
	v_cmp_ne_u32_e64 s[28:29], 0, v20
	v_mov_b32_e32 v27, 0
	s_and_saveexec_b64 s[72:73], s[28:29]
	s_cbranch_execz .LBB2_4072
; %bb.4067:                             ;   in Loop: Header=BB2_4004 Depth=3
	v_bfe_u32 v20, v20, 23, 8
	v_sub_u32_e32 v22, 0x79, v20
	v_cmp_gt_u32_e64 s[28:29], s93, v20
	v_add_u32_e32 v21, 0xffffff81, v20
	v_cndmask_b32_e64 v22, 0, v22, s[28:29]
	v_cmp_eq_u32_e64 s[28:29], 0, v20
	v_mov_b32_e32 v20, 0xffffff82
	v_cndmask_b32_e64 v28, v21, v20, s[28:29]
	v_mov_b32_e32 v20, 0x78
	v_or_b32_e32 v27, 0x800000, v60
	v_cndmask_b32_e64 v22, v22, v20, s[28:29]
	v_cndmask_b32_e64 v60, v27, v60, s[28:29]
	v_add_u32_e32 v20, 20, v22
	v_lshlrev_b64 v[20:21], v20, -1
	v_add_u32_e32 v27, 19, v22
	v_lshrrev_b64 v[32:33], v22, v[60:61]
	v_not_b32_e32 v21, v21
	v_not_b32_e32 v20, v20
	v_lshlrev_b64 v[30:31], v27, 1
	v_lshrrev_b32_e32 v27, 23, v32
	v_and_b32_e32 v21, 0, v21
	v_and_b32_e32 v20, v60, v20
	v_add3_u32 v28, v22, v28, v27
	v_bfe_u32 v22, v32, 20, 1
	v_add_u32_e32 v22, -1, v22
	v_cmp_eq_u64_e64 s[28:29], v[20:21], v[30:31]
	v_cndmask_b32_e64 v20, 0, v22, s[28:29]
	v_add_u32_e32 v20, v20, v32
	v_and_b32_e32 v20, 0xfffff, v20
	v_add_co_u32_e64 v20, s[28:29], v20, v32
	v_add_u32_e32 v27, 6, v28
	v_addc_co_u32_e64 v21, s[28:29], 0, v33, s[28:29]
	v_cmp_ne_u32_e64 s[28:29], 0, v27
                                        ; implicit-def: $vgpr22
	s_and_saveexec_b64 s[30:31], s[28:29]
	s_xor_b64 s[30:31], exec, s[30:31]
; %bb.4068:                             ;   in Loop: Header=BB2_4004 Depth=3
	v_add_u32_e32 v22, 7, v28
	v_cmp_lt_u64_e64 s[28:29], s[58:59], v[20:21]
	v_cndmask_b32_e64 v22, v27, v22, s[28:29]
	v_cndmask_b32_e64 v27, 0, 1, s[28:29]
	v_lshrrev_b64 v[20:21], v27, v[20:21]
; %bb.4069:                             ;   in Loop: Header=BB2_4004 Depth=3
	s_andn2_saveexec_b64 s[28:29], s[30:31]
; %bb.4070:                             ;   in Loop: Header=BB2_4004 Depth=3
	v_bfe_u32 v22, v20, 23, 1
; %bb.4071:                             ;   in Loop: Header=BB2_4004 Depth=3
	s_or_b64 exec, exec, s[28:29]
	v_lshrrev_b64 v[20:21], 20, v[20:21]
	v_cmp_gt_i32_e64 s[28:29], 16, v22
	v_cndmask_b32_e64 v21, 0, v21, s[28:29]
	v_cndmask_b32_e64 v20, 7, v20, s[28:29]
	v_cmp_eq_u64_e64 s[30:31], 0, v[20:21]
	v_min_i32_e32 v21, 15, v22
	v_cmp_eq_u32_e64 s[28:29], 0, v22
	v_lshlrev_b32_e32 v21, 3, v21
	v_and_or_b32 v20, v20, 7, v21
	s_and_b64 s[28:29], s[28:29], s[30:31]
	v_cndmask_b32_e64 v20, v20, 0, s[28:29]
	v_or_b32_e32 v27, v20, v1
.LBB2_4072:                             ;   in Loop: Header=BB2_4004 Depth=3
	s_or_b64 exec, exec, s[72:73]
.LBB2_4073:                             ;   in Loop: Header=BB2_4004 Depth=3
	s_or_b64 exec, exec, s[70:71]
                                        ; implicit-def: $vgpr20
.LBB2_4074:                             ;   in Loop: Header=BB2_4004 Depth=3
	s_andn2_saveexec_b64 s[30:31], s[68:69]
; %bb.4075:                             ;   in Loop: Header=BB2_4004 Depth=3
	v_or_b32_sdwa v1, v20, s92 dst_sel:DWORD dst_unused:UNUSED_PAD src0_sel:BYTE_3 src1_sel:DWORD
	v_cmp_eq_u64_e64 s[28:29], 0, v[60:61]
	v_cndmask_b32_e64 v27, v1, v27, s[28:29]
; %bb.4076:                             ;   in Loop: Header=BB2_4004 Depth=3
	s_or_b64 exec, exec, s[30:31]
	v_cmp_lt_u32_e64 s[28:29], s45, v12
	v_mov_b32_e32 v1, 0
	v_mov_b32_e32 v21, 0
	s_and_saveexec_b64 s[30:31], s[28:29]
	s_cbranch_execz .LBB2_4082
; %bb.4077:                             ;   in Loop: Header=BB2_4004 Depth=3
	v_lshrrev_b32_e32 v20, 24, v12
	v_cmp_ne_u32_e64 s[28:29], s91, v20
	v_bfrev_b32_e32 v21, 1
	s_and_saveexec_b64 s[68:69], s[28:29]
	s_cbranch_execz .LBB2_4081
; %bb.4078:                             ;   in Loop: Header=BB2_4004 Depth=3
	v_bfe_u32 v22, v12, 24, 7
	v_cmp_ne_u32_e64 s[28:29], s92, v22
	v_mov_b32_e32 v21, 0x7f800001
	s_and_saveexec_b64 s[70:71], s[28:29]
	s_cbranch_execz .LBB2_4080
; %bb.4079:                             ;   in Loop: Header=BB2_4004 Depth=3
	v_and_b32_e32 v21, 7, v20
	v_ffbh_u32_e32 v28, v21
	v_min_u32_e32 v31, 32, v28
	v_subrev_u32_e32 v28, 28, v31
	v_lshlrev_b64 v[28:29], v28, v[20:21]
	v_lshrrev_b32_e32 v30, 3, v22
	v_sub_u32_e32 v29, 29, v31
	v_and_b32_e32 v28, 7, v28
	v_cmp_gt_u32_e64 s[28:29], 8, v22
	v_cndmask_b32_e64 v22, v30, v29, s[28:29]
	v_cndmask_b32_e64 v21, v21, v28, s[28:29]
	v_lshlrev_b32_e32 v20, 24, v20
	v_lshlrev_b32_e32 v21, 20, v21
	v_and_b32_e32 v20, 0x80000000, v20
	v_lshl_add_u32 v22, v22, 23, v0
	v_or3_b32 v21, v20, v22, v21
.LBB2_4080:                             ;   in Loop: Header=BB2_4004 Depth=3
	s_or_b64 exec, exec, s[70:71]
.LBB2_4081:                             ;   in Loop: Header=BB2_4004 Depth=3
	s_or_b64 exec, exec, s[68:69]
.LBB2_4082:                             ;   in Loop: Header=BB2_4004 Depth=3
	s_or_b64 exec, exec, s[30:31]
	v_cmp_lt_u32_e64 s[28:29], s45, v8
	s_and_saveexec_b64 s[30:31], s[28:29]
	s_cbranch_execz .LBB2_4088
; %bb.4083:                             ;   in Loop: Header=BB2_4004 Depth=3
	v_lshrrev_b32_e32 v20, 24, v8
	v_cmp_ne_u32_e64 s[28:29], s91, v20
	v_bfrev_b32_e32 v1, 1
	s_and_saveexec_b64 s[68:69], s[28:29]
	s_cbranch_execz .LBB2_4087
; %bb.4084:                             ;   in Loop: Header=BB2_4004 Depth=3
	v_bfe_u32 v22, v8, 24, 7
	v_cmp_ne_u32_e64 s[28:29], s92, v22
	v_mov_b32_e32 v1, 0x7f800001
	s_and_saveexec_b64 s[70:71], s[28:29]
	s_cbranch_execz .LBB2_4086
; %bb.4085:                             ;   in Loop: Header=BB2_4004 Depth=3
	v_and_b32_e32 v1, 7, v20
	v_ffbh_u32_e32 v28, v1
	v_min_u32_e32 v31, 32, v28
	v_subrev_u32_e32 v28, 28, v31
	v_lshlrev_b64 v[28:29], v28, v[20:21]
	v_lshrrev_b32_e32 v30, 3, v22
	v_sub_u32_e32 v29, 29, v31
	v_and_b32_e32 v28, 7, v28
	v_cmp_gt_u32_e64 s[28:29], 8, v22
	v_cndmask_b32_e64 v22, v30, v29, s[28:29]
	v_cndmask_b32_e64 v1, v1, v28, s[28:29]
	v_lshlrev_b32_e32 v20, 24, v20
	v_lshlrev_b32_e32 v1, 20, v1
	v_and_b32_e32 v20, 0x80000000, v20
	v_lshl_add_u32 v22, v22, 23, v0
	v_or3_b32 v1, v20, v22, v1
.LBB2_4086:                             ;   in Loop: Header=BB2_4004 Depth=3
	s_or_b64 exec, exec, s[70:71]
.LBB2_4087:                             ;   in Loop: Header=BB2_4004 Depth=3
	s_or_b64 exec, exec, s[68:69]
.LBB2_4088:                             ;   in Loop: Header=BB2_4004 Depth=3
	s_or_b64 exec, exec, s[30:31]
	v_add_f32_e32 v20, v21, v1
	v_and_b32_sdwa v1, v20, s91 dst_sel:DWORD dst_unused:UNUSED_PAD src0_sel:BYTE_3 src1_sel:DWORD
	v_and_b32_e32 v30, 0x7f800000, v20
	v_mov_b32_e32 v31, v61
	v_and_b32_e32 v60, 0x7fffff, v20
	v_or_b32_e32 v28, 0x7e, v1
	v_cmp_ne_u64_e64 s[28:29], s[54:55], v[30:31]
	s_and_saveexec_b64 s[30:31], s[28:29]
	s_xor_b64 s[68:69], exec, s[30:31]
	s_cbranch_execz .LBB2_4098
; %bb.4089:                             ;   in Loop: Header=BB2_4004 Depth=3
	v_and_b32_e32 v30, 0x7fffffff, v20
	v_mov_b32_e32 v31, v61
	v_cmp_gt_u64_e64 s[28:29], s[56:57], v[30:31]
	s_and_saveexec_b64 s[70:71], s[28:29]
	s_cbranch_execz .LBB2_4097
; %bb.4090:                             ;   in Loop: Header=BB2_4004 Depth=3
	v_cmp_ne_u32_e64 s[28:29], 0, v20
	v_mov_b32_e32 v28, 0
	s_and_saveexec_b64 s[72:73], s[28:29]
	s_cbranch_execz .LBB2_4096
; %bb.4091:                             ;   in Loop: Header=BB2_4004 Depth=3
	v_bfe_u32 v20, v20, 23, 8
	v_sub_u32_e32 v22, 0x79, v20
	v_cmp_gt_u32_e64 s[28:29], s93, v20
	v_add_u32_e32 v21, 0xffffff81, v20
	v_cndmask_b32_e64 v22, 0, v22, s[28:29]
	v_cmp_eq_u32_e64 s[28:29], 0, v20
	v_mov_b32_e32 v20, 0xffffff82
	v_cndmask_b32_e64 v29, v21, v20, s[28:29]
	v_mov_b32_e32 v20, 0x78
	v_or_b32_e32 v28, 0x800000, v60
	v_cndmask_b32_e64 v22, v22, v20, s[28:29]
	v_cndmask_b32_e64 v60, v28, v60, s[28:29]
	v_add_u32_e32 v20, 20, v22
	v_lshlrev_b64 v[20:21], v20, -1
	v_add_u32_e32 v28, 19, v22
	v_lshrrev_b64 v[32:33], v22, v[60:61]
	v_not_b32_e32 v21, v21
	v_not_b32_e32 v20, v20
	v_lshlrev_b64 v[30:31], v28, 1
	v_lshrrev_b32_e32 v28, 23, v32
	v_and_b32_e32 v21, 0, v21
	v_and_b32_e32 v20, v60, v20
	v_add3_u32 v29, v22, v29, v28
	v_bfe_u32 v22, v32, 20, 1
	v_add_u32_e32 v22, -1, v22
	v_cmp_eq_u64_e64 s[28:29], v[20:21], v[30:31]
	v_cndmask_b32_e64 v20, 0, v22, s[28:29]
	v_add_u32_e32 v20, v20, v32
	v_and_b32_e32 v20, 0xfffff, v20
	v_add_co_u32_e64 v20, s[28:29], v20, v32
	v_add_u32_e32 v28, 6, v29
	v_addc_co_u32_e64 v21, s[28:29], 0, v33, s[28:29]
	v_cmp_ne_u32_e64 s[28:29], 0, v28
                                        ; implicit-def: $vgpr22
	s_and_saveexec_b64 s[30:31], s[28:29]
	s_xor_b64 s[30:31], exec, s[30:31]
; %bb.4092:                             ;   in Loop: Header=BB2_4004 Depth=3
	v_add_u32_e32 v22, 7, v29
	v_cmp_lt_u64_e64 s[28:29], s[58:59], v[20:21]
	v_cndmask_b32_e64 v22, v28, v22, s[28:29]
	v_cndmask_b32_e64 v28, 0, 1, s[28:29]
	v_lshrrev_b64 v[20:21], v28, v[20:21]
; %bb.4093:                             ;   in Loop: Header=BB2_4004 Depth=3
	s_andn2_saveexec_b64 s[28:29], s[30:31]
; %bb.4094:                             ;   in Loop: Header=BB2_4004 Depth=3
	v_bfe_u32 v22, v20, 23, 1
; %bb.4095:                             ;   in Loop: Header=BB2_4004 Depth=3
	s_or_b64 exec, exec, s[28:29]
	v_lshrrev_b64 v[20:21], 20, v[20:21]
	v_cmp_gt_i32_e64 s[28:29], 16, v22
	v_cndmask_b32_e64 v21, 0, v21, s[28:29]
	v_cndmask_b32_e64 v20, 7, v20, s[28:29]
	v_cmp_eq_u64_e64 s[30:31], 0, v[20:21]
	v_min_i32_e32 v21, 15, v22
	v_cmp_eq_u32_e64 s[28:29], 0, v22
	v_lshlrev_b32_e32 v21, 3, v21
	v_and_or_b32 v20, v20, 7, v21
	s_and_b64 s[28:29], s[28:29], s[30:31]
	v_cndmask_b32_e64 v20, v20, 0, s[28:29]
	v_or_b32_e32 v28, v20, v1
.LBB2_4096:                             ;   in Loop: Header=BB2_4004 Depth=3
	s_or_b64 exec, exec, s[72:73]
.LBB2_4097:                             ;   in Loop: Header=BB2_4004 Depth=3
	s_or_b64 exec, exec, s[70:71]
                                        ; implicit-def: $vgpr20
.LBB2_4098:                             ;   in Loop: Header=BB2_4004 Depth=3
	s_andn2_saveexec_b64 s[30:31], s[68:69]
; %bb.4099:                             ;   in Loop: Header=BB2_4004 Depth=3
	v_or_b32_sdwa v1, v20, s92 dst_sel:DWORD dst_unused:UNUSED_PAD src0_sel:BYTE_3 src1_sel:DWORD
	v_cmp_eq_u64_e64 s[28:29], 0, v[60:61]
	v_cndmask_b32_e64 v28, v1, v28, s[28:29]
; %bb.4100:                             ;   in Loop: Header=BB2_4004 Depth=3
	s_or_b64 exec, exec, s[30:31]
	v_mov_b32_e32 v60, v13
	v_cmp_ne_u16_sdwa s[28:29], v13, v61 src0_sel:BYTE_0 src1_sel:DWORD
	v_mov_b32_e32 v20, 0
	v_mov_b32_e32 v1, 0
	s_and_saveexec_b64 s[30:31], s[28:29]
	s_cbranch_execz .LBB2_4106
; %bb.4101:                             ;   in Loop: Header=BB2_4004 Depth=3
	v_cmp_ne_u16_sdwa s[28:29], v13, s91 src0_sel:BYTE_0 src1_sel:DWORD
	v_bfrev_b32_e32 v1, 1
	s_and_saveexec_b64 s[68:69], s[28:29]
	s_cbranch_execz .LBB2_4105
; %bb.4102:                             ;   in Loop: Header=BB2_4004 Depth=3
	v_and_b32_e32 v21, 0x7f, v13
	v_cmp_ne_u32_e64 s[28:29], s92, v21
	v_mov_b32_e32 v1, 0x7f800001
	s_and_saveexec_b64 s[70:71], s[28:29]
	s_cbranch_execz .LBB2_4104
; %bb.4103:                             ;   in Loop: Header=BB2_4004 Depth=3
	v_and_b32_e32 v1, 7, v13
	v_ffbh_u32_e32 v1, v1
	v_min_u32_e32 v1, 32, v1
	v_subrev_u32_e32 v29, 28, v1
	v_cmp_gt_u32_e64 s[28:29], 8, v21
	v_lshrrev_b32_e32 v22, 3, v21
	v_cndmask_b32_e64 v21, 0, v29, s[28:29]
	v_sub_u32_e32 v1, 29, v1
	v_lshlrev_b64 v[30:31], v21, v[60:61]
	v_cndmask_b32_e64 v1, v22, v1, s[28:29]
	v_lshlrev_b32_e32 v21, 20, v30
	v_lshlrev_b32_e32 v22, 24, v60
	v_and_b32_e32 v21, 0x700000, v21
	v_and_b32_e32 v22, 0x80000000, v22
	v_lshl_add_u32 v1, v1, 23, v0
	v_or3_b32 v1, v22, v1, v21
.LBB2_4104:                             ;   in Loop: Header=BB2_4004 Depth=3
	s_or_b64 exec, exec, s[70:71]
.LBB2_4105:                             ;   in Loop: Header=BB2_4004 Depth=3
	s_or_b64 exec, exec, s[68:69]
.LBB2_4106:                             ;   in Loop: Header=BB2_4004 Depth=3
	s_or_b64 exec, exec, s[30:31]
	v_cmp_ne_u16_sdwa s[28:29], v9, v61 src0_sel:BYTE_0 src1_sel:DWORD
	s_and_saveexec_b64 s[30:31], s[28:29]
	s_cbranch_execz .LBB2_4112
; %bb.4107:                             ;   in Loop: Header=BB2_4004 Depth=3
	v_cmp_ne_u16_sdwa s[28:29], v9, s91 src0_sel:BYTE_0 src1_sel:DWORD
	v_bfrev_b32_e32 v20, 1
	s_and_saveexec_b64 s[68:69], s[28:29]
	s_cbranch_execz .LBB2_4111
; %bb.4108:                             ;   in Loop: Header=BB2_4004 Depth=3
	v_and_b32_e32 v21, 0x7f, v9
	v_cmp_ne_u32_e64 s[28:29], s92, v21
	v_mov_b32_e32 v20, 0x7f800001
	s_and_saveexec_b64 s[70:71], s[28:29]
	s_cbranch_execz .LBB2_4110
; %bb.4109:                             ;   in Loop: Header=BB2_4004 Depth=3
	v_and_b32_e32 v20, 7, v9
	v_ffbh_u32_e32 v20, v20
	v_min_u32_e32 v20, 32, v20
	v_lshrrev_b32_e32 v22, 3, v21
	v_subrev_u32_e32 v29, 28, v20
	v_sub_u32_e32 v20, 29, v20
	v_cmp_gt_u32_e64 s[28:29], 8, v21
	v_mov_b32_e32 v30, v9
	v_mov_b32_e32 v31, v61
	v_cndmask_b32_e64 v22, v22, v20, s[28:29]
	v_cndmask_b32_e64 v20, 0, v29, s[28:29]
	v_lshlrev_b64 v[20:21], v20, v[30:31]
	v_lshlrev_b32_e32 v20, 20, v20
	v_lshlrev_b32_e32 v21, 24, v30
	v_and_b32_e32 v20, 0x700000, v20
	v_and_b32_e32 v21, 0x80000000, v21
	v_lshl_add_u32 v22, v22, 23, v0
	v_or3_b32 v20, v21, v22, v20
.LBB2_4110:                             ;   in Loop: Header=BB2_4004 Depth=3
	s_or_b64 exec, exec, s[70:71]
.LBB2_4111:                             ;   in Loop: Header=BB2_4004 Depth=3
	s_or_b64 exec, exec, s[68:69]
.LBB2_4112:                             ;   in Loop: Header=BB2_4004 Depth=3
	s_or_b64 exec, exec, s[30:31]
	v_add_f32_e32 v22, v1, v20
	v_and_b32_sdwa v1, v22, s91 dst_sel:DWORD dst_unused:UNUSED_PAD src0_sel:BYTE_3 src1_sel:DWORD
	v_and_b32_e32 v30, 0x7f800000, v22
	v_mov_b32_e32 v31, v61
	v_and_b32_e32 v20, 0x7fffff, v22
	v_mov_b32_e32 v21, v61
	v_or_b32_e32 v29, 0x7e, v1
	v_cmp_ne_u64_e64 s[28:29], s[54:55], v[30:31]
	s_and_saveexec_b64 s[30:31], s[28:29]
	s_xor_b64 s[68:69], exec, s[30:31]
	s_cbranch_execz .LBB2_4122
; %bb.4113:                             ;   in Loop: Header=BB2_4004 Depth=3
	v_and_b32_e32 v30, 0x7fffffff, v22
	v_mov_b32_e32 v31, v61
	v_cmp_gt_u64_e64 s[28:29], s[56:57], v[30:31]
	s_and_saveexec_b64 s[70:71], s[28:29]
	s_cbranch_execz .LBB2_4121
; %bb.4114:                             ;   in Loop: Header=BB2_4004 Depth=3
	v_cmp_ne_u32_e64 s[28:29], 0, v22
	v_mov_b32_e32 v29, 0
	s_and_saveexec_b64 s[72:73], s[28:29]
	s_cbranch_execz .LBB2_4120
; %bb.4115:                             ;   in Loop: Header=BB2_4004 Depth=3
	v_bfe_u32 v22, v22, 23, 8
	v_sub_u32_e32 v30, 0x79, v22
	v_cmp_gt_u32_e64 s[28:29], s93, v22
	v_add_u32_e32 v29, 0xffffff81, v22
	v_cndmask_b32_e64 v30, 0, v30, s[28:29]
	v_cmp_eq_u32_e64 s[28:29], 0, v22
	v_mov_b32_e32 v22, 0xffffff82
	v_cndmask_b32_e64 v22, v29, v22, s[28:29]
	v_mov_b32_e32 v29, 0x78
	v_cndmask_b32_e64 v29, v30, v29, s[28:29]
	v_or_b32_e32 v31, 0x800000, v20
	v_add_u32_e32 v30, 20, v29
	v_cndmask_b32_e64 v20, v31, v20, s[28:29]
	v_lshlrev_b64 v[30:31], v30, -1
	v_not_b32_e32 v30, v30
	v_and_b32_e32 v32, v20, v30
	v_add_u32_e32 v30, 19, v29
	v_lshrrev_b64 v[20:21], v29, v[20:21]
	v_not_b32_e32 v31, v31
	v_lshlrev_b64 v[34:35], v30, 1
	v_lshrrev_b32_e32 v30, 23, v20
	v_and_b32_e32 v33, 0, v31
	v_add3_u32 v30, v29, v22, v30
	v_bfe_u32 v22, v20, 20, 1
	v_add_u32_e32 v22, -1, v22
	v_cmp_eq_u64_e64 s[28:29], v[32:33], v[34:35]
	v_cndmask_b32_e64 v22, 0, v22, s[28:29]
	v_add_u32_e32 v22, v22, v20
	v_and_b32_e32 v22, 0xfffff, v22
	v_add_co_u32_e64 v20, s[28:29], v22, v20
	v_add_u32_e32 v29, 6, v30
	v_addc_co_u32_e64 v21, s[28:29], 0, v21, s[28:29]
	v_cmp_ne_u32_e64 s[28:29], 0, v29
                                        ; implicit-def: $vgpr22
	s_and_saveexec_b64 s[30:31], s[28:29]
	s_xor_b64 s[30:31], exec, s[30:31]
; %bb.4116:                             ;   in Loop: Header=BB2_4004 Depth=3
	v_add_u32_e32 v22, 7, v30
	v_cmp_lt_u64_e64 s[28:29], s[58:59], v[20:21]
	v_cndmask_b32_e64 v22, v29, v22, s[28:29]
	v_cndmask_b32_e64 v29, 0, 1, s[28:29]
	v_lshrrev_b64 v[20:21], v29, v[20:21]
; %bb.4117:                             ;   in Loop: Header=BB2_4004 Depth=3
	s_andn2_saveexec_b64 s[28:29], s[30:31]
; %bb.4118:                             ;   in Loop: Header=BB2_4004 Depth=3
	v_bfe_u32 v22, v20, 23, 1
; %bb.4119:                             ;   in Loop: Header=BB2_4004 Depth=3
	s_or_b64 exec, exec, s[28:29]
	v_lshrrev_b64 v[20:21], 20, v[20:21]
	v_cmp_gt_i32_e64 s[28:29], 16, v22
	v_cndmask_b32_e64 v21, 0, v21, s[28:29]
	v_cndmask_b32_e64 v20, 7, v20, s[28:29]
	v_cmp_eq_u64_e64 s[30:31], 0, v[20:21]
	v_min_i32_e32 v21, 15, v22
	v_cmp_eq_u32_e64 s[28:29], 0, v22
	v_lshlrev_b32_e32 v21, 3, v21
	v_and_or_b32 v20, v20, 7, v21
	s_and_b64 s[28:29], s[28:29], s[30:31]
	v_cndmask_b32_e64 v20, v20, 0, s[28:29]
	v_or_b32_e32 v29, v20, v1
.LBB2_4120:                             ;   in Loop: Header=BB2_4004 Depth=3
	s_or_b64 exec, exec, s[72:73]
.LBB2_4121:                             ;   in Loop: Header=BB2_4004 Depth=3
	s_or_b64 exec, exec, s[70:71]
                                        ; implicit-def: $vgpr22
                                        ; implicit-def: $vgpr20_vgpr21
.LBB2_4122:                             ;   in Loop: Header=BB2_4004 Depth=3
	s_andn2_saveexec_b64 s[30:31], s[68:69]
; %bb.4123:                             ;   in Loop: Header=BB2_4004 Depth=3
	v_or_b32_sdwa v1, v22, s92 dst_sel:DWORD dst_unused:UNUSED_PAD src0_sel:BYTE_3 src1_sel:DWORD
	v_cmp_eq_u64_e64 s[28:29], 0, v[20:21]
	v_cndmask_b32_e64 v29, v1, v29, s[28:29]
; %bb.4124:                             ;   in Loop: Header=BB2_4004 Depth=3
	s_or_b64 exec, exec, s[30:31]
	v_lshrrev_b16_e32 v20, 8, v60
	v_cmp_ne_u16_e64 s[28:29], 0, v20
	v_mov_b32_e32 v1, 0
	v_mov_b32_e32 v21, 0
	s_and_saveexec_b64 s[30:31], s[28:29]
	s_cbranch_execz .LBB2_4130
; %bb.4125:                             ;   in Loop: Header=BB2_4004 Depth=3
	v_cmp_ne_u16_e64 s[28:29], s91, v20
	v_bfrev_b32_e32 v21, 1
	s_and_saveexec_b64 s[68:69], s[28:29]
	s_cbranch_execz .LBB2_4129
; %bb.4126:                             ;   in Loop: Header=BB2_4004 Depth=3
	v_and_b32_e32 v22, 0x7f, v20
	v_cmp_ne_u32_e64 s[28:29], s92, v22
	v_mov_b32_e32 v21, 0x7f800001
	s_and_saveexec_b64 s[70:71], s[28:29]
	s_cbranch_execz .LBB2_4128
; %bb.4127:                             ;   in Loop: Header=BB2_4004 Depth=3
	v_and_b32_e32 v30, 7, v20
	v_ffbh_u32_e32 v21, v30
	v_min_u32_e32 v32, 32, v21
	v_subrev_u32_e32 v21, 28, v32
	v_lshlrev_b64 v[20:21], v21, v[20:21]
	v_lshrrev_b32_e32 v31, 3, v22
	v_sub_u32_e32 v21, 29, v32
	v_and_b32_e32 v20, 7, v20
	v_cmp_gt_u32_e64 s[28:29], 8, v22
	v_cndmask_b32_e64 v21, v31, v21, s[28:29]
	v_cndmask_b32_e64 v20, v30, v20, s[28:29]
	v_lshlrev_b32_e32 v22, 16, v60
	v_lshlrev_b32_e32 v20, 20, v20
	v_and_b32_e32 v22, 0x80000000, v22
	v_lshl_add_u32 v21, v21, 23, v0
	v_or3_b32 v21, v22, v21, v20
.LBB2_4128:                             ;   in Loop: Header=BB2_4004 Depth=3
	s_or_b64 exec, exec, s[70:71]
.LBB2_4129:                             ;   in Loop: Header=BB2_4004 Depth=3
	s_or_b64 exec, exec, s[68:69]
.LBB2_4130:                             ;   in Loop: Header=BB2_4004 Depth=3
	s_or_b64 exec, exec, s[30:31]
	v_mov_b32_e32 v20, v9
	v_lshrrev_b16_e32 v22, 8, v20
	v_cmp_ne_u16_e64 s[28:29], 0, v22
	s_and_saveexec_b64 s[30:31], s[28:29]
	s_cbranch_execz .LBB2_4136
; %bb.4131:                             ;   in Loop: Header=BB2_4004 Depth=3
	v_cmp_ne_u16_e64 s[28:29], s91, v22
	v_bfrev_b32_e32 v1, 1
	s_and_saveexec_b64 s[68:69], s[28:29]
	s_cbranch_execz .LBB2_4135
; %bb.4132:                             ;   in Loop: Header=BB2_4004 Depth=3
	v_and_b32_e32 v30, 0x7f, v22
	v_cmp_ne_u32_e64 s[28:29], s92, v30
	v_mov_b32_e32 v1, 0x7f800001
	s_and_saveexec_b64 s[70:71], s[28:29]
	s_cbranch_execz .LBB2_4134
; %bb.4133:                             ;   in Loop: Header=BB2_4004 Depth=3
	v_and_b32_e32 v1, 7, v22
	v_ffbh_u32_e32 v32, v1
	v_min_u32_e32 v34, 32, v32
	v_subrev_u32_e32 v32, 28, v34
	v_lshlrev_b64 v[32:33], v32, v[22:23]
	v_lshrrev_b32_e32 v31, 3, v30
	v_sub_u32_e32 v22, 29, v34
	v_and_b32_e32 v32, 7, v32
	v_cmp_gt_u32_e64 s[28:29], 8, v30
	v_cndmask_b32_e64 v22, v31, v22, s[28:29]
	v_cndmask_b32_e64 v1, v1, v32, s[28:29]
	v_lshlrev_b32_e32 v20, 16, v20
	v_lshlrev_b32_e32 v1, 20, v1
	v_and_b32_e32 v20, 0x80000000, v20
	v_lshl_add_u32 v22, v22, 23, v0
	v_or3_b32 v1, v20, v22, v1
.LBB2_4134:                             ;   in Loop: Header=BB2_4004 Depth=3
	s_or_b64 exec, exec, s[70:71]
.LBB2_4135:                             ;   in Loop: Header=BB2_4004 Depth=3
	s_or_b64 exec, exec, s[68:69]
.LBB2_4136:                             ;   in Loop: Header=BB2_4004 Depth=3
	s_or_b64 exec, exec, s[30:31]
	v_add_f32_e32 v20, v21, v1
	v_and_b32_sdwa v1, v20, s91 dst_sel:DWORD dst_unused:UNUSED_PAD src0_sel:BYTE_3 src1_sel:DWORD
	v_and_b32_e32 v30, 0x7f800000, v20
	v_mov_b32_e32 v31, v61
	v_and_b32_e32 v60, 0x7fffff, v20
	v_or_b32_e32 v22, 0x7e, v1
	v_cmp_ne_u64_e64 s[28:29], s[54:55], v[30:31]
	s_and_saveexec_b64 s[30:31], s[28:29]
	s_xor_b64 s[68:69], exec, s[30:31]
	s_cbranch_execz .LBB2_4146
; %bb.4137:                             ;   in Loop: Header=BB2_4004 Depth=3
	v_and_b32_e32 v30, 0x7fffffff, v20
	v_mov_b32_e32 v31, v61
	v_cmp_gt_u64_e64 s[28:29], s[56:57], v[30:31]
	s_and_saveexec_b64 s[70:71], s[28:29]
	s_cbranch_execz .LBB2_4145
; %bb.4138:                             ;   in Loop: Header=BB2_4004 Depth=3
	v_cmp_ne_u32_e64 s[28:29], 0, v20
	v_mov_b32_e32 v22, 0
	s_and_saveexec_b64 s[72:73], s[28:29]
	s_cbranch_execz .LBB2_4144
; %bb.4139:                             ;   in Loop: Header=BB2_4004 Depth=3
	v_bfe_u32 v20, v20, 23, 8
	v_sub_u32_e32 v22, 0x79, v20
	v_cmp_gt_u32_e64 s[28:29], s93, v20
	v_add_u32_e32 v21, 0xffffff81, v20
	v_cndmask_b32_e64 v22, 0, v22, s[28:29]
	v_cmp_eq_u32_e64 s[28:29], 0, v20
	v_mov_b32_e32 v20, 0xffffff82
	v_cndmask_b32_e64 v31, v21, v20, s[28:29]
	v_mov_b32_e32 v20, 0x78
	v_or_b32_e32 v30, 0x800000, v60
	v_cndmask_b32_e64 v22, v22, v20, s[28:29]
	v_cndmask_b32_e64 v60, v30, v60, s[28:29]
	v_add_u32_e32 v20, 20, v22
	v_lshlrev_b64 v[20:21], v20, -1
	v_add_u32_e32 v30, 19, v22
	v_lshrrev_b64 v[34:35], v22, v[60:61]
	v_not_b32_e32 v21, v21
	v_not_b32_e32 v20, v20
	v_lshlrev_b64 v[32:33], v30, 1
	v_lshrrev_b32_e32 v30, 23, v34
	v_and_b32_e32 v21, 0, v21
	v_and_b32_e32 v20, v60, v20
	v_add3_u32 v31, v22, v31, v30
	v_bfe_u32 v22, v34, 20, 1
	v_add_u32_e32 v22, -1, v22
	v_cmp_eq_u64_e64 s[28:29], v[20:21], v[32:33]
	v_cndmask_b32_e64 v20, 0, v22, s[28:29]
	v_add_u32_e32 v20, v20, v34
	v_and_b32_e32 v20, 0xfffff, v20
	v_add_co_u32_e64 v20, s[28:29], v20, v34
	v_add_u32_e32 v30, 6, v31
	v_addc_co_u32_e64 v21, s[28:29], 0, v35, s[28:29]
	v_cmp_ne_u32_e64 s[28:29], 0, v30
                                        ; implicit-def: $vgpr22
	s_and_saveexec_b64 s[30:31], s[28:29]
	s_xor_b64 s[30:31], exec, s[30:31]
; %bb.4140:                             ;   in Loop: Header=BB2_4004 Depth=3
	v_add_u32_e32 v22, 7, v31
	v_cmp_lt_u64_e64 s[28:29], s[58:59], v[20:21]
	v_cndmask_b32_e64 v22, v30, v22, s[28:29]
	v_cndmask_b32_e64 v30, 0, 1, s[28:29]
	v_lshrrev_b64 v[20:21], v30, v[20:21]
; %bb.4141:                             ;   in Loop: Header=BB2_4004 Depth=3
	s_andn2_saveexec_b64 s[28:29], s[30:31]
; %bb.4142:                             ;   in Loop: Header=BB2_4004 Depth=3
	v_bfe_u32 v22, v20, 23, 1
; %bb.4143:                             ;   in Loop: Header=BB2_4004 Depth=3
	s_or_b64 exec, exec, s[28:29]
	v_lshrrev_b64 v[20:21], 20, v[20:21]
	v_cmp_gt_i32_e64 s[28:29], 16, v22
	v_cndmask_b32_e64 v21, 0, v21, s[28:29]
	v_cndmask_b32_e64 v20, 7, v20, s[28:29]
	v_cmp_eq_u64_e64 s[30:31], 0, v[20:21]
	v_min_i32_e32 v21, 15, v22
	v_cmp_eq_u32_e64 s[28:29], 0, v22
	v_lshlrev_b32_e32 v21, 3, v21
	v_and_or_b32 v20, v20, 7, v21
	s_and_b64 s[28:29], s[28:29], s[30:31]
	v_cndmask_b32_e64 v20, v20, 0, s[28:29]
	v_or_b32_e32 v22, v20, v1
.LBB2_4144:                             ;   in Loop: Header=BB2_4004 Depth=3
	s_or_b64 exec, exec, s[72:73]
.LBB2_4145:                             ;   in Loop: Header=BB2_4004 Depth=3
	s_or_b64 exec, exec, s[70:71]
                                        ; implicit-def: $vgpr20
.LBB2_4146:                             ;   in Loop: Header=BB2_4004 Depth=3
	s_andn2_saveexec_b64 s[30:31], s[68:69]
; %bb.4147:                             ;   in Loop: Header=BB2_4004 Depth=3
	v_or_b32_sdwa v1, v20, s92 dst_sel:DWORD dst_unused:UNUSED_PAD src0_sel:BYTE_3 src1_sel:DWORD
	v_cmp_eq_u64_e64 s[28:29], 0, v[60:61]
	v_cndmask_b32_e64 v22, v1, v22, s[28:29]
; %bb.4148:                             ;   in Loop: Header=BB2_4004 Depth=3
	s_or_b64 exec, exec, s[30:31]
	v_lshrrev_b32_e32 v20, 16, v13
	v_cmp_ne_u16_sdwa s[28:29], v20, v61 src0_sel:BYTE_0 src1_sel:DWORD
	v_mov_b32_e32 v1, 0
	v_mov_b32_e32 v21, 0
	s_and_saveexec_b64 s[30:31], s[28:29]
	s_cbranch_execz .LBB2_4154
; %bb.4149:                             ;   in Loop: Header=BB2_4004 Depth=3
	v_cmp_ne_u16_sdwa s[28:29], v20, s91 src0_sel:BYTE_0 src1_sel:DWORD
	v_bfrev_b32_e32 v21, 1
	s_and_saveexec_b64 s[68:69], s[28:29]
	s_cbranch_execz .LBB2_4153
; %bb.4150:                             ;   in Loop: Header=BB2_4004 Depth=3
	v_bfe_u32 v30, v13, 16, 7
	v_cmp_ne_u32_e64 s[28:29], s92, v30
	v_mov_b32_e32 v21, 0x7f800001
	s_and_saveexec_b64 s[70:71], s[28:29]
	s_cbranch_execz .LBB2_4152
; %bb.4151:                             ;   in Loop: Header=BB2_4004 Depth=3
	v_and_b32_e32 v21, 7, v20
	v_ffbh_u32_e32 v32, v21
	v_min_u32_e32 v34, 32, v32
	v_subrev_u32_e32 v32, 28, v34
	v_lshlrev_b64 v[32:33], v32, v[20:21]
	v_lshrrev_b32_e32 v31, 3, v30
	v_sub_u32_e32 v33, 29, v34
	v_and_b32_e32 v32, 7, v32
	v_cmp_gt_u32_e64 s[28:29], 8, v30
	v_cndmask_b32_e64 v30, v31, v33, s[28:29]
	v_cndmask_b32_e64 v21, v21, v32, s[28:29]
	v_lshlrev_b32_e32 v20, 24, v20
	v_lshlrev_b32_e32 v21, 20, v21
	v_and_b32_e32 v20, 0x80000000, v20
	v_lshl_add_u32 v30, v30, 23, v0
	v_or3_b32 v21, v20, v30, v21
.LBB2_4152:                             ;   in Loop: Header=BB2_4004 Depth=3
	s_or_b64 exec, exec, s[70:71]
.LBB2_4153:                             ;   in Loop: Header=BB2_4004 Depth=3
	s_or_b64 exec, exec, s[68:69]
.LBB2_4154:                             ;   in Loop: Header=BB2_4004 Depth=3
	s_or_b64 exec, exec, s[30:31]
	v_lshrrev_b32_e32 v20, 16, v9
	v_cmp_ne_u16_sdwa s[28:29], v20, v61 src0_sel:BYTE_0 src1_sel:DWORD
	s_and_saveexec_b64 s[30:31], s[28:29]
	s_cbranch_execz .LBB2_4160
; %bb.4155:                             ;   in Loop: Header=BB2_4004 Depth=3
	v_cmp_ne_u16_sdwa s[28:29], v20, s91 src0_sel:BYTE_0 src1_sel:DWORD
	v_bfrev_b32_e32 v1, 1
	s_and_saveexec_b64 s[68:69], s[28:29]
	s_cbranch_execz .LBB2_4159
; %bb.4156:                             ;   in Loop: Header=BB2_4004 Depth=3
	v_bfe_u32 v30, v9, 16, 7
	v_cmp_ne_u32_e64 s[28:29], s92, v30
	v_mov_b32_e32 v1, 0x7f800001
	s_and_saveexec_b64 s[70:71], s[28:29]
	s_cbranch_execz .LBB2_4158
; %bb.4157:                             ;   in Loop: Header=BB2_4004 Depth=3
	v_and_b32_e32 v1, 7, v20
	v_ffbh_u32_e32 v32, v1
	v_min_u32_e32 v34, 32, v32
	v_subrev_u32_e32 v32, 28, v34
	v_lshlrev_b64 v[32:33], v32, v[20:21]
	v_lshrrev_b32_e32 v31, 3, v30
	v_sub_u32_e32 v20, 29, v34
	v_and_b32_e32 v32, 7, v32
	v_cmp_gt_u32_e64 s[28:29], 8, v30
	v_cndmask_b32_e64 v20, v31, v20, s[28:29]
	v_cndmask_b32_e64 v1, v1, v32, s[28:29]
	v_lshlrev_b32_e32 v30, 8, v9
	v_lshlrev_b32_e32 v1, 20, v1
	v_and_b32_e32 v30, 0x80000000, v30
	v_lshl_add_u32 v20, v20, 23, v0
	v_or3_b32 v1, v30, v20, v1
.LBB2_4158:                             ;   in Loop: Header=BB2_4004 Depth=3
	s_or_b64 exec, exec, s[70:71]
.LBB2_4159:                             ;   in Loop: Header=BB2_4004 Depth=3
	s_or_b64 exec, exec, s[68:69]
.LBB2_4160:                             ;   in Loop: Header=BB2_4004 Depth=3
	s_or_b64 exec, exec, s[30:31]
	v_add_f32_e32 v21, v21, v1
	v_and_b32_sdwa v1, v21, s91 dst_sel:DWORD dst_unused:UNUSED_PAD src0_sel:BYTE_3 src1_sel:DWORD
	v_and_b32_e32 v30, 0x7f800000, v21
	v_mov_b32_e32 v31, v61
	v_and_b32_e32 v60, 0x7fffff, v21
	v_or_b32_e32 v20, 0x7e, v1
	v_cmp_ne_u64_e64 s[28:29], s[54:55], v[30:31]
	s_and_saveexec_b64 s[30:31], s[28:29]
	s_xor_b64 s[68:69], exec, s[30:31]
	s_cbranch_execz .LBB2_4170
; %bb.4161:                             ;   in Loop: Header=BB2_4004 Depth=3
	v_and_b32_e32 v30, 0x7fffffff, v21
	v_mov_b32_e32 v31, v61
	v_cmp_gt_u64_e64 s[28:29], s[56:57], v[30:31]
	s_and_saveexec_b64 s[70:71], s[28:29]
	s_cbranch_execz .LBB2_4169
; %bb.4162:                             ;   in Loop: Header=BB2_4004 Depth=3
	v_cmp_ne_u32_e64 s[28:29], 0, v21
	v_mov_b32_e32 v20, 0
	s_and_saveexec_b64 s[72:73], s[28:29]
	s_cbranch_execz .LBB2_4168
; %bb.4163:                             ;   in Loop: Header=BB2_4004 Depth=3
	v_bfe_u32 v20, v21, 23, 8
	v_sub_u32_e32 v30, 0x79, v20
	v_cmp_gt_u32_e64 s[28:29], s93, v20
	v_add_u32_e32 v21, 0xffffff81, v20
	v_cndmask_b32_e64 v30, 0, v30, s[28:29]
	v_cmp_eq_u32_e64 s[28:29], 0, v20
	v_mov_b32_e32 v20, 0xffffff82
	v_cndmask_b32_e64 v36, v21, v20, s[28:29]
	v_mov_b32_e32 v20, 0x78
	v_or_b32_e32 v31, 0x800000, v60
	v_cndmask_b32_e64 v30, v30, v20, s[28:29]
	v_cndmask_b32_e64 v60, v31, v60, s[28:29]
	v_add_u32_e32 v20, 20, v30
	v_lshlrev_b64 v[20:21], v20, -1
	v_add_u32_e32 v31, 19, v30
	v_lshrrev_b64 v[34:35], v30, v[60:61]
	v_not_b32_e32 v21, v21
	v_not_b32_e32 v20, v20
	v_lshlrev_b64 v[32:33], v31, 1
	v_lshrrev_b32_e32 v31, 23, v34
	v_and_b32_e32 v21, 0, v21
	v_and_b32_e32 v20, v60, v20
	v_add3_u32 v36, v30, v36, v31
	v_bfe_u32 v30, v34, 20, 1
	v_add_u32_e32 v30, -1, v30
	v_cmp_eq_u64_e64 s[28:29], v[20:21], v[32:33]
	v_cndmask_b32_e64 v20, 0, v30, s[28:29]
	v_add_u32_e32 v20, v20, v34
	v_and_b32_e32 v20, 0xfffff, v20
	v_add_co_u32_e64 v20, s[28:29], v20, v34
	v_add_u32_e32 v31, 6, v36
	v_addc_co_u32_e64 v21, s[28:29], 0, v35, s[28:29]
	v_cmp_ne_u32_e64 s[28:29], 0, v31
                                        ; implicit-def: $vgpr30
	s_and_saveexec_b64 s[30:31], s[28:29]
	s_xor_b64 s[30:31], exec, s[30:31]
; %bb.4164:                             ;   in Loop: Header=BB2_4004 Depth=3
	v_add_u32_e32 v30, 7, v36
	v_cmp_lt_u64_e64 s[28:29], s[58:59], v[20:21]
	v_cndmask_b32_e64 v30, v31, v30, s[28:29]
	v_cndmask_b32_e64 v31, 0, 1, s[28:29]
	v_lshrrev_b64 v[20:21], v31, v[20:21]
; %bb.4165:                             ;   in Loop: Header=BB2_4004 Depth=3
	s_andn2_saveexec_b64 s[28:29], s[30:31]
; %bb.4166:                             ;   in Loop: Header=BB2_4004 Depth=3
	v_bfe_u32 v30, v20, 23, 1
; %bb.4167:                             ;   in Loop: Header=BB2_4004 Depth=3
	s_or_b64 exec, exec, s[28:29]
	v_lshrrev_b64 v[20:21], 20, v[20:21]
	v_cmp_gt_i32_e64 s[28:29], 16, v30
	v_cndmask_b32_e64 v21, 0, v21, s[28:29]
	v_cndmask_b32_e64 v20, 7, v20, s[28:29]
	v_cmp_eq_u64_e64 s[30:31], 0, v[20:21]
	v_min_i32_e32 v21, 15, v30
	v_lshlrev_b32_e32 v21, 3, v21
	v_cmp_eq_u32_e64 s[28:29], 0, v30
	v_and_b32_e32 v21, 0xf8, v21
	v_and_or_b32 v20, v20, 7, v21
	s_and_b64 s[28:29], s[28:29], s[30:31]
	v_cndmask_b32_e64 v20, v20, 0, s[28:29]
	v_or_b32_e32 v20, v20, v1
.LBB2_4168:                             ;   in Loop: Header=BB2_4004 Depth=3
	s_or_b64 exec, exec, s[72:73]
.LBB2_4169:                             ;   in Loop: Header=BB2_4004 Depth=3
	s_or_b64 exec, exec, s[70:71]
                                        ; implicit-def: $vgpr21
.LBB2_4170:                             ;   in Loop: Header=BB2_4004 Depth=3
	s_andn2_saveexec_b64 s[30:31], s[68:69]
; %bb.4171:                             ;   in Loop: Header=BB2_4004 Depth=3
	v_or_b32_sdwa v1, v21, s92 dst_sel:DWORD dst_unused:UNUSED_PAD src0_sel:BYTE_3 src1_sel:DWORD
	v_cmp_eq_u64_e64 s[28:29], 0, v[60:61]
	v_cndmask_b32_e64 v20, v1, v20, s[28:29]
; %bb.4172:                             ;   in Loop: Header=BB2_4004 Depth=3
	s_or_b64 exec, exec, s[30:31]
	v_cmp_lt_u64_e64 s[28:29], s[44:45], v[12:13]
	v_mov_b32_e32 v1, 0
	v_mov_b32_e32 v21, 0
	s_and_saveexec_b64 s[30:31], s[28:29]
	s_cbranch_execz .LBB2_4178
; %bb.4173:                             ;   in Loop: Header=BB2_4004 Depth=3
	v_lshrrev_b32_e32 v12, 24, v13
	v_cmp_ne_u32_e64 s[28:29], s91, v12
	v_bfrev_b32_e32 v21, 1
	s_and_saveexec_b64 s[68:69], s[28:29]
	s_cbranch_execz .LBB2_4177
; %bb.4174:                             ;   in Loop: Header=BB2_4004 Depth=3
	v_bfe_u32 v13, v13, 24, 7
	v_cmp_ne_u32_e64 s[28:29], s92, v13
	v_mov_b32_e32 v21, 0x7f800001
	s_and_saveexec_b64 s[70:71], s[28:29]
	s_cbranch_execz .LBB2_4176
; %bb.4175:                             ;   in Loop: Header=BB2_4004 Depth=3
	v_and_b32_e32 v21, 7, v12
	v_ffbh_u32_e32 v30, v21
	v_min_u32_e32 v33, 32, v30
	v_subrev_u32_e32 v30, 28, v33
	v_lshlrev_b64 v[30:31], v30, v[12:13]
	v_lshrrev_b32_e32 v32, 3, v13
	v_sub_u32_e32 v31, 29, v33
	v_and_b32_e32 v30, 7, v30
	v_cmp_gt_u32_e64 s[28:29], 8, v13
	v_cndmask_b32_e64 v13, v32, v31, s[28:29]
	v_cndmask_b32_e64 v21, v21, v30, s[28:29]
	v_lshlrev_b32_e32 v12, 24, v12
	v_lshlrev_b32_e32 v21, 20, v21
	v_and_b32_e32 v12, 0x80000000, v12
	v_lshl_add_u32 v13, v13, 23, v0
	v_or3_b32 v21, v12, v13, v21
.LBB2_4176:                             ;   in Loop: Header=BB2_4004 Depth=3
	s_or_b64 exec, exec, s[70:71]
.LBB2_4177:                             ;   in Loop: Header=BB2_4004 Depth=3
	s_or_b64 exec, exec, s[68:69]
.LBB2_4178:                             ;   in Loop: Header=BB2_4004 Depth=3
	s_or_b64 exec, exec, s[30:31]
	v_cmp_lt_u64_e64 s[28:29], s[44:45], v[8:9]
	s_and_saveexec_b64 s[30:31], s[28:29]
	s_cbranch_execz .LBB2_4184
; %bb.4179:                             ;   in Loop: Header=BB2_4004 Depth=3
	v_lshrrev_b32_e32 v8, 24, v9
	v_cmp_ne_u32_e64 s[28:29], s91, v8
	v_bfrev_b32_e32 v1, 1
	s_and_saveexec_b64 s[68:69], s[28:29]
	s_cbranch_execz .LBB2_4183
; %bb.4180:                             ;   in Loop: Header=BB2_4004 Depth=3
	v_bfe_u32 v9, v9, 24, 7
	v_cmp_ne_u32_e64 s[28:29], s92, v9
	v_mov_b32_e32 v1, 0x7f800001
	s_and_saveexec_b64 s[70:71], s[28:29]
	s_cbranch_execz .LBB2_4182
; %bb.4181:                             ;   in Loop: Header=BB2_4004 Depth=3
	v_and_b32_e32 v1, 7, v8
	v_ffbh_u32_e32 v12, v1
	v_min_u32_e32 v31, 32, v12
	v_subrev_u32_e32 v12, 28, v31
	v_lshlrev_b64 v[12:13], v12, v[8:9]
	v_lshrrev_b32_e32 v30, 3, v9
	v_sub_u32_e32 v13, 29, v31
	v_and_b32_e32 v12, 7, v12
	v_cmp_gt_u32_e64 s[28:29], 8, v9
	v_cndmask_b32_e64 v9, v30, v13, s[28:29]
	v_cndmask_b32_e64 v1, v1, v12, s[28:29]
	v_lshlrev_b32_e32 v8, 24, v8
	v_lshlrev_b32_e32 v1, 20, v1
	v_and_b32_e32 v8, 0x80000000, v8
	v_lshl_add_u32 v9, v9, 23, v0
	v_or3_b32 v1, v8, v9, v1
.LBB2_4182:                             ;   in Loop: Header=BB2_4004 Depth=3
	s_or_b64 exec, exec, s[70:71]
.LBB2_4183:                             ;   in Loop: Header=BB2_4004 Depth=3
	s_or_b64 exec, exec, s[68:69]
.LBB2_4184:                             ;   in Loop: Header=BB2_4004 Depth=3
	s_or_b64 exec, exec, s[30:31]
	v_add_f32_e32 v8, v21, v1
	v_and_b32_sdwa v1, v8, s91 dst_sel:DWORD dst_unused:UNUSED_PAD src0_sel:BYTE_3 src1_sel:DWORD
	v_and_b32_e32 v30, 0x7f800000, v8
	v_mov_b32_e32 v31, v61
	v_and_b32_e32 v60, 0x7fffff, v8
	v_or_b32_e32 v13, 0x7e, v1
	v_cmp_ne_u64_e64 s[28:29], s[54:55], v[30:31]
	s_and_saveexec_b64 s[30:31], s[28:29]
	s_xor_b64 s[68:69], exec, s[30:31]
	s_cbranch_execz .LBB2_4194
; %bb.4185:                             ;   in Loop: Header=BB2_4004 Depth=3
	v_and_b32_e32 v30, 0x7fffffff, v8
	v_mov_b32_e32 v31, v61
	v_cmp_gt_u64_e64 s[28:29], s[56:57], v[30:31]
	s_and_saveexec_b64 s[70:71], s[28:29]
	s_cbranch_execz .LBB2_4193
; %bb.4186:                             ;   in Loop: Header=BB2_4004 Depth=3
	v_cmp_ne_u32_e64 s[28:29], 0, v8
	v_mov_b32_e32 v13, 0
	s_and_saveexec_b64 s[72:73], s[28:29]
	s_cbranch_execz .LBB2_4192
; %bb.4187:                             ;   in Loop: Header=BB2_4004 Depth=3
	v_bfe_u32 v8, v8, 23, 8
	v_sub_u32_e32 v12, 0x79, v8
	v_cmp_gt_u32_e64 s[28:29], s93, v8
	v_add_u32_e32 v9, 0xffffff81, v8
	v_cndmask_b32_e64 v12, 0, v12, s[28:29]
	v_cmp_eq_u32_e64 s[28:29], 0, v8
	v_mov_b32_e32 v8, 0xffffff82
	v_cndmask_b32_e64 v21, v9, v8, s[28:29]
	v_mov_b32_e32 v8, 0x78
	v_or_b32_e32 v13, 0x800000, v60
	v_cndmask_b32_e64 v12, v12, v8, s[28:29]
	v_cndmask_b32_e64 v60, v13, v60, s[28:29]
	v_add_u32_e32 v8, 20, v12
	v_lshlrev_b64 v[8:9], v8, -1
	v_add_u32_e32 v13, 19, v12
	v_lshrrev_b64 v[32:33], v12, v[60:61]
	v_not_b32_e32 v9, v9
	v_not_b32_e32 v8, v8
	v_lshlrev_b64 v[30:31], v13, 1
	v_lshrrev_b32_e32 v13, 23, v32
	v_and_b32_e32 v9, 0, v9
	v_and_b32_e32 v8, v60, v8
	v_add3_u32 v21, v12, v21, v13
	v_bfe_u32 v12, v32, 20, 1
	v_add_u32_e32 v12, -1, v12
	v_cmp_eq_u64_e64 s[28:29], v[8:9], v[30:31]
	v_cndmask_b32_e64 v8, 0, v12, s[28:29]
	v_add_u32_e32 v8, v8, v32
	v_and_b32_e32 v8, 0xfffff, v8
	v_add_co_u32_e64 v8, s[28:29], v8, v32
	v_add_u32_e32 v13, 6, v21
	v_addc_co_u32_e64 v9, s[28:29], 0, v33, s[28:29]
	v_cmp_ne_u32_e64 s[28:29], 0, v13
                                        ; implicit-def: $vgpr12
	s_and_saveexec_b64 s[30:31], s[28:29]
	s_xor_b64 s[30:31], exec, s[30:31]
; %bb.4188:                             ;   in Loop: Header=BB2_4004 Depth=3
	v_add_u32_e32 v12, 7, v21
	v_cmp_lt_u64_e64 s[28:29], s[58:59], v[8:9]
	v_cndmask_b32_e64 v12, v13, v12, s[28:29]
	v_cndmask_b32_e64 v13, 0, 1, s[28:29]
	v_lshrrev_b64 v[8:9], v13, v[8:9]
; %bb.4189:                             ;   in Loop: Header=BB2_4004 Depth=3
	s_andn2_saveexec_b64 s[28:29], s[30:31]
; %bb.4190:                             ;   in Loop: Header=BB2_4004 Depth=3
	v_bfe_u32 v12, v8, 23, 1
; %bb.4191:                             ;   in Loop: Header=BB2_4004 Depth=3
	s_or_b64 exec, exec, s[28:29]
	v_lshrrev_b64 v[8:9], 20, v[8:9]
	v_cmp_gt_i32_e64 s[28:29], 16, v12
	v_cndmask_b32_e64 v9, 0, v9, s[28:29]
	v_cndmask_b32_e64 v8, 7, v8, s[28:29]
	v_cmp_eq_u64_e64 s[30:31], 0, v[8:9]
	v_min_i32_e32 v9, 15, v12
	v_lshlrev_b32_e32 v9, 3, v9
	v_cmp_eq_u32_e64 s[28:29], 0, v12
	v_and_b32_e32 v9, 0xf8, v9
	v_and_or_b32 v8, v8, 7, v9
	s_and_b64 s[28:29], s[28:29], s[30:31]
	v_cndmask_b32_e64 v8, v8, 0, s[28:29]
	v_or_b32_e32 v13, v8, v1
.LBB2_4192:                             ;   in Loop: Header=BB2_4004 Depth=3
	s_or_b64 exec, exec, s[72:73]
.LBB2_4193:                             ;   in Loop: Header=BB2_4004 Depth=3
	s_or_b64 exec, exec, s[70:71]
                                        ; implicit-def: $vgpr8
.LBB2_4194:                             ;   in Loop: Header=BB2_4004 Depth=3
	s_andn2_saveexec_b64 s[30:31], s[68:69]
; %bb.4195:                             ;   in Loop: Header=BB2_4004 Depth=3
	v_or_b32_sdwa v1, v8, s92 dst_sel:DWORD dst_unused:UNUSED_PAD src0_sel:BYTE_3 src1_sel:DWORD
	v_cmp_eq_u64_e64 s[28:29], 0, v[60:61]
	v_cndmask_b32_e64 v13, v1, v13, s[28:29]
; %bb.4196:                             ;   in Loop: Header=BB2_4004 Depth=3
	s_or_b64 exec, exec, s[30:31]
	v_cmp_ne_u16_sdwa s[28:29], v14, v61 src0_sel:BYTE_0 src1_sel:DWORD
	v_mov_b32_e32 v1, 0
	v_mov_b32_e32 v8, 0
	s_and_saveexec_b64 s[30:31], s[28:29]
	s_cbranch_execz .LBB2_4202
; %bb.4197:                             ;   in Loop: Header=BB2_4004 Depth=3
	v_cmp_ne_u16_sdwa s[28:29], v14, s91 src0_sel:BYTE_0 src1_sel:DWORD
	v_bfrev_b32_e32 v8, 1
	s_and_saveexec_b64 s[68:69], s[28:29]
	s_cbranch_execz .LBB2_4201
; %bb.4198:                             ;   in Loop: Header=BB2_4004 Depth=3
	v_and_b32_e32 v9, 0x7f, v14
	v_cmp_ne_u32_e64 s[28:29], s92, v9
	v_mov_b32_e32 v8, 0x7f800001
	s_and_saveexec_b64 s[70:71], s[28:29]
	s_cbranch_execz .LBB2_4200
; %bb.4199:                             ;   in Loop: Header=BB2_4004 Depth=3
	v_and_b32_e32 v8, 7, v14
	v_ffbh_u32_e32 v8, v8
	v_min_u32_e32 v8, 32, v8
	v_lshrrev_b32_e32 v12, 3, v9
	v_subrev_u32_e32 v21, 28, v8
	v_sub_u32_e32 v8, 29, v8
	v_cmp_gt_u32_e64 s[28:29], 8, v9
	v_cndmask_b32_e64 v12, v12, v8, s[28:29]
	v_cndmask_b32_e64 v8, 0, v21, s[28:29]
	v_lshlrev_b64 v[8:9], v8, v[14:15]
	v_lshlrev_b32_e32 v8, 20, v8
	v_lshlrev_b32_e32 v9, 24, v14
	v_and_b32_e32 v8, 0x700000, v8
	v_and_b32_e32 v9, 0x80000000, v9
	v_lshl_add_u32 v12, v12, 23, v0
	v_or3_b32 v8, v9, v12, v8
.LBB2_4200:                             ;   in Loop: Header=BB2_4004 Depth=3
	s_or_b64 exec, exec, s[70:71]
.LBB2_4201:                             ;   in Loop: Header=BB2_4004 Depth=3
	s_or_b64 exec, exec, s[68:69]
.LBB2_4202:                             ;   in Loop: Header=BB2_4004 Depth=3
	s_or_b64 exec, exec, s[30:31]
	v_cmp_ne_u16_sdwa s[28:29], v10, v61 src0_sel:BYTE_0 src1_sel:DWORD
	s_and_saveexec_b64 s[30:31], s[28:29]
	s_cbranch_execz .LBB2_4208
; %bb.4203:                             ;   in Loop: Header=BB2_4004 Depth=3
	v_cmp_ne_u16_sdwa s[28:29], v10, s91 src0_sel:BYTE_0 src1_sel:DWORD
	v_bfrev_b32_e32 v1, 1
	s_and_saveexec_b64 s[68:69], s[28:29]
	s_cbranch_execz .LBB2_4207
; %bb.4204:                             ;   in Loop: Header=BB2_4004 Depth=3
	v_and_b32_e32 v9, 0x7f, v10
	v_cmp_ne_u32_e64 s[28:29], s92, v9
	v_mov_b32_e32 v1, 0x7f800001
	s_and_saveexec_b64 s[70:71], s[28:29]
	s_cbranch_execz .LBB2_4206
; %bb.4205:                             ;   in Loop: Header=BB2_4004 Depth=3
	v_and_b32_e32 v1, 7, v10
	v_ffbh_u32_e32 v1, v1
	v_min_u32_e32 v1, 32, v1
	v_subrev_u32_e32 v21, 28, v1
	v_cmp_gt_u32_e64 s[28:29], 8, v9
	v_lshrrev_b32_e32 v12, 3, v9
	v_cndmask_b32_e64 v9, 0, v21, s[28:29]
	v_sub_u32_e32 v1, 29, v1
	v_lshlrev_b64 v[30:31], v9, v[10:11]
	v_cndmask_b32_e64 v1, v12, v1, s[28:29]
	v_lshlrev_b32_e32 v9, 20, v30
	v_lshlrev_b32_e32 v12, 24, v10
	v_and_b32_e32 v9, 0x700000, v9
	v_and_b32_e32 v12, 0x80000000, v12
	v_lshl_add_u32 v1, v1, 23, v0
	v_or3_b32 v1, v12, v1, v9
.LBB2_4206:                             ;   in Loop: Header=BB2_4004 Depth=3
	s_or_b64 exec, exec, s[70:71]
.LBB2_4207:                             ;   in Loop: Header=BB2_4004 Depth=3
	s_or_b64 exec, exec, s[68:69]
.LBB2_4208:                             ;   in Loop: Header=BB2_4004 Depth=3
	s_or_b64 exec, exec, s[30:31]
	v_add_f32_e32 v8, v8, v1
	v_and_b32_sdwa v1, v8, s91 dst_sel:DWORD dst_unused:UNUSED_PAD src0_sel:BYTE_3 src1_sel:DWORD
	v_and_b32_e32 v30, 0x7f800000, v8
	v_mov_b32_e32 v31, v61
	v_and_b32_e32 v60, 0x7fffff, v8
	v_or_b32_e32 v21, 0x7e, v1
	v_cmp_ne_u64_e64 s[28:29], s[54:55], v[30:31]
	s_and_saveexec_b64 s[30:31], s[28:29]
	s_xor_b64 s[68:69], exec, s[30:31]
	s_cbranch_execz .LBB2_4218
; %bb.4209:                             ;   in Loop: Header=BB2_4004 Depth=3
	v_and_b32_e32 v30, 0x7fffffff, v8
	v_mov_b32_e32 v31, v61
	v_cmp_gt_u64_e64 s[28:29], s[56:57], v[30:31]
	s_and_saveexec_b64 s[70:71], s[28:29]
	s_cbranch_execz .LBB2_4217
; %bb.4210:                             ;   in Loop: Header=BB2_4004 Depth=3
	v_cmp_ne_u32_e64 s[28:29], 0, v8
	v_mov_b32_e32 v21, 0
	s_and_saveexec_b64 s[72:73], s[28:29]
	s_cbranch_execz .LBB2_4216
; %bb.4211:                             ;   in Loop: Header=BB2_4004 Depth=3
	v_bfe_u32 v8, v8, 23, 8
	v_sub_u32_e32 v12, 0x79, v8
	v_cmp_gt_u32_e64 s[28:29], s93, v8
	v_add_u32_e32 v9, 0xffffff81, v8
	v_cndmask_b32_e64 v12, 0, v12, s[28:29]
	v_cmp_eq_u32_e64 s[28:29], 0, v8
	v_mov_b32_e32 v8, 0xffffff82
	v_cndmask_b32_e64 v30, v9, v8, s[28:29]
	v_mov_b32_e32 v8, 0x78
	v_or_b32_e32 v21, 0x800000, v60
	v_cndmask_b32_e64 v12, v12, v8, s[28:29]
	v_cndmask_b32_e64 v60, v21, v60, s[28:29]
	v_add_u32_e32 v8, 20, v12
	v_lshlrev_b64 v[8:9], v8, -1
	v_add_u32_e32 v21, 19, v12
	v_lshrrev_b64 v[34:35], v12, v[60:61]
	v_not_b32_e32 v9, v9
	v_not_b32_e32 v8, v8
	v_lshlrev_b64 v[32:33], v21, 1
	v_lshrrev_b32_e32 v21, 23, v34
	v_and_b32_e32 v9, 0, v9
	v_and_b32_e32 v8, v60, v8
	v_add3_u32 v30, v12, v30, v21
	v_bfe_u32 v12, v34, 20, 1
	v_add_u32_e32 v12, -1, v12
	v_cmp_eq_u64_e64 s[28:29], v[8:9], v[32:33]
	v_cndmask_b32_e64 v8, 0, v12, s[28:29]
	v_add_u32_e32 v8, v8, v34
	v_and_b32_e32 v8, 0xfffff, v8
	v_add_co_u32_e64 v8, s[28:29], v8, v34
	v_add_u32_e32 v21, 6, v30
	v_addc_co_u32_e64 v9, s[28:29], 0, v35, s[28:29]
	v_cmp_ne_u32_e64 s[28:29], 0, v21
                                        ; implicit-def: $vgpr12
	s_and_saveexec_b64 s[30:31], s[28:29]
	s_xor_b64 s[30:31], exec, s[30:31]
; %bb.4212:                             ;   in Loop: Header=BB2_4004 Depth=3
	v_add_u32_e32 v12, 7, v30
	v_cmp_lt_u64_e64 s[28:29], s[58:59], v[8:9]
	v_cndmask_b32_e64 v12, v21, v12, s[28:29]
	v_cndmask_b32_e64 v21, 0, 1, s[28:29]
	v_lshrrev_b64 v[8:9], v21, v[8:9]
; %bb.4213:                             ;   in Loop: Header=BB2_4004 Depth=3
	s_andn2_saveexec_b64 s[28:29], s[30:31]
; %bb.4214:                             ;   in Loop: Header=BB2_4004 Depth=3
	v_bfe_u32 v12, v8, 23, 1
; %bb.4215:                             ;   in Loop: Header=BB2_4004 Depth=3
	s_or_b64 exec, exec, s[28:29]
	v_lshrrev_b64 v[8:9], 20, v[8:9]
	v_cmp_gt_i32_e64 s[28:29], 16, v12
	v_cndmask_b32_e64 v9, 0, v9, s[28:29]
	v_cndmask_b32_e64 v8, 7, v8, s[28:29]
	v_cmp_eq_u64_e64 s[30:31], 0, v[8:9]
	v_min_i32_e32 v9, 15, v12
	v_cmp_eq_u32_e64 s[28:29], 0, v12
	v_lshlrev_b32_e32 v9, 3, v9
	v_and_or_b32 v8, v8, 7, v9
	s_and_b64 s[28:29], s[28:29], s[30:31]
	v_cndmask_b32_e64 v8, v8, 0, s[28:29]
	v_or_b32_e32 v21, v8, v1
.LBB2_4216:                             ;   in Loop: Header=BB2_4004 Depth=3
	s_or_b64 exec, exec, s[72:73]
.LBB2_4217:                             ;   in Loop: Header=BB2_4004 Depth=3
	s_or_b64 exec, exec, s[70:71]
                                        ; implicit-def: $vgpr8
.LBB2_4218:                             ;   in Loop: Header=BB2_4004 Depth=3
	s_andn2_saveexec_b64 s[30:31], s[68:69]
; %bb.4219:                             ;   in Loop: Header=BB2_4004 Depth=3
	v_or_b32_sdwa v1, v8, s92 dst_sel:DWORD dst_unused:UNUSED_PAD src0_sel:BYTE_3 src1_sel:DWORD
	v_cmp_eq_u64_e64 s[28:29], 0, v[60:61]
	v_cndmask_b32_e64 v21, v1, v21, s[28:29]
; %bb.4220:                             ;   in Loop: Header=BB2_4004 Depth=3
	s_or_b64 exec, exec, s[30:31]
	v_lshrrev_b16_e32 v8, 8, v14
	v_cmp_ne_u16_e64 s[28:29], 0, v8
	v_mov_b32_e32 v1, 0
	v_mov_b32_e32 v9, 0
	s_and_saveexec_b64 s[30:31], s[28:29]
	s_cbranch_execz .LBB2_4226
; %bb.4221:                             ;   in Loop: Header=BB2_4004 Depth=3
	v_cmp_ne_u16_e64 s[28:29], s91, v8
	v_bfrev_b32_e32 v9, 1
	s_and_saveexec_b64 s[68:69], s[28:29]
	s_cbranch_execz .LBB2_4225
; %bb.4222:                             ;   in Loop: Header=BB2_4004 Depth=3
	v_and_b32_e32 v12, 0x7f, v8
	v_cmp_ne_u32_e64 s[28:29], s92, v12
	v_mov_b32_e32 v9, 0x7f800001
	s_and_saveexec_b64 s[70:71], s[28:29]
	s_cbranch_execz .LBB2_4224
; %bb.4223:                             ;   in Loop: Header=BB2_4004 Depth=3
	v_and_b32_e32 v30, 7, v8
	v_ffbh_u32_e32 v9, v30
	v_min_u32_e32 v32, 32, v9
	v_subrev_u32_e32 v9, 28, v32
	v_lshlrev_b64 v[8:9], v9, v[8:9]
	v_lshrrev_b32_e32 v31, 3, v12
	v_sub_u32_e32 v9, 29, v32
	v_and_b32_e32 v8, 7, v8
	v_cmp_gt_u32_e64 s[28:29], 8, v12
	v_cndmask_b32_e64 v9, v31, v9, s[28:29]
	v_cndmask_b32_e64 v8, v30, v8, s[28:29]
	v_lshlrev_b32_e32 v12, 16, v14
	v_lshlrev_b32_e32 v8, 20, v8
	v_and_b32_e32 v12, 0x80000000, v12
	v_lshl_add_u32 v9, v9, 23, v0
	v_or3_b32 v9, v12, v9, v8
.LBB2_4224:                             ;   in Loop: Header=BB2_4004 Depth=3
	s_or_b64 exec, exec, s[70:71]
.LBB2_4225:                             ;   in Loop: Header=BB2_4004 Depth=3
	s_or_b64 exec, exec, s[68:69]
.LBB2_4226:                             ;   in Loop: Header=BB2_4004 Depth=3
	s_or_b64 exec, exec, s[30:31]
	v_lshrrev_b16_e32 v8, 8, v10
	v_cmp_ne_u16_e64 s[28:29], 0, v8
	s_and_saveexec_b64 s[30:31], s[28:29]
	s_cbranch_execz .LBB2_4232
; %bb.4227:                             ;   in Loop: Header=BB2_4004 Depth=3
	v_cmp_ne_u16_e64 s[28:29], s91, v8
	v_bfrev_b32_e32 v1, 1
	s_and_saveexec_b64 s[68:69], s[28:29]
	s_cbranch_execz .LBB2_4231
; %bb.4228:                             ;   in Loop: Header=BB2_4004 Depth=3
	v_and_b32_e32 v12, 0x7f, v8
	v_cmp_ne_u32_e64 s[28:29], s92, v12
	v_mov_b32_e32 v1, 0x7f800001
	s_and_saveexec_b64 s[70:71], s[28:29]
	s_cbranch_execz .LBB2_4230
; %bb.4229:                             ;   in Loop: Header=BB2_4004 Depth=3
	v_and_b32_e32 v1, 7, v8
	v_ffbh_u32_e32 v30, v1
	v_min_u32_e32 v33, 32, v30
	v_subrev_u32_e32 v30, 28, v33
	v_lshlrev_b64 v[30:31], v30, v[8:9]
	v_lshrrev_b32_e32 v32, 3, v12
	v_sub_u32_e32 v8, 29, v33
	v_and_b32_e32 v30, 7, v30
	v_cmp_gt_u32_e64 s[28:29], 8, v12
	v_cndmask_b32_e64 v8, v32, v8, s[28:29]
	v_cndmask_b32_e64 v1, v1, v30, s[28:29]
	v_lshlrev_b32_e32 v12, 16, v10
	v_lshlrev_b32_e32 v1, 20, v1
	v_and_b32_e32 v12, 0x80000000, v12
	v_lshl_add_u32 v8, v8, 23, v0
	v_or3_b32 v1, v12, v8, v1
.LBB2_4230:                             ;   in Loop: Header=BB2_4004 Depth=3
	s_or_b64 exec, exec, s[70:71]
.LBB2_4231:                             ;   in Loop: Header=BB2_4004 Depth=3
	s_or_b64 exec, exec, s[68:69]
.LBB2_4232:                             ;   in Loop: Header=BB2_4004 Depth=3
	s_or_b64 exec, exec, s[30:31]
	v_add_f32_e32 v8, v9, v1
	v_and_b32_sdwa v12, v8, s91 dst_sel:DWORD dst_unused:UNUSED_PAD src0_sel:BYTE_3 src1_sel:DWORD
	v_and_b32_e32 v30, 0x7f800000, v8
	v_mov_b32_e32 v31, v61
	v_and_b32_e32 v60, 0x7fffff, v8
	v_or_b32_e32 v1, 0x7e, v12
	v_cmp_ne_u64_e64 s[28:29], s[54:55], v[30:31]
	s_and_saveexec_b64 s[30:31], s[28:29]
	s_xor_b64 s[68:69], exec, s[30:31]
	s_cbranch_execz .LBB2_4242
; %bb.4233:                             ;   in Loop: Header=BB2_4004 Depth=3
	v_and_b32_e32 v30, 0x7fffffff, v8
	v_mov_b32_e32 v31, v61
	v_cmp_gt_u64_e64 s[28:29], s[56:57], v[30:31]
	s_and_saveexec_b64 s[70:71], s[28:29]
	s_cbranch_execz .LBB2_4241
; %bb.4234:                             ;   in Loop: Header=BB2_4004 Depth=3
	v_cmp_ne_u32_e64 s[28:29], 0, v8
	v_mov_b32_e32 v1, 0
	s_and_saveexec_b64 s[72:73], s[28:29]
	s_cbranch_execz .LBB2_4240
; %bb.4235:                             ;   in Loop: Header=BB2_4004 Depth=3
	v_bfe_u32 v1, v8, 23, 8
	v_sub_u32_e32 v9, 0x79, v1
	v_cmp_gt_u32_e64 s[28:29], s93, v1
	v_add_u32_e32 v8, 0xffffff81, v1
	v_cndmask_b32_e64 v9, 0, v9, s[28:29]
	v_cmp_eq_u32_e64 s[28:29], 0, v1
	v_mov_b32_e32 v1, 0xffffff82
	v_cndmask_b32_e64 v1, v8, v1, s[28:29]
	v_mov_b32_e32 v8, 0x78
	v_or_b32_e32 v30, 0x800000, v60
	v_cndmask_b32_e64 v31, v9, v8, s[28:29]
	v_cndmask_b32_e64 v60, v30, v60, s[28:29]
	v_add_u32_e32 v8, 20, v31
	v_lshlrev_b64 v[8:9], v8, -1
	v_add_u32_e32 v30, 19, v31
	v_lshrrev_b64 v[34:35], v31, v[60:61]
	v_not_b32_e32 v9, v9
	v_not_b32_e32 v8, v8
	v_lshlrev_b64 v[32:33], v30, 1
	v_lshrrev_b32_e32 v30, 23, v34
	v_and_b32_e32 v9, 0, v9
	v_and_b32_e32 v8, v60, v8
	v_add3_u32 v31, v31, v1, v30
	v_bfe_u32 v1, v34, 20, 1
	v_add_u32_e32 v1, -1, v1
	v_cmp_eq_u64_e64 s[28:29], v[8:9], v[32:33]
	v_cndmask_b32_e64 v1, 0, v1, s[28:29]
	v_add_u32_e32 v1, v1, v34
	v_and_b32_e32 v1, 0xfffff, v1
	v_add_co_u32_e64 v8, s[28:29], v1, v34
	v_add_u32_e32 v30, 6, v31
	v_addc_co_u32_e64 v9, s[28:29], 0, v35, s[28:29]
	v_cmp_ne_u32_e64 s[28:29], 0, v30
                                        ; implicit-def: $vgpr1
	s_and_saveexec_b64 s[30:31], s[28:29]
	s_xor_b64 s[30:31], exec, s[30:31]
; %bb.4236:                             ;   in Loop: Header=BB2_4004 Depth=3
	v_add_u32_e32 v1, 7, v31
	v_cmp_lt_u64_e64 s[28:29], s[58:59], v[8:9]
	v_cndmask_b32_e64 v1, v30, v1, s[28:29]
	v_cndmask_b32_e64 v30, 0, 1, s[28:29]
	v_lshrrev_b64 v[8:9], v30, v[8:9]
; %bb.4237:                             ;   in Loop: Header=BB2_4004 Depth=3
	s_andn2_saveexec_b64 s[28:29], s[30:31]
; %bb.4238:                             ;   in Loop: Header=BB2_4004 Depth=3
	v_bfe_u32 v1, v8, 23, 1
; %bb.4239:                             ;   in Loop: Header=BB2_4004 Depth=3
	s_or_b64 exec, exec, s[28:29]
	v_lshrrev_b64 v[8:9], 20, v[8:9]
	v_cmp_gt_i32_e64 s[28:29], 16, v1
	v_cndmask_b32_e64 v9, 0, v9, s[28:29]
	v_cndmask_b32_e64 v8, 7, v8, s[28:29]
	v_cmp_eq_u32_e64 s[28:29], 0, v1
	v_min_i32_e32 v1, 15, v1
	v_cmp_eq_u64_e64 s[30:31], 0, v[8:9]
	v_lshlrev_b32_e32 v1, 3, v1
	v_and_or_b32 v1, v8, 7, v1
	s_and_b64 s[28:29], s[28:29], s[30:31]
	v_cndmask_b32_e64 v1, v1, 0, s[28:29]
	v_or_b32_e32 v1, v1, v12
.LBB2_4240:                             ;   in Loop: Header=BB2_4004 Depth=3
	s_or_b64 exec, exec, s[72:73]
.LBB2_4241:                             ;   in Loop: Header=BB2_4004 Depth=3
	s_or_b64 exec, exec, s[70:71]
                                        ; implicit-def: $vgpr8
.LBB2_4242:                             ;   in Loop: Header=BB2_4004 Depth=3
	s_andn2_saveexec_b64 s[30:31], s[68:69]
; %bb.4243:                             ;   in Loop: Header=BB2_4004 Depth=3
	v_or_b32_sdwa v8, v8, s92 dst_sel:DWORD dst_unused:UNUSED_PAD src0_sel:BYTE_3 src1_sel:DWORD
	v_cmp_eq_u64_e64 s[28:29], 0, v[60:61]
	v_cndmask_b32_e64 v1, v8, v1, s[28:29]
; %bb.4244:                             ;   in Loop: Header=BB2_4004 Depth=3
	s_or_b64 exec, exec, s[30:31]
	v_lshrrev_b32_e32 v8, 16, v14
	v_cmp_ne_u16_sdwa s[28:29], v8, v61 src0_sel:BYTE_0 src1_sel:DWORD
	v_mov_b32_e32 v9, 0
	v_mov_b32_e32 v12, 0
	s_and_saveexec_b64 s[30:31], s[28:29]
	s_cbranch_execz .LBB2_4250
; %bb.4245:                             ;   in Loop: Header=BB2_4004 Depth=3
	v_cmp_ne_u16_sdwa s[28:29], v8, s91 src0_sel:BYTE_0 src1_sel:DWORD
	v_bfrev_b32_e32 v12, 1
	s_and_saveexec_b64 s[68:69], s[28:29]
	s_cbranch_execz .LBB2_4249
; %bb.4246:                             ;   in Loop: Header=BB2_4004 Depth=3
	v_bfe_u32 v30, v14, 16, 7
	v_cmp_ne_u32_e64 s[28:29], s92, v30
	v_mov_b32_e32 v12, 0x7f800001
	s_and_saveexec_b64 s[70:71], s[28:29]
	s_cbranch_execz .LBB2_4248
; %bb.4247:                             ;   in Loop: Header=BB2_4004 Depth=3
	v_and_b32_e32 v12, 7, v8
	v_ffbh_u32_e32 v32, v12
	v_min_u32_e32 v34, 32, v32
	v_subrev_u32_e32 v32, 28, v34
	v_lshlrev_b64 v[32:33], v32, v[8:9]
	v_lshrrev_b32_e32 v31, 3, v30
	v_sub_u32_e32 v33, 29, v34
	v_and_b32_e32 v32, 7, v32
	v_cmp_gt_u32_e64 s[28:29], 8, v30
	v_cndmask_b32_e64 v30, v31, v33, s[28:29]
	v_cndmask_b32_e64 v12, v12, v32, s[28:29]
	v_lshlrev_b32_e32 v8, 24, v8
	v_lshlrev_b32_e32 v12, 20, v12
	v_and_b32_e32 v8, 0x80000000, v8
	v_lshl_add_u32 v30, v30, 23, v0
	v_or3_b32 v12, v8, v30, v12
.LBB2_4248:                             ;   in Loop: Header=BB2_4004 Depth=3
	s_or_b64 exec, exec, s[70:71]
.LBB2_4249:                             ;   in Loop: Header=BB2_4004 Depth=3
	s_or_b64 exec, exec, s[68:69]
.LBB2_4250:                             ;   in Loop: Header=BB2_4004 Depth=3
	s_or_b64 exec, exec, s[30:31]
	v_lshrrev_b32_e32 v8, 16, v10
	v_cmp_ne_u16_sdwa s[28:29], v8, v61 src0_sel:BYTE_0 src1_sel:DWORD
	s_and_saveexec_b64 s[30:31], s[28:29]
	s_cbranch_execz .LBB2_4256
; %bb.4251:                             ;   in Loop: Header=BB2_4004 Depth=3
	v_cmp_ne_u16_sdwa s[28:29], v8, s91 src0_sel:BYTE_0 src1_sel:DWORD
	v_bfrev_b32_e32 v9, 1
	s_and_saveexec_b64 s[68:69], s[28:29]
	s_cbranch_execz .LBB2_4255
; %bb.4252:                             ;   in Loop: Header=BB2_4004 Depth=3
	v_bfe_u32 v30, v10, 16, 7
	v_cmp_ne_u32_e64 s[28:29], s92, v30
	v_mov_b32_e32 v9, 0x7f800001
	s_and_saveexec_b64 s[70:71], s[28:29]
	s_cbranch_execz .LBB2_4254
; %bb.4253:                             ;   in Loop: Header=BB2_4004 Depth=3
	v_and_b32_e32 v31, 7, v8
	v_ffbh_u32_e32 v9, v31
	v_min_u32_e32 v33, 32, v9
	v_subrev_u32_e32 v9, 28, v33
	v_lshlrev_b64 v[8:9], v9, v[8:9]
	v_lshrrev_b32_e32 v32, 3, v30
	v_sub_u32_e32 v9, 29, v33
	v_and_b32_e32 v8, 7, v8
	v_cmp_gt_u32_e64 s[28:29], 8, v30
	v_cndmask_b32_e64 v9, v32, v9, s[28:29]
	v_cndmask_b32_e64 v8, v31, v8, s[28:29]
	v_lshlrev_b32_e32 v30, 8, v10
	v_lshlrev_b32_e32 v8, 20, v8
	v_and_b32_e32 v30, 0x80000000, v30
	v_lshl_add_u32 v9, v9, 23, v0
	v_or3_b32 v9, v30, v9, v8
.LBB2_4254:                             ;   in Loop: Header=BB2_4004 Depth=3
	s_or_b64 exec, exec, s[70:71]
.LBB2_4255:                             ;   in Loop: Header=BB2_4004 Depth=3
	s_or_b64 exec, exec, s[68:69]
.LBB2_4256:                             ;   in Loop: Header=BB2_4004 Depth=3
	s_or_b64 exec, exec, s[30:31]
	v_add_f32_e32 v8, v12, v9
	v_and_b32_sdwa v12, v8, s91 dst_sel:DWORD dst_unused:UNUSED_PAD src0_sel:BYTE_3 src1_sel:DWORD
	v_and_b32_e32 v32, 0x7f800000, v8
	v_mov_b32_e32 v33, v61
	v_and_b32_e32 v60, 0x7fffff, v8
	v_or_b32_e32 v30, 0x7e, v12
	v_cmp_ne_u64_e64 s[28:29], s[54:55], v[32:33]
	s_and_saveexec_b64 s[30:31], s[28:29]
	s_xor_b64 s[68:69], exec, s[30:31]
	s_cbranch_execz .LBB2_4266
; %bb.4257:                             ;   in Loop: Header=BB2_4004 Depth=3
	v_and_b32_e32 v32, 0x7fffffff, v8
	v_mov_b32_e32 v33, v61
	v_cmp_gt_u64_e64 s[28:29], s[56:57], v[32:33]
	s_and_saveexec_b64 s[70:71], s[28:29]
	s_cbranch_execz .LBB2_4265
; %bb.4258:                             ;   in Loop: Header=BB2_4004 Depth=3
	v_cmp_ne_u32_e64 s[28:29], 0, v8
	v_mov_b32_e32 v30, 0
	s_and_saveexec_b64 s[72:73], s[28:29]
	s_cbranch_execz .LBB2_4264
; %bb.4259:                             ;   in Loop: Header=BB2_4004 Depth=3
	v_bfe_u32 v8, v8, 23, 8
	v_sub_u32_e32 v30, 0x79, v8
	v_cmp_gt_u32_e64 s[28:29], s93, v8
	v_add_u32_e32 v9, 0xffffff81, v8
	v_cndmask_b32_e64 v30, 0, v30, s[28:29]
	v_cmp_eq_u32_e64 s[28:29], 0, v8
	v_mov_b32_e32 v8, 0xffffff82
	v_cndmask_b32_e64 v36, v9, v8, s[28:29]
	v_mov_b32_e32 v8, 0x78
	v_or_b32_e32 v31, 0x800000, v60
	v_cndmask_b32_e64 v30, v30, v8, s[28:29]
	v_cndmask_b32_e64 v60, v31, v60, s[28:29]
	v_add_u32_e32 v8, 20, v30
	v_lshlrev_b64 v[8:9], v8, -1
	v_add_u32_e32 v31, 19, v30
	v_lshrrev_b64 v[34:35], v30, v[60:61]
	v_not_b32_e32 v9, v9
	v_not_b32_e32 v8, v8
	v_lshlrev_b64 v[32:33], v31, 1
	v_lshrrev_b32_e32 v31, 23, v34
	v_and_b32_e32 v9, 0, v9
	v_and_b32_e32 v8, v60, v8
	v_add3_u32 v36, v30, v36, v31
	v_bfe_u32 v30, v34, 20, 1
	v_add_u32_e32 v30, -1, v30
	v_cmp_eq_u64_e64 s[28:29], v[8:9], v[32:33]
	v_cndmask_b32_e64 v8, 0, v30, s[28:29]
	v_add_u32_e32 v8, v8, v34
	v_and_b32_e32 v8, 0xfffff, v8
	v_add_co_u32_e64 v8, s[28:29], v8, v34
	v_add_u32_e32 v31, 6, v36
	v_addc_co_u32_e64 v9, s[28:29], 0, v35, s[28:29]
	v_cmp_ne_u32_e64 s[28:29], 0, v31
                                        ; implicit-def: $vgpr30
	s_and_saveexec_b64 s[30:31], s[28:29]
	s_xor_b64 s[30:31], exec, s[30:31]
; %bb.4260:                             ;   in Loop: Header=BB2_4004 Depth=3
	v_add_u32_e32 v30, 7, v36
	v_cmp_lt_u64_e64 s[28:29], s[58:59], v[8:9]
	v_cndmask_b32_e64 v30, v31, v30, s[28:29]
	v_cndmask_b32_e64 v31, 0, 1, s[28:29]
	v_lshrrev_b64 v[8:9], v31, v[8:9]
; %bb.4261:                             ;   in Loop: Header=BB2_4004 Depth=3
	s_andn2_saveexec_b64 s[28:29], s[30:31]
; %bb.4262:                             ;   in Loop: Header=BB2_4004 Depth=3
	v_bfe_u32 v30, v8, 23, 1
; %bb.4263:                             ;   in Loop: Header=BB2_4004 Depth=3
	s_or_b64 exec, exec, s[28:29]
	v_lshrrev_b64 v[8:9], 20, v[8:9]
	v_cmp_gt_i32_e64 s[28:29], 16, v30
	v_cndmask_b32_e64 v9, 0, v9, s[28:29]
	v_cndmask_b32_e64 v8, 7, v8, s[28:29]
	v_cmp_eq_u64_e64 s[30:31], 0, v[8:9]
	v_min_i32_e32 v9, 15, v30
	v_cmp_eq_u32_e64 s[28:29], 0, v30
	v_lshlrev_b32_e32 v9, 3, v9
	v_and_or_b32 v8, v8, 7, v9
	s_and_b64 s[28:29], s[28:29], s[30:31]
	v_cndmask_b32_e64 v8, v8, 0, s[28:29]
	v_or_b32_e32 v30, v8, v12
.LBB2_4264:                             ;   in Loop: Header=BB2_4004 Depth=3
	s_or_b64 exec, exec, s[72:73]
.LBB2_4265:                             ;   in Loop: Header=BB2_4004 Depth=3
	s_or_b64 exec, exec, s[70:71]
                                        ; implicit-def: $vgpr8
.LBB2_4266:                             ;   in Loop: Header=BB2_4004 Depth=3
	s_andn2_saveexec_b64 s[30:31], s[68:69]
; %bb.4267:                             ;   in Loop: Header=BB2_4004 Depth=3
	v_or_b32_sdwa v8, v8, s92 dst_sel:DWORD dst_unused:UNUSED_PAD src0_sel:BYTE_3 src1_sel:DWORD
	v_cmp_eq_u64_e64 s[28:29], 0, v[60:61]
	v_cndmask_b32_e64 v30, v8, v30, s[28:29]
; %bb.4268:                             ;   in Loop: Header=BB2_4004 Depth=3
	s_or_b64 exec, exec, s[30:31]
	v_cmp_lt_u32_e64 s[28:29], s45, v14
	v_mov_b32_e32 v9, 0
	v_mov_b32_e32 v12, 0
	s_and_saveexec_b64 s[30:31], s[28:29]
	s_cbranch_execz .LBB2_4274
; %bb.4269:                             ;   in Loop: Header=BB2_4004 Depth=3
	v_lshrrev_b32_e32 v8, 24, v14
	v_cmp_ne_u32_e64 s[28:29], s91, v8
	v_bfrev_b32_e32 v12, 1
	s_and_saveexec_b64 s[68:69], s[28:29]
	s_cbranch_execz .LBB2_4273
; %bb.4270:                             ;   in Loop: Header=BB2_4004 Depth=3
	v_bfe_u32 v31, v14, 24, 7
	v_cmp_ne_u32_e64 s[28:29], s92, v31
	v_mov_b32_e32 v12, 0x7f800001
	s_and_saveexec_b64 s[70:71], s[28:29]
	s_cbranch_execz .LBB2_4272
; %bb.4271:                             ;   in Loop: Header=BB2_4004 Depth=3
	v_and_b32_e32 v12, 7, v8
	v_ffbh_u32_e32 v32, v12
	v_min_u32_e32 v35, 32, v32
	v_subrev_u32_e32 v32, 28, v35
	v_lshlrev_b64 v[32:33], v32, v[8:9]
	v_lshrrev_b32_e32 v34, 3, v31
	v_sub_u32_e32 v33, 29, v35
	v_and_b32_e32 v32, 7, v32
	v_cmp_gt_u32_e64 s[28:29], 8, v31
	v_cndmask_b32_e64 v31, v34, v33, s[28:29]
	v_cndmask_b32_e64 v12, v12, v32, s[28:29]
	v_lshlrev_b32_e32 v8, 24, v8
	v_lshlrev_b32_e32 v12, 20, v12
	v_and_b32_e32 v8, 0x80000000, v8
	v_lshl_add_u32 v31, v31, 23, v0
	v_or3_b32 v12, v8, v31, v12
.LBB2_4272:                             ;   in Loop: Header=BB2_4004 Depth=3
	s_or_b64 exec, exec, s[70:71]
.LBB2_4273:                             ;   in Loop: Header=BB2_4004 Depth=3
	s_or_b64 exec, exec, s[68:69]
.LBB2_4274:                             ;   in Loop: Header=BB2_4004 Depth=3
	s_or_b64 exec, exec, s[30:31]
	v_cmp_lt_u32_e64 s[28:29], s45, v10
	s_and_saveexec_b64 s[30:31], s[28:29]
	s_cbranch_execz .LBB2_4280
; %bb.4275:                             ;   in Loop: Header=BB2_4004 Depth=3
	v_lshrrev_b32_e32 v8, 24, v10
	v_cmp_ne_u32_e64 s[28:29], s91, v8
	v_bfrev_b32_e32 v9, 1
	s_and_saveexec_b64 s[68:69], s[28:29]
	s_cbranch_execz .LBB2_4279
; %bb.4276:                             ;   in Loop: Header=BB2_4004 Depth=3
	v_bfe_u32 v31, v10, 24, 7
	v_cmp_ne_u32_e64 s[28:29], s92, v31
	v_mov_b32_e32 v9, 0x7f800001
	s_and_saveexec_b64 s[70:71], s[28:29]
	s_cbranch_execz .LBB2_4278
; %bb.4277:                             ;   in Loop: Header=BB2_4004 Depth=3
	v_and_b32_e32 v9, 7, v8
	v_ffbh_u32_e32 v32, v9
	v_min_u32_e32 v35, 32, v32
	v_subrev_u32_e32 v32, 28, v35
	v_lshlrev_b64 v[32:33], v32, v[8:9]
	v_lshrrev_b32_e32 v34, 3, v31
	v_sub_u32_e32 v33, 29, v35
	v_and_b32_e32 v32, 7, v32
	v_cmp_gt_u32_e64 s[28:29], 8, v31
	v_cndmask_b32_e64 v31, v34, v33, s[28:29]
	v_cndmask_b32_e64 v9, v9, v32, s[28:29]
	v_lshlrev_b32_e32 v8, 24, v8
	v_lshlrev_b32_e32 v9, 20, v9
	v_and_b32_e32 v8, 0x80000000, v8
	v_lshl_add_u32 v31, v31, 23, v0
	v_or3_b32 v9, v8, v31, v9
.LBB2_4278:                             ;   in Loop: Header=BB2_4004 Depth=3
	s_or_b64 exec, exec, s[70:71]
.LBB2_4279:                             ;   in Loop: Header=BB2_4004 Depth=3
	s_or_b64 exec, exec, s[68:69]
.LBB2_4280:                             ;   in Loop: Header=BB2_4004 Depth=3
	s_or_b64 exec, exec, s[30:31]
	v_add_f32_e32 v8, v12, v9
	v_and_b32_sdwa v12, v8, s91 dst_sel:DWORD dst_unused:UNUSED_PAD src0_sel:BYTE_3 src1_sel:DWORD
	v_and_b32_e32 v32, 0x7f800000, v8
	v_mov_b32_e32 v33, v61
	v_and_b32_e32 v60, 0x7fffff, v8
	v_or_b32_e32 v31, 0x7e, v12
	v_cmp_ne_u64_e64 s[28:29], s[54:55], v[32:33]
	s_and_saveexec_b64 s[30:31], s[28:29]
	s_xor_b64 s[68:69], exec, s[30:31]
	s_cbranch_execz .LBB2_4290
; %bb.4281:                             ;   in Loop: Header=BB2_4004 Depth=3
	v_and_b32_e32 v32, 0x7fffffff, v8
	v_mov_b32_e32 v33, v61
	v_cmp_gt_u64_e64 s[28:29], s[56:57], v[32:33]
	s_and_saveexec_b64 s[70:71], s[28:29]
	s_cbranch_execz .LBB2_4289
; %bb.4282:                             ;   in Loop: Header=BB2_4004 Depth=3
	v_cmp_ne_u32_e64 s[28:29], 0, v8
	v_mov_b32_e32 v31, 0
	s_and_saveexec_b64 s[72:73], s[28:29]
	s_cbranch_execz .LBB2_4288
; %bb.4283:                             ;   in Loop: Header=BB2_4004 Depth=3
	v_bfe_u32 v8, v8, 23, 8
	v_sub_u32_e32 v31, 0x79, v8
	v_cmp_gt_u32_e64 s[28:29], s93, v8
	v_add_u32_e32 v9, 0xffffff81, v8
	v_cndmask_b32_e64 v31, 0, v31, s[28:29]
	v_cmp_eq_u32_e64 s[28:29], 0, v8
	v_mov_b32_e32 v8, 0xffffff82
	v_cndmask_b32_e64 v36, v9, v8, s[28:29]
	v_mov_b32_e32 v8, 0x78
	v_or_b32_e32 v32, 0x800000, v60
	v_cndmask_b32_e64 v31, v31, v8, s[28:29]
	v_cndmask_b32_e64 v60, v32, v60, s[28:29]
	v_add_u32_e32 v8, 20, v31
	v_lshlrev_b64 v[8:9], v8, -1
	v_lshrrev_b64 v[34:35], v31, v[60:61]
	v_not_b32_e32 v9, v9
	v_not_b32_e32 v8, v8
	v_add_u32_e32 v32, 19, v31
	v_lshrrev_b32_e32 v37, 23, v34
	v_and_b32_e32 v9, 0, v9
	v_and_b32_e32 v8, v60, v8
	v_lshlrev_b64 v[32:33], v32, 1
	v_add3_u32 v37, v31, v36, v37
	v_bfe_u32 v31, v34, 20, 1
	v_add_u32_e32 v31, -1, v31
	v_cmp_eq_u64_e64 s[28:29], v[8:9], v[32:33]
	v_cndmask_b32_e64 v8, 0, v31, s[28:29]
	v_add_u32_e32 v8, v8, v34
	v_and_b32_e32 v8, 0xfffff, v8
	v_add_co_u32_e64 v8, s[28:29], v8, v34
	v_add_u32_e32 v36, 6, v37
	v_addc_co_u32_e64 v9, s[28:29], 0, v35, s[28:29]
	v_cmp_ne_u32_e64 s[28:29], 0, v36
                                        ; implicit-def: $vgpr31
	s_and_saveexec_b64 s[30:31], s[28:29]
	s_xor_b64 s[30:31], exec, s[30:31]
; %bb.4284:                             ;   in Loop: Header=BB2_4004 Depth=3
	v_cmp_lt_u64_e64 s[28:29], s[58:59], v[8:9]
	v_add_u32_e32 v31, 7, v37
	v_cndmask_b32_e64 v32, 0, 1, s[28:29]
	v_cndmask_b32_e64 v31, v36, v31, s[28:29]
	v_lshrrev_b64 v[8:9], v32, v[8:9]
; %bb.4285:                             ;   in Loop: Header=BB2_4004 Depth=3
	s_andn2_saveexec_b64 s[28:29], s[30:31]
; %bb.4286:                             ;   in Loop: Header=BB2_4004 Depth=3
	v_bfe_u32 v31, v8, 23, 1
; %bb.4287:                             ;   in Loop: Header=BB2_4004 Depth=3
	s_or_b64 exec, exec, s[28:29]
	v_lshrrev_b64 v[8:9], 20, v[8:9]
	v_cmp_gt_i32_e64 s[28:29], 16, v31
	v_cndmask_b32_e64 v9, 0, v9, s[28:29]
	v_cndmask_b32_e64 v8, 7, v8, s[28:29]
	v_cmp_eq_u64_e64 s[30:31], 0, v[8:9]
	v_min_i32_e32 v9, 15, v31
	v_cmp_eq_u32_e64 s[28:29], 0, v31
	v_lshlrev_b32_e32 v9, 3, v9
	v_and_or_b32 v8, v8, 7, v9
	s_and_b64 s[28:29], s[28:29], s[30:31]
	v_cndmask_b32_e64 v8, v8, 0, s[28:29]
	v_or_b32_e32 v31, v8, v12
.LBB2_4288:                             ;   in Loop: Header=BB2_4004 Depth=3
	s_or_b64 exec, exec, s[72:73]
.LBB2_4289:                             ;   in Loop: Header=BB2_4004 Depth=3
	s_or_b64 exec, exec, s[70:71]
                                        ; implicit-def: $vgpr8
.LBB2_4290:                             ;   in Loop: Header=BB2_4004 Depth=3
	s_andn2_saveexec_b64 s[30:31], s[68:69]
; %bb.4291:                             ;   in Loop: Header=BB2_4004 Depth=3
	v_or_b32_sdwa v8, v8, s92 dst_sel:DWORD dst_unused:UNUSED_PAD src0_sel:BYTE_3 src1_sel:DWORD
	v_cmp_eq_u64_e64 s[28:29], 0, v[60:61]
	v_cndmask_b32_e64 v31, v8, v31, s[28:29]
; %bb.4292:                             ;   in Loop: Header=BB2_4004 Depth=3
	s_or_b64 exec, exec, s[30:31]
	v_mov_b32_e32 v60, v15
	v_cmp_ne_u16_sdwa s[28:29], v15, v61 src0_sel:BYTE_0 src1_sel:DWORD
	v_mov_b32_e32 v9, 0
	v_mov_b32_e32 v8, 0
	s_and_saveexec_b64 s[30:31], s[28:29]
	s_cbranch_execz .LBB2_4298
; %bb.4293:                             ;   in Loop: Header=BB2_4004 Depth=3
	v_cmp_ne_u16_sdwa s[28:29], v15, s91 src0_sel:BYTE_0 src1_sel:DWORD
	v_bfrev_b32_e32 v8, 1
	s_and_saveexec_b64 s[68:69], s[28:29]
	s_cbranch_execz .LBB2_4297
; %bb.4294:                             ;   in Loop: Header=BB2_4004 Depth=3
	v_and_b32_e32 v12, 0x7f, v15
	v_cmp_ne_u32_e64 s[28:29], s92, v12
	v_mov_b32_e32 v8, 0x7f800001
	s_and_saveexec_b64 s[70:71], s[28:29]
	s_cbranch_execz .LBB2_4296
; %bb.4295:                             ;   in Loop: Header=BB2_4004 Depth=3
	v_and_b32_e32 v8, 7, v15
	v_ffbh_u32_e32 v8, v8
	v_min_u32_e32 v8, 32, v8
	v_subrev_u32_e32 v33, 28, v8
	v_cmp_gt_u32_e64 s[28:29], 8, v12
	v_lshrrev_b32_e32 v32, 3, v12
	v_sub_u32_e32 v8, 29, v8
	v_cndmask_b32_e64 v12, 0, v33, s[28:29]
	v_cndmask_b32_e64 v8, v32, v8, s[28:29]
	v_lshlrev_b64 v[32:33], v12, v[60:61]
	v_lshlrev_b32_e32 v12, 20, v32
	v_lshlrev_b32_e32 v32, 24, v60
	v_and_b32_e32 v12, 0x700000, v12
	v_and_b32_e32 v32, 0x80000000, v32
	v_lshl_add_u32 v8, v8, 23, v0
	v_or3_b32 v8, v32, v8, v12
.LBB2_4296:                             ;   in Loop: Header=BB2_4004 Depth=3
	s_or_b64 exec, exec, s[70:71]
.LBB2_4297:                             ;   in Loop: Header=BB2_4004 Depth=3
	s_or_b64 exec, exec, s[68:69]
.LBB2_4298:                             ;   in Loop: Header=BB2_4004 Depth=3
	s_or_b64 exec, exec, s[30:31]
	v_cmp_ne_u16_sdwa s[28:29], v11, v61 src0_sel:BYTE_0 src1_sel:DWORD
	s_and_saveexec_b64 s[30:31], s[28:29]
	s_cbranch_execz .LBB2_4304
; %bb.4299:                             ;   in Loop: Header=BB2_4004 Depth=3
	v_cmp_ne_u16_sdwa s[28:29], v11, s91 src0_sel:BYTE_0 src1_sel:DWORD
	v_bfrev_b32_e32 v9, 1
	s_and_saveexec_b64 s[68:69], s[28:29]
	s_cbranch_execz .LBB2_4303
; %bb.4300:                             ;   in Loop: Header=BB2_4004 Depth=3
	v_and_b32_e32 v12, 0x7f, v11
	v_cmp_ne_u32_e64 s[28:29], s92, v12
	v_mov_b32_e32 v9, 0x7f800001
	s_and_saveexec_b64 s[70:71], s[28:29]
	s_cbranch_execz .LBB2_4302
; %bb.4301:                             ;   in Loop: Header=BB2_4004 Depth=3
	v_and_b32_e32 v9, 7, v11
	v_ffbh_u32_e32 v9, v9
	v_min_u32_e32 v9, 32, v9
	v_subrev_u32_e32 v35, 28, v9
	v_cmp_gt_u32_e64 s[28:29], 8, v12
	v_mov_b32_e32 v32, v11
	v_mov_b32_e32 v33, v61
	v_lshrrev_b32_e32 v34, 3, v12
	v_sub_u32_e32 v9, 29, v9
	v_cndmask_b32_e64 v12, 0, v35, s[28:29]
	v_cndmask_b32_e64 v9, v34, v9, s[28:29]
	v_lshlrev_b64 v[34:35], v12, v[32:33]
	v_lshlrev_b32_e32 v12, 20, v34
	v_lshlrev_b32_e32 v32, 24, v32
	v_and_b32_e32 v12, 0x700000, v12
	v_and_b32_e32 v32, 0x80000000, v32
	v_lshl_add_u32 v9, v9, 23, v0
	v_or3_b32 v9, v32, v9, v12
.LBB2_4302:                             ;   in Loop: Header=BB2_4004 Depth=3
	s_or_b64 exec, exec, s[70:71]
.LBB2_4303:                             ;   in Loop: Header=BB2_4004 Depth=3
	s_or_b64 exec, exec, s[68:69]
.LBB2_4304:                             ;   in Loop: Header=BB2_4004 Depth=3
	s_or_b64 exec, exec, s[30:31]
	v_add_f32_e32 v37, v8, v9
	v_and_b32_sdwa v12, v37, s91 dst_sel:DWORD dst_unused:UNUSED_PAD src0_sel:BYTE_3 src1_sel:DWORD
	v_and_b32_e32 v32, 0x7f800000, v37
	v_mov_b32_e32 v33, v61
	v_and_b32_e32 v8, 0x7fffff, v37
	v_mov_b32_e32 v9, v61
	v_or_b32_e32 v36, 0x7e, v12
	v_cmp_ne_u64_e64 s[28:29], s[54:55], v[32:33]
	s_and_saveexec_b64 s[30:31], s[28:29]
	s_xor_b64 s[68:69], exec, s[30:31]
	s_cbranch_execz .LBB2_4314
; %bb.4305:                             ;   in Loop: Header=BB2_4004 Depth=3
	v_and_b32_e32 v32, 0x7fffffff, v37
	v_mov_b32_e32 v33, v61
	v_cmp_gt_u64_e64 s[28:29], s[56:57], v[32:33]
	s_and_saveexec_b64 s[70:71], s[28:29]
	s_cbranch_execz .LBB2_4313
; %bb.4306:                             ;   in Loop: Header=BB2_4004 Depth=3
	v_cmp_ne_u32_e64 s[28:29], 0, v37
	v_mov_b32_e32 v36, 0
	s_and_saveexec_b64 s[72:73], s[28:29]
	s_cbranch_execz .LBB2_4312
; %bb.4307:                             ;   in Loop: Header=BB2_4004 Depth=3
	v_bfe_u32 v32, v37, 23, 8
	v_sub_u32_e32 v34, 0x79, v32
	v_cmp_gt_u32_e64 s[28:29], s93, v32
	v_add_u32_e32 v33, 0xffffff81, v32
	v_cndmask_b32_e64 v34, 0, v34, s[28:29]
	v_cmp_eq_u32_e64 s[28:29], 0, v32
	v_mov_b32_e32 v32, 0xffffff82
	v_cndmask_b32_e64 v36, v33, v32, s[28:29]
	v_mov_b32_e32 v32, 0x78
	v_cndmask_b32_e64 v37, v34, v32, s[28:29]
	v_add_u32_e32 v32, 20, v37
	v_or_b32_e32 v35, 0x800000, v8
	v_lshlrev_b64 v[32:33], v32, -1
	v_cndmask_b32_e64 v8, v35, v8, s[28:29]
	v_not_b32_e32 v32, v32
	v_and_b32_e32 v32, v8, v32
	v_lshrrev_b64 v[8:9], v37, v[8:9]
	v_not_b32_e32 v33, v33
	v_add_u32_e32 v34, 19, v37
	v_lshrrev_b32_e32 v38, 23, v8
	v_and_b32_e32 v33, 0, v33
	v_lshlrev_b64 v[34:35], v34, 1
	v_add3_u32 v38, v37, v36, v38
	v_bfe_u32 v36, v8, 20, 1
	v_add_u32_e32 v36, -1, v36
	v_cmp_eq_u64_e64 s[28:29], v[32:33], v[34:35]
	v_cndmask_b32_e64 v32, 0, v36, s[28:29]
	v_add_u32_e32 v32, v32, v8
	v_and_b32_e32 v32, 0xfffff, v32
	v_add_co_u32_e64 v8, s[28:29], v32, v8
	v_add_u32_e32 v37, 6, v38
	v_addc_co_u32_e64 v9, s[28:29], 0, v9, s[28:29]
	v_cmp_ne_u32_e64 s[28:29], 0, v37
                                        ; implicit-def: $vgpr36
	s_and_saveexec_b64 s[30:31], s[28:29]
	s_xor_b64 s[30:31], exec, s[30:31]
; %bb.4308:                             ;   in Loop: Header=BB2_4004 Depth=3
	v_add_u32_e32 v32, 7, v38
	v_cmp_lt_u64_e64 s[28:29], s[58:59], v[8:9]
	v_cndmask_b32_e64 v36, v37, v32, s[28:29]
	v_cndmask_b32_e64 v32, 0, 1, s[28:29]
	v_lshrrev_b64 v[8:9], v32, v[8:9]
; %bb.4309:                             ;   in Loop: Header=BB2_4004 Depth=3
	s_andn2_saveexec_b64 s[28:29], s[30:31]
; %bb.4310:                             ;   in Loop: Header=BB2_4004 Depth=3
	v_bfe_u32 v36, v8, 23, 1
; %bb.4311:                             ;   in Loop: Header=BB2_4004 Depth=3
	s_or_b64 exec, exec, s[28:29]
	v_lshrrev_b64 v[8:9], 20, v[8:9]
	v_cmp_gt_i32_e64 s[28:29], 16, v36
	v_cndmask_b32_e64 v9, 0, v9, s[28:29]
	v_cndmask_b32_e64 v8, 7, v8, s[28:29]
	v_cmp_eq_u64_e64 s[30:31], 0, v[8:9]
	v_min_i32_e32 v9, 15, v36
	v_cmp_eq_u32_e64 s[28:29], 0, v36
	v_lshlrev_b32_e32 v9, 3, v9
	v_and_or_b32 v8, v8, 7, v9
	s_and_b64 s[28:29], s[28:29], s[30:31]
	v_cndmask_b32_e64 v8, v8, 0, s[28:29]
	v_or_b32_e32 v36, v8, v12
.LBB2_4312:                             ;   in Loop: Header=BB2_4004 Depth=3
	s_or_b64 exec, exec, s[72:73]
.LBB2_4313:                             ;   in Loop: Header=BB2_4004 Depth=3
	s_or_b64 exec, exec, s[70:71]
                                        ; implicit-def: $vgpr37
                                        ; implicit-def: $vgpr8_vgpr9
.LBB2_4314:                             ;   in Loop: Header=BB2_4004 Depth=3
	s_andn2_saveexec_b64 s[30:31], s[68:69]
; %bb.4315:                             ;   in Loop: Header=BB2_4004 Depth=3
	v_or_b32_sdwa v12, v37, s92 dst_sel:DWORD dst_unused:UNUSED_PAD src0_sel:BYTE_3 src1_sel:DWORD
	v_cmp_eq_u64_e64 s[28:29], 0, v[8:9]
	v_cndmask_b32_e64 v36, v12, v36, s[28:29]
; %bb.4316:                             ;   in Loop: Header=BB2_4004 Depth=3
	s_or_b64 exec, exec, s[30:31]
	v_lshrrev_b16_e32 v8, 8, v60
	v_cmp_ne_u16_e64 s[28:29], 0, v8
	v_mov_b32_e32 v9, 0
	v_mov_b32_e32 v37, 0
	s_and_saveexec_b64 s[30:31], s[28:29]
	s_cbranch_execz .LBB2_4322
; %bb.4317:                             ;   in Loop: Header=BB2_4004 Depth=3
	v_cmp_ne_u16_e64 s[28:29], s91, v8
	v_bfrev_b32_e32 v37, 1
	s_and_saveexec_b64 s[68:69], s[28:29]
	s_cbranch_execz .LBB2_4321
; %bb.4318:                             ;   in Loop: Header=BB2_4004 Depth=3
	v_and_b32_e32 v12, 0x7f, v8
	v_cmp_ne_u32_e64 s[28:29], s92, v12
	v_mov_b32_e32 v37, 0x7f800001
	s_and_saveexec_b64 s[70:71], s[28:29]
	s_cbranch_execz .LBB2_4320
; %bb.4319:                             ;   in Loop: Header=BB2_4004 Depth=3
	v_and_b32_e32 v34, 7, v8
	v_ffbh_u32_e32 v32, v34
	v_min_u32_e32 v37, 32, v32
	v_subrev_u32_e32 v32, 28, v37
	v_lshlrev_b64 v[32:33], v32, v[8:9]
	v_lshrrev_b32_e32 v35, 3, v12
	v_sub_u32_e32 v8, 29, v37
	v_and_b32_e32 v32, 7, v32
	v_cmp_gt_u32_e64 s[28:29], 8, v12
	v_cndmask_b32_e64 v8, v35, v8, s[28:29]
	v_cndmask_b32_e64 v12, v34, v32, s[28:29]
	v_lshlrev_b32_e32 v32, 16, v60
	v_lshlrev_b32_e32 v12, 20, v12
	v_and_b32_e32 v32, 0x80000000, v32
	v_lshl_add_u32 v8, v8, 23, v0
	v_or3_b32 v37, v32, v8, v12
.LBB2_4320:                             ;   in Loop: Header=BB2_4004 Depth=3
	s_or_b64 exec, exec, s[70:71]
.LBB2_4321:                             ;   in Loop: Header=BB2_4004 Depth=3
	s_or_b64 exec, exec, s[68:69]
.LBB2_4322:                             ;   in Loop: Header=BB2_4004 Depth=3
	s_or_b64 exec, exec, s[30:31]
	v_mov_b32_e32 v8, v11
	v_lshrrev_b16_e32 v12, 8, v8
	v_cmp_ne_u16_e64 s[28:29], 0, v12
	s_and_saveexec_b64 s[30:31], s[28:29]
	s_cbranch_execz .LBB2_4328
; %bb.4323:                             ;   in Loop: Header=BB2_4004 Depth=3
	v_cmp_ne_u16_e64 s[28:29], s91, v12
	v_bfrev_b32_e32 v9, 1
	s_and_saveexec_b64 s[68:69], s[28:29]
	s_cbranch_execz .LBB2_4327
; %bb.4324:                             ;   in Loop: Header=BB2_4004 Depth=3
	v_and_b32_e32 v38, 0x7f, v12
	v_cmp_ne_u32_e64 s[28:29], s92, v38
	v_mov_b32_e32 v9, 0x7f800001
	s_and_saveexec_b64 s[70:71], s[28:29]
	s_cbranch_execz .LBB2_4326
; %bb.4325:                             ;   in Loop: Header=BB2_4004 Depth=3
	v_and_b32_e32 v9, 7, v12
	v_ffbh_u32_e32 v32, v9
	v_min_u32_e32 v35, 32, v32
	v_subrev_u32_e32 v32, 28, v35
	v_lshlrev_b64 v[32:33], v32, v[12:13]
	v_lshrrev_b32_e32 v34, 3, v38
	v_sub_u32_e32 v12, 29, v35
	v_and_b32_e32 v32, 7, v32
	v_cmp_gt_u32_e64 s[28:29], 8, v38
	v_cndmask_b32_e64 v12, v34, v12, s[28:29]
	v_cndmask_b32_e64 v9, v9, v32, s[28:29]
	v_lshlrev_b32_e32 v8, 16, v8
	v_lshlrev_b32_e32 v9, 20, v9
	v_and_b32_e32 v8, 0x80000000, v8
	v_lshl_add_u32 v12, v12, 23, v0
	v_or3_b32 v9, v8, v12, v9
.LBB2_4326:                             ;   in Loop: Header=BB2_4004 Depth=3
	s_or_b64 exec, exec, s[70:71]
.LBB2_4327:                             ;   in Loop: Header=BB2_4004 Depth=3
	s_or_b64 exec, exec, s[68:69]
.LBB2_4328:                             ;   in Loop: Header=BB2_4004 Depth=3
	s_or_b64 exec, exec, s[30:31]
	v_add_f32_e32 v8, v37, v9
	v_and_b32_sdwa v37, v8, s91 dst_sel:DWORD dst_unused:UNUSED_PAD src0_sel:BYTE_3 src1_sel:DWORD
	v_and_b32_e32 v32, 0x7f800000, v8
	v_mov_b32_e32 v33, v61
	v_and_b32_e32 v60, 0x7fffff, v8
	v_or_b32_e32 v12, 0x7e, v37
	v_cmp_ne_u64_e64 s[28:29], s[54:55], v[32:33]
	s_and_saveexec_b64 s[30:31], s[28:29]
	s_xor_b64 s[68:69], exec, s[30:31]
	s_cbranch_execz .LBB2_4338
; %bb.4329:                             ;   in Loop: Header=BB2_4004 Depth=3
	v_and_b32_e32 v32, 0x7fffffff, v8
	v_mov_b32_e32 v33, v61
	v_cmp_gt_u64_e64 s[28:29], s[56:57], v[32:33]
	s_and_saveexec_b64 s[70:71], s[28:29]
	s_cbranch_execz .LBB2_4337
; %bb.4330:                             ;   in Loop: Header=BB2_4004 Depth=3
	v_cmp_ne_u32_e64 s[28:29], 0, v8
	v_mov_b32_e32 v12, 0
	s_and_saveexec_b64 s[72:73], s[28:29]
	s_cbranch_execz .LBB2_4336
; %bb.4331:                             ;   in Loop: Header=BB2_4004 Depth=3
	v_bfe_u32 v8, v8, 23, 8
	v_sub_u32_e32 v12, 0x79, v8
	v_cmp_gt_u32_e64 s[28:29], s93, v8
	v_add_u32_e32 v9, 0xffffff81, v8
	v_cndmask_b32_e64 v12, 0, v12, s[28:29]
	v_cmp_eq_u32_e64 s[28:29], 0, v8
	v_mov_b32_e32 v8, 0xffffff82
	v_cndmask_b32_e64 v38, v9, v8, s[28:29]
	v_mov_b32_e32 v8, 0x78
	v_or_b32_e32 v32, 0x800000, v60
	v_cndmask_b32_e64 v12, v12, v8, s[28:29]
	v_cndmask_b32_e64 v60, v32, v60, s[28:29]
	v_add_u32_e32 v8, 20, v12
	v_lshlrev_b64 v[8:9], v8, -1
	v_lshrrev_b64 v[34:35], v12, v[60:61]
	v_not_b32_e32 v9, v9
	v_not_b32_e32 v8, v8
	v_add_u32_e32 v32, 19, v12
	v_lshrrev_b32_e32 v39, 23, v34
	v_and_b32_e32 v9, 0, v9
	v_and_b32_e32 v8, v60, v8
	v_lshlrev_b64 v[32:33], v32, 1
	v_add3_u32 v39, v12, v38, v39
	v_bfe_u32 v12, v34, 20, 1
	v_add_u32_e32 v12, -1, v12
	v_cmp_eq_u64_e64 s[28:29], v[8:9], v[32:33]
	v_cndmask_b32_e64 v8, 0, v12, s[28:29]
	v_add_u32_e32 v8, v8, v34
	v_and_b32_e32 v8, 0xfffff, v8
	v_add_co_u32_e64 v8, s[28:29], v8, v34
	v_add_u32_e32 v38, 6, v39
	v_addc_co_u32_e64 v9, s[28:29], 0, v35, s[28:29]
	v_cmp_ne_u32_e64 s[28:29], 0, v38
                                        ; implicit-def: $vgpr12
	s_and_saveexec_b64 s[30:31], s[28:29]
	s_xor_b64 s[30:31], exec, s[30:31]
; %bb.4332:                             ;   in Loop: Header=BB2_4004 Depth=3
	v_cmp_lt_u64_e64 s[28:29], s[58:59], v[8:9]
	v_add_u32_e32 v12, 7, v39
	v_cndmask_b32_e64 v32, 0, 1, s[28:29]
	v_cndmask_b32_e64 v12, v38, v12, s[28:29]
	v_lshrrev_b64 v[8:9], v32, v[8:9]
; %bb.4333:                             ;   in Loop: Header=BB2_4004 Depth=3
	s_andn2_saveexec_b64 s[28:29], s[30:31]
; %bb.4334:                             ;   in Loop: Header=BB2_4004 Depth=3
	v_bfe_u32 v12, v8, 23, 1
; %bb.4335:                             ;   in Loop: Header=BB2_4004 Depth=3
	s_or_b64 exec, exec, s[28:29]
	v_lshrrev_b64 v[8:9], 20, v[8:9]
	v_cmp_gt_i32_e64 s[28:29], 16, v12
	v_cndmask_b32_e64 v9, 0, v9, s[28:29]
	v_cndmask_b32_e64 v8, 7, v8, s[28:29]
	v_cmp_eq_u64_e64 s[30:31], 0, v[8:9]
	v_min_i32_e32 v9, 15, v12
	v_cmp_eq_u32_e64 s[28:29], 0, v12
	v_lshlrev_b32_e32 v9, 3, v9
	v_and_or_b32 v8, v8, 7, v9
	s_and_b64 s[28:29], s[28:29], s[30:31]
	v_cndmask_b32_e64 v8, v8, 0, s[28:29]
	v_or_b32_e32 v12, v8, v37
.LBB2_4336:                             ;   in Loop: Header=BB2_4004 Depth=3
	s_or_b64 exec, exec, s[72:73]
.LBB2_4337:                             ;   in Loop: Header=BB2_4004 Depth=3
	s_or_b64 exec, exec, s[70:71]
                                        ; implicit-def: $vgpr8
.LBB2_4338:                             ;   in Loop: Header=BB2_4004 Depth=3
	s_andn2_saveexec_b64 s[30:31], s[68:69]
; %bb.4339:                             ;   in Loop: Header=BB2_4004 Depth=3
	v_or_b32_sdwa v8, v8, s92 dst_sel:DWORD dst_unused:UNUSED_PAD src0_sel:BYTE_3 src1_sel:DWORD
	v_cmp_eq_u64_e64 s[28:29], 0, v[60:61]
	v_cndmask_b32_e64 v12, v8, v12, s[28:29]
; %bb.4340:                             ;   in Loop: Header=BB2_4004 Depth=3
	s_or_b64 exec, exec, s[30:31]
	v_lshrrev_b32_e32 v8, 16, v15
	v_cmp_ne_u16_sdwa s[28:29], v8, v61 src0_sel:BYTE_0 src1_sel:DWORD
	v_mov_b32_e32 v9, 0
	v_mov_b32_e32 v37, 0
	s_and_saveexec_b64 s[30:31], s[28:29]
	s_cbranch_execz .LBB2_4346
; %bb.4341:                             ;   in Loop: Header=BB2_4004 Depth=3
	v_cmp_ne_u16_sdwa s[28:29], v8, s91 src0_sel:BYTE_0 src1_sel:DWORD
	v_bfrev_b32_e32 v37, 1
	s_and_saveexec_b64 s[68:69], s[28:29]
	s_cbranch_execz .LBB2_4345
; %bb.4342:                             ;   in Loop: Header=BB2_4004 Depth=3
	v_bfe_u32 v38, v15, 16, 7
	v_cmp_ne_u32_e64 s[28:29], s92, v38
	v_mov_b32_e32 v37, 0x7f800001
	s_and_saveexec_b64 s[70:71], s[28:29]
	s_cbranch_execz .LBB2_4344
; %bb.4343:                             ;   in Loop: Header=BB2_4004 Depth=3
	v_and_b32_e32 v34, 7, v8
	v_ffbh_u32_e32 v32, v34
	v_min_u32_e32 v37, 32, v32
	v_subrev_u32_e32 v32, 28, v37
	v_lshlrev_b64 v[32:33], v32, v[8:9]
	v_lshrrev_b32_e32 v35, 3, v38
	v_sub_u32_e32 v33, 29, v37
	v_and_b32_e32 v32, 7, v32
	v_cmp_gt_u32_e64 s[28:29], 8, v38
	v_cndmask_b32_e64 v33, v35, v33, s[28:29]
	v_cndmask_b32_e64 v32, v34, v32, s[28:29]
	v_lshlrev_b32_e32 v8, 24, v8
	v_lshlrev_b32_e32 v32, 20, v32
	v_and_b32_e32 v8, 0x80000000, v8
	v_lshl_add_u32 v33, v33, 23, v0
	v_or3_b32 v37, v8, v33, v32
.LBB2_4344:                             ;   in Loop: Header=BB2_4004 Depth=3
	s_or_b64 exec, exec, s[70:71]
.LBB2_4345:                             ;   in Loop: Header=BB2_4004 Depth=3
	s_or_b64 exec, exec, s[68:69]
.LBB2_4346:                             ;   in Loop: Header=BB2_4004 Depth=3
	s_or_b64 exec, exec, s[30:31]
	v_lshrrev_b32_e32 v8, 16, v11
	v_cmp_ne_u16_sdwa s[28:29], v8, v61 src0_sel:BYTE_0 src1_sel:DWORD
	s_and_saveexec_b64 s[30:31], s[28:29]
	s_cbranch_execz .LBB2_4352
; %bb.4347:                             ;   in Loop: Header=BB2_4004 Depth=3
	v_cmp_ne_u16_sdwa s[28:29], v8, s91 src0_sel:BYTE_0 src1_sel:DWORD
	v_bfrev_b32_e32 v9, 1
	s_and_saveexec_b64 s[68:69], s[28:29]
	s_cbranch_execz .LBB2_4351
; %bb.4348:                             ;   in Loop: Header=BB2_4004 Depth=3
	v_bfe_u32 v38, v11, 16, 7
	v_cmp_ne_u32_e64 s[28:29], s92, v38
	v_mov_b32_e32 v9, 0x7f800001
	s_and_saveexec_b64 s[70:71], s[28:29]
	s_cbranch_execz .LBB2_4350
; %bb.4349:                             ;   in Loop: Header=BB2_4004 Depth=3
	v_and_b32_e32 v32, 7, v8
	v_ffbh_u32_e32 v9, v32
	v_min_u32_e32 v34, 32, v9
	v_subrev_u32_e32 v9, 28, v34
	v_lshlrev_b64 v[8:9], v9, v[8:9]
	v_lshrrev_b32_e32 v33, 3, v38
	v_sub_u32_e32 v9, 29, v34
	v_and_b32_e32 v8, 7, v8
	v_cmp_gt_u32_e64 s[28:29], 8, v38
	v_cndmask_b32_e64 v9, v33, v9, s[28:29]
	v_cndmask_b32_e64 v8, v32, v8, s[28:29]
	v_lshlrev_b32_e32 v32, 8, v11
	v_lshlrev_b32_e32 v8, 20, v8
	v_and_b32_e32 v32, 0x80000000, v32
	v_lshl_add_u32 v9, v9, 23, v0
	v_or3_b32 v9, v32, v9, v8
.LBB2_4350:                             ;   in Loop: Header=BB2_4004 Depth=3
	s_or_b64 exec, exec, s[70:71]
.LBB2_4351:                             ;   in Loop: Header=BB2_4004 Depth=3
	s_or_b64 exec, exec, s[68:69]
.LBB2_4352:                             ;   in Loop: Header=BB2_4004 Depth=3
	s_or_b64 exec, exec, s[30:31]
	v_add_f32_e32 v8, v37, v9
	v_and_b32_sdwa v38, v8, s91 dst_sel:DWORD dst_unused:UNUSED_PAD src0_sel:BYTE_3 src1_sel:DWORD
	v_and_b32_e32 v32, 0x7f800000, v8
	v_mov_b32_e32 v33, v61
	v_and_b32_e32 v60, 0x7fffff, v8
	v_or_b32_e32 v37, 0x7e, v38
	v_cmp_ne_u64_e64 s[28:29], s[54:55], v[32:33]
	s_and_saveexec_b64 s[30:31], s[28:29]
	s_xor_b64 s[68:69], exec, s[30:31]
	s_cbranch_execz .LBB2_4362
; %bb.4353:                             ;   in Loop: Header=BB2_4004 Depth=3
	v_and_b32_e32 v32, 0x7fffffff, v8
	v_mov_b32_e32 v33, v61
	v_cmp_gt_u64_e64 s[28:29], s[56:57], v[32:33]
	s_and_saveexec_b64 s[70:71], s[28:29]
	s_cbranch_execz .LBB2_4361
; %bb.4354:                             ;   in Loop: Header=BB2_4004 Depth=3
	v_cmp_ne_u32_e64 s[28:29], 0, v8
	v_mov_b32_e32 v37, 0
	s_and_saveexec_b64 s[72:73], s[28:29]
	s_cbranch_execz .LBB2_4360
; %bb.4355:                             ;   in Loop: Header=BB2_4004 Depth=3
	v_bfe_u32 v8, v8, 23, 8
	v_sub_u32_e32 v32, 0x79, v8
	v_cmp_gt_u32_e64 s[28:29], s93, v8
	v_add_u32_e32 v9, 0xffffff81, v8
	v_cndmask_b32_e64 v32, 0, v32, s[28:29]
	v_cmp_eq_u32_e64 s[28:29], 0, v8
	v_mov_b32_e32 v8, 0xffffff82
	v_cndmask_b32_e64 v37, v9, v8, s[28:29]
	v_mov_b32_e32 v8, 0x78
	v_or_b32_e32 v33, 0x800000, v60
	v_cndmask_b32_e64 v39, v32, v8, s[28:29]
	v_cndmask_b32_e64 v60, v33, v60, s[28:29]
	v_add_u32_e32 v8, 20, v39
	v_lshlrev_b64 v[8:9], v8, -1
	v_lshrrev_b64 v[34:35], v39, v[60:61]
	v_not_b32_e32 v9, v9
	v_not_b32_e32 v8, v8
	v_add_u32_e32 v32, 19, v39
	v_lshrrev_b32_e32 v52, 23, v34
	v_and_b32_e32 v9, 0, v9
	v_and_b32_e32 v8, v60, v8
	v_lshlrev_b64 v[32:33], v32, 1
	v_add3_u32 v52, v39, v37, v52
	v_bfe_u32 v37, v34, 20, 1
	v_add_u32_e32 v37, -1, v37
	v_cmp_eq_u64_e64 s[28:29], v[8:9], v[32:33]
	v_cndmask_b32_e64 v8, 0, v37, s[28:29]
	v_add_u32_e32 v8, v8, v34
	v_and_b32_e32 v8, 0xfffff, v8
	v_add_co_u32_e64 v8, s[28:29], v8, v34
	v_add_u32_e32 v39, 6, v52
	v_addc_co_u32_e64 v9, s[28:29], 0, v35, s[28:29]
	v_cmp_ne_u32_e64 s[28:29], 0, v39
                                        ; implicit-def: $vgpr37
	s_and_saveexec_b64 s[30:31], s[28:29]
	s_xor_b64 s[30:31], exec, s[30:31]
; %bb.4356:                             ;   in Loop: Header=BB2_4004 Depth=3
	v_add_u32_e32 v32, 7, v52
	v_cmp_lt_u64_e64 s[28:29], s[58:59], v[8:9]
	v_cndmask_b32_e64 v37, v39, v32, s[28:29]
	v_cndmask_b32_e64 v32, 0, 1, s[28:29]
	v_lshrrev_b64 v[8:9], v32, v[8:9]
; %bb.4357:                             ;   in Loop: Header=BB2_4004 Depth=3
	s_andn2_saveexec_b64 s[28:29], s[30:31]
; %bb.4358:                             ;   in Loop: Header=BB2_4004 Depth=3
	v_bfe_u32 v37, v8, 23, 1
; %bb.4359:                             ;   in Loop: Header=BB2_4004 Depth=3
	s_or_b64 exec, exec, s[28:29]
	v_lshrrev_b64 v[8:9], 20, v[8:9]
	v_cmp_gt_i32_e64 s[28:29], 16, v37
	v_cndmask_b32_e64 v9, 0, v9, s[28:29]
	v_cndmask_b32_e64 v8, 7, v8, s[28:29]
	v_cmp_eq_u64_e64 s[30:31], 0, v[8:9]
	v_min_i32_e32 v9, 15, v37
	v_lshlrev_b32_e32 v9, 3, v9
	v_cmp_eq_u32_e64 s[28:29], 0, v37
	v_and_b32_e32 v9, 0xf8, v9
	v_and_or_b32 v8, v8, 7, v9
	s_and_b64 s[28:29], s[28:29], s[30:31]
	v_cndmask_b32_e64 v8, v8, 0, s[28:29]
	v_or_b32_e32 v37, v8, v38
.LBB2_4360:                             ;   in Loop: Header=BB2_4004 Depth=3
	s_or_b64 exec, exec, s[72:73]
.LBB2_4361:                             ;   in Loop: Header=BB2_4004 Depth=3
	s_or_b64 exec, exec, s[70:71]
                                        ; implicit-def: $vgpr8
.LBB2_4362:                             ;   in Loop: Header=BB2_4004 Depth=3
	s_andn2_saveexec_b64 s[30:31], s[68:69]
; %bb.4363:                             ;   in Loop: Header=BB2_4004 Depth=3
	v_or_b32_sdwa v8, v8, s92 dst_sel:DWORD dst_unused:UNUSED_PAD src0_sel:BYTE_3 src1_sel:DWORD
	v_cmp_eq_u64_e64 s[28:29], 0, v[60:61]
	v_cndmask_b32_e64 v37, v8, v37, s[28:29]
; %bb.4364:                             ;   in Loop: Header=BB2_4004 Depth=3
	s_or_b64 exec, exec, s[30:31]
	v_cmp_lt_u64_e64 s[28:29], s[44:45], v[14:15]
	v_mov_b32_e32 v9, 0
	v_mov_b32_e32 v14, 0
	s_and_saveexec_b64 s[30:31], s[28:29]
	s_cbranch_execz .LBB2_4370
; %bb.4365:                             ;   in Loop: Header=BB2_4004 Depth=3
	v_lshrrev_b32_e32 v8, 24, v15
	v_cmp_ne_u32_e64 s[28:29], s91, v8
	v_bfrev_b32_e32 v14, 1
	s_and_saveexec_b64 s[68:69], s[28:29]
	s_cbranch_execz .LBB2_4369
; %bb.4366:                             ;   in Loop: Header=BB2_4004 Depth=3
	v_bfe_u32 v15, v15, 24, 7
	v_cmp_ne_u32_e64 s[28:29], s92, v15
	v_mov_b32_e32 v14, 0x7f800001
	s_and_saveexec_b64 s[70:71], s[28:29]
	s_cbranch_execz .LBB2_4368
; %bb.4367:                             ;   in Loop: Header=BB2_4004 Depth=3
	v_and_b32_e32 v14, 7, v8
	v_ffbh_u32_e32 v32, v14
	v_min_u32_e32 v35, 32, v32
	v_subrev_u32_e32 v32, 28, v35
	v_lshlrev_b64 v[32:33], v32, v[8:9]
	v_lshrrev_b32_e32 v34, 3, v15
	v_sub_u32_e32 v33, 29, v35
	v_and_b32_e32 v32, 7, v32
	v_cmp_gt_u32_e64 s[28:29], 8, v15
	v_cndmask_b32_e64 v15, v34, v33, s[28:29]
	v_cndmask_b32_e64 v14, v14, v32, s[28:29]
	v_lshlrev_b32_e32 v8, 24, v8
	v_lshlrev_b32_e32 v14, 20, v14
	v_and_b32_e32 v8, 0x80000000, v8
	v_lshl_add_u32 v15, v15, 23, v0
	v_or3_b32 v14, v8, v15, v14
.LBB2_4368:                             ;   in Loop: Header=BB2_4004 Depth=3
	s_or_b64 exec, exec, s[70:71]
.LBB2_4369:                             ;   in Loop: Header=BB2_4004 Depth=3
	s_or_b64 exec, exec, s[68:69]
.LBB2_4370:                             ;   in Loop: Header=BB2_4004 Depth=3
	s_or_b64 exec, exec, s[30:31]
	v_cmp_lt_u64_e64 s[28:29], s[44:45], v[10:11]
	s_and_saveexec_b64 s[30:31], s[28:29]
	s_cbranch_execz .LBB2_4376
; %bb.4371:                             ;   in Loop: Header=BB2_4004 Depth=3
	v_lshrrev_b32_e32 v8, 24, v11
	v_cmp_ne_u32_e64 s[28:29], s91, v8
	v_bfrev_b32_e32 v9, 1
	s_and_saveexec_b64 s[68:69], s[28:29]
	s_cbranch_execz .LBB2_4375
; %bb.4372:                             ;   in Loop: Header=BB2_4004 Depth=3
	v_bfe_u32 v10, v11, 24, 7
	v_cmp_ne_u32_e64 s[28:29], s92, v10
	v_mov_b32_e32 v9, 0x7f800001
	s_and_saveexec_b64 s[70:71], s[28:29]
	s_cbranch_execz .LBB2_4374
; %bb.4373:                             ;   in Loop: Header=BB2_4004 Depth=3
	v_and_b32_e32 v9, 7, v8
	v_ffbh_u32_e32 v15, v9
	v_min_u32_e32 v15, 32, v15
	v_subrev_u32_e32 v32, 28, v15
	v_lshlrev_b64 v[32:33], v32, v[8:9]
	v_lshrrev_b32_e32 v11, 3, v10
	v_sub_u32_e32 v15, 29, v15
	v_and_b32_e32 v32, 7, v32
	v_cmp_gt_u32_e64 s[28:29], 8, v10
	v_cndmask_b32_e64 v10, v11, v15, s[28:29]
	v_cndmask_b32_e64 v9, v9, v32, s[28:29]
	v_lshlrev_b32_e32 v8, 24, v8
	v_lshlrev_b32_e32 v9, 20, v9
	v_and_b32_e32 v8, 0x80000000, v8
	v_lshl_add_u32 v10, v10, 23, v0
	v_or3_b32 v9, v8, v10, v9
.LBB2_4374:                             ;   in Loop: Header=BB2_4004 Depth=3
	s_or_b64 exec, exec, s[70:71]
.LBB2_4375:                             ;   in Loop: Header=BB2_4004 Depth=3
	s_or_b64 exec, exec, s[68:69]
.LBB2_4376:                             ;   in Loop: Header=BB2_4004 Depth=3
	s_or_b64 exec, exec, s[30:31]
	v_add_f32_e32 v9, v14, v9
	v_and_b32_sdwa v10, v9, s91 dst_sel:DWORD dst_unused:UNUSED_PAD src0_sel:BYTE_3 src1_sel:DWORD
	v_and_b32_e32 v14, 0x7f800000, v9
	v_mov_b32_e32 v15, v61
	v_and_b32_e32 v60, 0x7fffff, v9
	v_or_b32_e32 v8, 0x7e, v10
	v_cmp_ne_u64_e64 s[28:29], s[54:55], v[14:15]
	s_and_saveexec_b64 s[30:31], s[28:29]
	s_xor_b64 s[68:69], exec, s[30:31]
	s_cbranch_execz .LBB2_4386
; %bb.4377:                             ;   in Loop: Header=BB2_4004 Depth=3
	v_and_b32_e32 v14, 0x7fffffff, v9
	v_mov_b32_e32 v15, v61
	v_cmp_gt_u64_e64 s[28:29], s[56:57], v[14:15]
	s_and_saveexec_b64 s[70:71], s[28:29]
	s_cbranch_execz .LBB2_4385
; %bb.4378:                             ;   in Loop: Header=BB2_4004 Depth=3
	v_cmp_ne_u32_e64 s[28:29], 0, v9
	v_mov_b32_e32 v8, 0
	s_and_saveexec_b64 s[72:73], s[28:29]
	s_cbranch_execz .LBB2_4384
; %bb.4379:                             ;   in Loop: Header=BB2_4004 Depth=3
	v_bfe_u32 v8, v9, 23, 8
	v_sub_u32_e32 v11, 0x79, v8
	v_cmp_gt_u32_e64 s[28:29], s93, v8
	v_add_u32_e32 v9, 0xffffff81, v8
	v_cndmask_b32_e64 v11, 0, v11, s[28:29]
	v_cmp_eq_u32_e64 s[28:29], 0, v8
	v_mov_b32_e32 v8, 0xffffff82
	v_cndmask_b32_e64 v15, v9, v8, s[28:29]
	v_mov_b32_e32 v8, 0x78
	v_or_b32_e32 v14, 0x800000, v60
	v_cndmask_b32_e64 v11, v11, v8, s[28:29]
	v_cndmask_b32_e64 v60, v14, v60, s[28:29]
	v_add_u32_e32 v8, 20, v11
	v_lshlrev_b64 v[8:9], v8, -1
	v_add_u32_e32 v14, 19, v11
	v_lshrrev_b64 v[34:35], v11, v[60:61]
	v_not_b32_e32 v9, v9
	v_not_b32_e32 v8, v8
	v_lshlrev_b64 v[32:33], v14, 1
	v_lshrrev_b32_e32 v14, 23, v34
	v_and_b32_e32 v9, 0, v9
	v_and_b32_e32 v8, v60, v8
	v_add3_u32 v15, v11, v15, v14
	v_bfe_u32 v11, v34, 20, 1
	v_add_u32_e32 v11, -1, v11
	v_cmp_eq_u64_e64 s[28:29], v[8:9], v[32:33]
	v_cndmask_b32_e64 v8, 0, v11, s[28:29]
	v_add_u32_e32 v8, v8, v34
	v_and_b32_e32 v8, 0xfffff, v8
	v_add_co_u32_e64 v8, s[28:29], v8, v34
	v_add_u32_e32 v14, 6, v15
	v_addc_co_u32_e64 v9, s[28:29], 0, v35, s[28:29]
	v_cmp_ne_u32_e64 s[28:29], 0, v14
                                        ; implicit-def: $vgpr11
	s_and_saveexec_b64 s[30:31], s[28:29]
	s_xor_b64 s[30:31], exec, s[30:31]
; %bb.4380:                             ;   in Loop: Header=BB2_4004 Depth=3
	v_add_u32_e32 v11, 7, v15
	v_cmp_lt_u64_e64 s[28:29], s[58:59], v[8:9]
	v_cndmask_b32_e64 v11, v14, v11, s[28:29]
	v_cndmask_b32_e64 v14, 0, 1, s[28:29]
	v_lshrrev_b64 v[8:9], v14, v[8:9]
; %bb.4381:                             ;   in Loop: Header=BB2_4004 Depth=3
	s_andn2_saveexec_b64 s[28:29], s[30:31]
; %bb.4382:                             ;   in Loop: Header=BB2_4004 Depth=3
	v_bfe_u32 v11, v8, 23, 1
; %bb.4383:                             ;   in Loop: Header=BB2_4004 Depth=3
	s_or_b64 exec, exec, s[28:29]
	v_lshrrev_b64 v[8:9], 20, v[8:9]
	v_cmp_gt_i32_e64 s[28:29], 16, v11
	v_cndmask_b32_e64 v9, 0, v9, s[28:29]
	v_cndmask_b32_e64 v8, 7, v8, s[28:29]
	v_cmp_eq_u64_e64 s[30:31], 0, v[8:9]
	v_min_i32_e32 v9, 15, v11
	v_lshlrev_b32_e32 v9, 3, v9
	v_cmp_eq_u32_e64 s[28:29], 0, v11
	v_and_b32_e32 v9, 0xf8, v9
	v_and_or_b32 v8, v8, 7, v9
	s_and_b64 s[28:29], s[28:29], s[30:31]
	v_cndmask_b32_e64 v8, v8, 0, s[28:29]
	v_or_b32_e32 v8, v8, v10
.LBB2_4384:                             ;   in Loop: Header=BB2_4004 Depth=3
	s_or_b64 exec, exec, s[72:73]
.LBB2_4385:                             ;   in Loop: Header=BB2_4004 Depth=3
	s_or_b64 exec, exec, s[70:71]
                                        ; implicit-def: $vgpr9
.LBB2_4386:                             ;   in Loop: Header=BB2_4004 Depth=3
	s_andn2_saveexec_b64 s[30:31], s[68:69]
	s_cbranch_execz .LBB2_4003
; %bb.4387:                             ;   in Loop: Header=BB2_4004 Depth=3
	v_or_b32_sdwa v9, v9, s92 dst_sel:DWORD dst_unused:UNUSED_PAD src0_sel:BYTE_3 src1_sel:DWORD
	v_cmp_eq_u64_e64 s[28:29], 0, v[60:61]
	v_cndmask_b32_e64 v8, v9, v8, s[28:29]
	s_branch .LBB2_4003
.LBB2_4388:                             ;   in Loop: Header=BB2_1783 Depth=2
	s_or_b64 exec, exec, s[66:67]
.LBB2_4389:                             ;   in Loop: Header=BB2_1783 Depth=2
	s_or_b64 exec, exec, s[36:37]
	buffer_load_dword v1, off, s[0:3], s33 offset:184 ; 4-byte Folded Reload
	s_mov_b64 s[30:31], 0
                                        ; implicit-def: $vgpr15
                                        ; implicit-def: $vgpr4
	s_waitcnt vmcnt(0)
	v_and_b32_e32 v5, 15, v1
	v_cndmask_b32_e32 v14, v23, v5, vcc
	v_cmp_ne_u32_e64 s[28:29], 0, v14
	v_mov_b32_e32 v1, 0
	s_and_saveexec_b64 s[36:37], s[28:29]
	s_cbranch_execz .LBB2_4391
; %bb.4390:                             ;   in Loop: Header=BB2_1783 Depth=2
	v_sub_u32_e32 v1, v23, v5
	v_cndmask_b32_e32 v1, 0, v1, vcc
	v_add3_u32 v1, v6, v2, v1
	v_cmp_lt_i32_e32 vcc, 0, v7
	v_accvgpr_read_b32 v2, a22
	v_cndmask_b32_e32 v2, 0, v2, vcc
	v_sub_u32_e32 v2, v2, v7
	v_lshl_add_u32 v15, v2, 6, v3
	v_ashrrev_i32_e32 v2, 31, v15
	v_lshrrev_b32_e32 v2, 26, v2
	v_add_u32_e32 v2, v15, v2
	s_mov_b64 s[30:31], exec
	v_ashrrev_i32_e32 v4, 6, v2
.LBB2_4391:                             ;   in Loop: Header=BB2_1783 Depth=2
	s_or_b64 exec, exec, s[36:37]
	s_and_b64 s[28:29], s[30:31], exec
.LBB2_4392:                             ;   in Loop: Header=BB2_1783 Depth=2
	s_or_b64 exec, exec, s[34:35]
	v_accvgpr_read_b32 v6, a22
	s_and_saveexec_b64 s[30:31], s[28:29]
	s_cbranch_execz .LBB2_3227
.LBB2_4393:                             ;   in Loop: Header=BB2_1783 Depth=2
	s_waitcnt vmcnt(0)
	v_ashrrev_i32_e32 v2, 31, v14
	v_add_u32_sdwa v2, v14, v2 dst_sel:DWORD dst_unused:UNUSED_PAD src0_sel:DWORD src1_sel:BYTE_3
	v_ashrrev_i32_e32 v6, 8, v2
	v_sub_u32_e32 v2, v6, v4
	v_ashrrev_i32_e32 v3, 31, v15
	v_cmp_lt_i32_e32 vcc, 0, v2
	v_lshrrev_b32_e32 v3, 26, v3
	s_and_saveexec_b64 s[34:35], vcc
	s_cbranch_execz .LBB2_4509
; %bb.4394:                             ;   in Loop: Header=BB2_1783 Depth=2
	s_trap 2
	ds_read_b128 v[8:11], v0
	ds_read_b64 v[12:13], v0
	v_add_u32_e32 v5, v15, v3
	v_and_b32_e32 v5, 0xffffffc0, v5
	v_sub_u32_e32 v5, v15, v5
	v_lshlrev_b32_e32 v4, 8, v4
	v_add3_u32 v7, v1, v5, v4
	v_ashrrev_i32_e32 v16, 31, v7
	s_waitcnt lgkmcnt(0)
	v_add_co_u32_e32 v4, vcc, v8, v7
	v_addc_co_u32_e32 v5, vcc, v9, v16, vcc
	v_add_co_u32_e32 v8, vcc, v10, v7
	v_addc_co_u32_e32 v9, vcc, v11, v16, vcc
	;; [unrolled: 2-line block ×3, first 2 shown]
	s_mov_b64 s[36:37], 0
	s_branch .LBB2_4396
.LBB2_4395:                             ;   in Loop: Header=BB2_4396 Depth=3
	s_or_b64 exec, exec, s[28:29]
	flat_store_byte v[10:11], v7 glc slc
	flat_store_byte v[10:11], v18 offset:64 glc slc
	flat_store_byte v[10:11], v19 offset:128 glc slc
	;; [unrolled: 1-line block ×3, first 2 shown]
	v_accvgpr_read_b32 v7, a46
	v_add_co_u32_e32 v4, vcc, v4, v7
	v_accvgpr_read_b32 v13, a47
	v_addc_co_u32_e32 v5, vcc, v5, v13, vcc
	v_add_co_u32_e32 v8, vcc, v8, v7
	v_accvgpr_read_b32 v12, a22
	v_addc_co_u32_e32 v9, vcc, v9, v13, vcc
	v_sub_u32_e32 v2, v2, v12
	v_cmp_gt_i32_e32 vcc, 1, v2
	s_or_b64 s[36:37], vcc, s[36:37]
	v_add_co_u32_e32 v10, vcc, v10, v7
	v_addc_co_u32_e32 v11, vcc, v11, v13, vcc
	s_andn2_b64 exec, exec, s[36:37]
	s_cbranch_execz .LBB2_4508
.LBB2_4396:                             ;   Parent Loop BB2_47 Depth=1
                                        ;     Parent Loop BB2_1783 Depth=2
                                        ; =>    This Inner Loop Header: Depth=3
	flat_load_ubyte v23, v[4:5] glc slc
	flat_load_ubyte v21, v[4:5] offset:64 glc slc
	flat_load_ubyte v20, v[4:5] offset:128 glc slc
	;; [unrolled: 1-line block ×3, first 2 shown]
	flat_load_ubyte v7, v[8:9] glc slc
	flat_load_ubyte v18, v[8:9] offset:64 glc slc
	flat_load_ubyte v19, v[8:9] offset:128 glc slc
	;; [unrolled: 1-line block ×3, first 2 shown]
	v_mov_b32_e32 v13, 0
	v_mov_b32_e32 v22, 0
	s_waitcnt vmcnt(0) lgkmcnt(0)
	v_cmp_ne_u16_e32 vcc, 0, v23
	s_and_saveexec_b64 s[28:29], vcc
	s_cbranch_execz .LBB2_4402
; %bb.4397:                             ;   in Loop: Header=BB2_4396 Depth=3
	v_cmp_ne_u16_e32 vcc, s91, v23
	v_bfrev_b32_e32 v22, 1
	s_and_saveexec_b64 s[66:67], vcc
	s_cbranch_execz .LBB2_4401
; %bb.4398:                             ;   in Loop: Header=BB2_4396 Depth=3
	v_and_b32_e32 v12, 0xffff, v23
	v_and_b32_e32 v24, 0x7f, v12
	v_cmp_ne_u32_e32 vcc, s92, v24
	v_mov_b32_e32 v22, 0x7f800001
	s_and_saveexec_b64 s[68:69], vcc
	s_cbranch_execz .LBB2_4400
; %bb.4399:                             ;   in Loop: Header=BB2_4396 Depth=3
	v_and_b32_e32 v22, 7, v12
	v_ffbh_u32_e32 v26, v22
	v_min_u32_e32 v28, 32, v26
	v_subrev_u32_e32 v26, 28, v28
	v_lshlrev_b64 v[26:27], v26, v[12:13]
	v_lshrrev_b32_e32 v25, 3, v24
	v_sub_u32_e32 v12, 29, v28
	v_and_b32_e32 v26, 7, v26
	v_cmp_gt_u32_e32 vcc, 8, v24
	v_cndmask_b32_e32 v12, v25, v12, vcc
	v_cndmask_b32_e32 v22, v22, v26, vcc
	v_lshlrev_b32_e32 v23, 24, v23
	v_lshlrev_b32_e32 v22, 20, v22
	v_and_b32_e32 v23, 0x80000000, v23
	v_lshl_add_u32 v12, v12, 23, v0
	v_or3_b32 v22, v23, v12, v22
.LBB2_4400:                             ;   in Loop: Header=BB2_4396 Depth=3
	s_or_b64 exec, exec, s[68:69]
.LBB2_4401:                             ;   in Loop: Header=BB2_4396 Depth=3
	s_or_b64 exec, exec, s[66:67]
.LBB2_4402:                             ;   in Loop: Header=BB2_4396 Depth=3
	s_or_b64 exec, exec, s[28:29]
	v_and_b32_e32 v12, 0xff, v7
	v_cmp_ne_u16_e32 vcc, 0, v12
	s_and_saveexec_b64 s[28:29], vcc
	s_cbranch_execz .LBB2_4408
; %bb.4403:                             ;   in Loop: Header=BB2_4396 Depth=3
	v_cmp_ne_u16_e32 vcc, s91, v12
	v_bfrev_b32_e32 v13, 1
	s_and_saveexec_b64 s[66:67], vcc
	s_cbranch_execz .LBB2_4407
; %bb.4404:                             ;   in Loop: Header=BB2_4396 Depth=3
	v_and_b32_e32 v23, 0x7f, v7
	v_cmp_ne_u32_e32 vcc, s92, v23
	v_mov_b32_e32 v13, 0x7f800001
	s_and_saveexec_b64 s[68:69], vcc
	s_cbranch_execz .LBB2_4406
; %bb.4405:                             ;   in Loop: Header=BB2_4396 Depth=3
	v_and_b32_e32 v24, 7, v12
	v_ffbh_u32_e32 v13, v24
	v_min_u32_e32 v26, 32, v13
	v_subrev_u32_e32 v13, 28, v26
	v_lshlrev_b64 v[12:13], v13, v[12:13]
	v_lshrrev_b32_e32 v25, 3, v23
	v_sub_u32_e32 v13, 29, v26
	v_and_b32_e32 v12, 7, v12
	v_cmp_gt_u32_e32 vcc, 8, v23
	v_cndmask_b32_e32 v13, v25, v13, vcc
	v_cndmask_b32_e32 v12, v24, v12, vcc
	v_lshlrev_b32_e32 v7, 24, v7
	v_lshlrev_b32_e32 v12, 20, v12
	v_and_b32_e32 v7, 0x80000000, v7
	v_lshl_add_u32 v13, v13, 23, v0
	v_or3_b32 v13, v7, v13, v12
.LBB2_4406:                             ;   in Loop: Header=BB2_4396 Depth=3
	s_or_b64 exec, exec, s[68:69]
.LBB2_4407:                             ;   in Loop: Header=BB2_4396 Depth=3
	s_or_b64 exec, exec, s[66:67]
.LBB2_4408:                             ;   in Loop: Header=BB2_4396 Depth=3
	s_or_b64 exec, exec, s[28:29]
	v_add_f32_e32 v12, v22, v13
	v_and_b32_sdwa v22, v12, s91 dst_sel:DWORD dst_unused:UNUSED_PAD src0_sel:BYTE_3 src1_sel:DWORD
	v_and_b32_e32 v24, 0x7f800000, v12
	v_mov_b32_e32 v25, v61
	v_and_b32_e32 v60, 0x7fffff, v12
	v_or_b32_e32 v7, 0x7e, v22
	v_cmp_ne_u64_e32 vcc, s[54:55], v[24:25]
	s_and_saveexec_b64 s[28:29], vcc
	s_xor_b64 s[66:67], exec, s[28:29]
	s_cbranch_execz .LBB2_4422
; %bb.4409:                             ;   in Loop: Header=BB2_4396 Depth=3
	v_and_b32_e32 v24, 0x7fffffff, v12
	v_mov_b32_e32 v25, v61
	v_cmp_gt_u64_e32 vcc, s[56:57], v[24:25]
	s_and_saveexec_b64 s[28:29], vcc
	s_xor_b64 s[68:69], exec, s[28:29]
	s_cbranch_execz .LBB2_4421
; %bb.4410:                             ;   in Loop: Header=BB2_4396 Depth=3
	v_cmp_ne_u32_e32 vcc, 0, v12
	v_mov_b32_e32 v7, 0
	s_and_saveexec_b64 s[70:71], vcc
	s_cbranch_execz .LBB2_4420
; %bb.4411:                             ;   in Loop: Header=BB2_4396 Depth=3
	v_bfe_u32 v7, v12, 23, 8
	v_sub_u32_e32 v13, 0x79, v7
	v_cmp_gt_u32_e32 vcc, s93, v7
	v_add_u32_e32 v12, 0xffffff81, v7
	v_cndmask_b32_e32 v13, 0, v13, vcc
	v_cmp_eq_u32_e32 vcc, 0, v7
	v_mov_b32_e32 v7, 0xffffff82
	v_cndmask_b32_e32 v7, v12, v7, vcc
	v_mov_b32_e32 v12, 0x78
	v_or_b32_e32 v23, 0x800000, v60
	v_cndmask_b32_e32 v24, v13, v12, vcc
	v_cndmask_b32_e32 v60, v23, v60, vcc
	v_add_u32_e32 v12, 20, v24
	v_lshlrev_b64 v[12:13], v12, -1
	v_add_u32_e32 v23, 19, v24
	v_lshrrev_b64 v[28:29], v24, v[60:61]
	v_not_b32_e32 v13, v13
	v_not_b32_e32 v12, v12
	v_lshlrev_b64 v[26:27], v23, 1
	v_lshrrev_b32_e32 v23, 23, v28
	v_and_b32_e32 v13, 0, v13
	v_and_b32_e32 v12, v60, v12
	v_add3_u32 v24, v24, v7, v23
	v_bfe_u32 v23, v28, 20, 1
	v_add_u32_e32 v23, -1, v23
	v_cmp_eq_u64_e32 vcc, v[12:13], v[26:27]
	v_cndmask_b32_e32 v12, 0, v23, vcc
	v_add_u32_e32 v12, v12, v28
	v_and_b32_e32 v12, 0xfffff, v12
	v_add_co_u32_e32 v12, vcc, v12, v28
	v_add_u32_e32 v7, 6, v24
	v_addc_co_u32_e32 v13, vcc, 0, v29, vcc
	v_cmp_ne_u32_e32 vcc, 0, v7
                                        ; implicit-def: $vgpr23
	s_and_saveexec_b64 s[28:29], vcc
	s_xor_b64 s[28:29], exec, s[28:29]
; %bb.4412:                             ;   in Loop: Header=BB2_4396 Depth=3
	v_add_u32_e32 v23, 7, v24
	v_cmp_lt_u64_e32 vcc, s[58:59], v[12:13]
	v_cndmask_b32_e32 v23, v7, v23, vcc
	v_cndmask_b32_e64 v7, 0, 1, vcc
	v_lshrrev_b64 v[12:13], v7, v[12:13]
; %bb.4413:                             ;   in Loop: Header=BB2_4396 Depth=3
	s_andn2_saveexec_b64 s[28:29], s[28:29]
; %bb.4414:                             ;   in Loop: Header=BB2_4396 Depth=3
	v_bfe_u32 v23, v12, 23, 1
; %bb.4415:                             ;   in Loop: Header=BB2_4396 Depth=3
	s_or_b64 exec, exec, s[28:29]
	v_lshrrev_b64 v[12:13], 20, v[12:13]
	v_cmp_gt_i32_e32 vcc, 16, v23
	v_cndmask_b32_e32 v13, 0, v13, vcc
	v_cndmask_b32_e32 v12, 7, v12, vcc
	v_cmp_ne_u32_e32 vcc, 0, v23
	v_cmp_ne_u64_e64 s[28:29], 0, v[12:13]
	s_or_b64 s[28:29], vcc, s[28:29]
                                        ; implicit-def: $vgpr7
	s_and_saveexec_b64 vcc, s[28:29]
	s_xor_b64 s[28:29], exec, vcc
; %bb.4416:                             ;   in Loop: Header=BB2_4396 Depth=3
	v_min_i32_e32 v7, 15, v23
	v_lshl_or_b32 v7, v7, 3, v22
	v_and_or_b32 v7, v12, 7, v7
                                        ; implicit-def: $vgpr22
; %bb.4417:                             ;   in Loop: Header=BB2_4396 Depth=3
	s_andn2_saveexec_b64 s[28:29], s[28:29]
; %bb.4418:                             ;   in Loop: Header=BB2_4396 Depth=3
	v_mov_b32_e32 v7, v22
; %bb.4419:                             ;   in Loop: Header=BB2_4396 Depth=3
	s_or_b64 exec, exec, s[28:29]
.LBB2_4420:                             ;   in Loop: Header=BB2_4396 Depth=3
	s_or_b64 exec, exec, s[70:71]
.LBB2_4421:                             ;   in Loop: Header=BB2_4396 Depth=3
	s_andn2_saveexec_b64 s[28:29], s[68:69]
	s_or_b64 exec, exec, s[28:29]
                                        ; implicit-def: $vgpr12
.LBB2_4422:                             ;   in Loop: Header=BB2_4396 Depth=3
	s_andn2_saveexec_b64 s[28:29], s[66:67]
; %bb.4423:                             ;   in Loop: Header=BB2_4396 Depth=3
	v_or_b32_sdwa v12, v12, s92 dst_sel:DWORD dst_unused:UNUSED_PAD src0_sel:BYTE_3 src1_sel:DWORD
	v_cmp_eq_u64_e32 vcc, 0, v[60:61]
	v_cndmask_b32_e32 v7, v12, v7, vcc
; %bb.4424:                             ;   in Loop: Header=BB2_4396 Depth=3
	s_or_b64 exec, exec, s[28:29]
	v_and_b32_e32 v12, 0xff, v21
	v_cmp_ne_u16_e32 vcc, 0, v12
	v_mov_b32_e32 v13, 0
	v_mov_b32_e32 v22, 0
	s_and_saveexec_b64 s[28:29], vcc
	s_cbranch_execz .LBB2_4430
; %bb.4425:                             ;   in Loop: Header=BB2_4396 Depth=3
	v_cmp_ne_u16_e32 vcc, s91, v12
	v_bfrev_b32_e32 v22, 1
	s_and_saveexec_b64 s[66:67], vcc
	s_cbranch_execz .LBB2_4429
; %bb.4426:                             ;   in Loop: Header=BB2_4396 Depth=3
	v_and_b32_e32 v23, 0x7f, v21
	v_cmp_ne_u32_e32 vcc, s92, v23
	v_mov_b32_e32 v22, 0x7f800001
	s_and_saveexec_b64 s[68:69], vcc
	s_cbranch_execz .LBB2_4428
; %bb.4427:                             ;   in Loop: Header=BB2_4396 Depth=3
	v_and_b32_e32 v22, 7, v12
	v_ffbh_u32_e32 v24, v22
	v_min_u32_e32 v27, 32, v24
	v_subrev_u32_e32 v24, 28, v27
	v_lshlrev_b64 v[24:25], v24, v[12:13]
	v_lshrrev_b32_e32 v26, 3, v23
	v_sub_u32_e32 v12, 29, v27
	v_and_b32_e32 v24, 7, v24
	v_cmp_gt_u32_e32 vcc, 8, v23
	v_cndmask_b32_e32 v12, v26, v12, vcc
	v_cndmask_b32_e32 v22, v22, v24, vcc
	v_lshlrev_b32_e32 v21, 24, v21
	v_lshlrev_b32_e32 v22, 20, v22
	v_and_b32_e32 v21, 0x80000000, v21
	v_lshl_add_u32 v12, v12, 23, v0
	v_or3_b32 v22, v21, v12, v22
.LBB2_4428:                             ;   in Loop: Header=BB2_4396 Depth=3
	s_or_b64 exec, exec, s[68:69]
.LBB2_4429:                             ;   in Loop: Header=BB2_4396 Depth=3
	s_or_b64 exec, exec, s[66:67]
.LBB2_4430:                             ;   in Loop: Header=BB2_4396 Depth=3
	s_or_b64 exec, exec, s[28:29]
	v_and_b32_e32 v12, 0xff, v18
	v_cmp_ne_u16_e32 vcc, 0, v12
	s_and_saveexec_b64 s[28:29], vcc
	s_cbranch_execz .LBB2_4436
; %bb.4431:                             ;   in Loop: Header=BB2_4396 Depth=3
	v_cmp_ne_u16_e32 vcc, s91, v12
	v_bfrev_b32_e32 v13, 1
	s_and_saveexec_b64 s[66:67], vcc
	s_cbranch_execz .LBB2_4435
; %bb.4432:                             ;   in Loop: Header=BB2_4396 Depth=3
	v_and_b32_e32 v21, 0x7f, v18
	v_cmp_ne_u32_e32 vcc, s92, v21
	v_mov_b32_e32 v13, 0x7f800001
	s_and_saveexec_b64 s[68:69], vcc
	s_cbranch_execz .LBB2_4434
; %bb.4433:                             ;   in Loop: Header=BB2_4396 Depth=3
	v_and_b32_e32 v23, 7, v12
	v_ffbh_u32_e32 v13, v23
	v_min_u32_e32 v25, 32, v13
	v_subrev_u32_e32 v13, 28, v25
	v_lshlrev_b64 v[12:13], v13, v[12:13]
	v_lshrrev_b32_e32 v24, 3, v21
	v_sub_u32_e32 v13, 29, v25
	v_and_b32_e32 v12, 7, v12
	v_cmp_gt_u32_e32 vcc, 8, v21
	v_cndmask_b32_e32 v13, v24, v13, vcc
	v_cndmask_b32_e32 v12, v23, v12, vcc
	v_lshlrev_b32_e32 v18, 24, v18
	v_lshlrev_b32_e32 v12, 20, v12
	v_and_b32_e32 v18, 0x80000000, v18
	v_lshl_add_u32 v13, v13, 23, v0
	v_or3_b32 v13, v18, v13, v12
.LBB2_4434:                             ;   in Loop: Header=BB2_4396 Depth=3
	s_or_b64 exec, exec, s[68:69]
.LBB2_4435:                             ;   in Loop: Header=BB2_4396 Depth=3
	s_or_b64 exec, exec, s[66:67]
.LBB2_4436:                             ;   in Loop: Header=BB2_4396 Depth=3
	s_or_b64 exec, exec, s[28:29]
	v_add_f32_e32 v12, v22, v13
	v_and_b32_sdwa v21, v12, s91 dst_sel:DWORD dst_unused:UNUSED_PAD src0_sel:BYTE_3 src1_sel:DWORD
	v_and_b32_e32 v22, 0x7f800000, v12
	v_mov_b32_e32 v23, v61
	v_and_b32_e32 v60, 0x7fffff, v12
	v_or_b32_e32 v18, 0x7e, v21
	v_cmp_ne_u64_e32 vcc, s[54:55], v[22:23]
	s_and_saveexec_b64 s[28:29], vcc
	s_xor_b64 s[66:67], exec, s[28:29]
	s_cbranch_execz .LBB2_4450
; %bb.4437:                             ;   in Loop: Header=BB2_4396 Depth=3
	v_and_b32_e32 v22, 0x7fffffff, v12
	v_mov_b32_e32 v23, v61
	v_cmp_gt_u64_e32 vcc, s[56:57], v[22:23]
	s_and_saveexec_b64 s[28:29], vcc
	s_xor_b64 s[68:69], exec, s[28:29]
	s_cbranch_execz .LBB2_4449
; %bb.4438:                             ;   in Loop: Header=BB2_4396 Depth=3
	v_cmp_ne_u32_e32 vcc, 0, v12
	v_mov_b32_e32 v18, 0
	s_and_saveexec_b64 s[70:71], vcc
	s_cbranch_execz .LBB2_4448
; %bb.4439:                             ;   in Loop: Header=BB2_4396 Depth=3
	v_bfe_u32 v12, v12, 23, 8
	v_sub_u32_e32 v18, 0x79, v12
	v_cmp_gt_u32_e32 vcc, s93, v12
	v_add_u32_e32 v13, 0xffffff81, v12
	v_cndmask_b32_e32 v18, 0, v18, vcc
	v_cmp_eq_u32_e32 vcc, 0, v12
	v_mov_b32_e32 v12, 0xffffff82
	v_cndmask_b32_e32 v23, v13, v12, vcc
	v_mov_b32_e32 v12, 0x78
	v_or_b32_e32 v22, 0x800000, v60
	v_cndmask_b32_e32 v18, v18, v12, vcc
	v_cndmask_b32_e32 v60, v22, v60, vcc
	v_add_u32_e32 v12, 20, v18
	v_lshlrev_b64 v[12:13], v12, -1
	v_add_u32_e32 v22, 19, v18
	v_lshrrev_b64 v[26:27], v18, v[60:61]
	v_not_b32_e32 v13, v13
	v_not_b32_e32 v12, v12
	v_lshlrev_b64 v[24:25], v22, 1
	v_lshrrev_b32_e32 v22, 23, v26
	v_and_b32_e32 v13, 0, v13
	v_and_b32_e32 v12, v60, v12
	v_add3_u32 v23, v18, v23, v22
	v_bfe_u32 v22, v26, 20, 1
	v_add_u32_e32 v22, -1, v22
	v_cmp_eq_u64_e32 vcc, v[12:13], v[24:25]
	v_cndmask_b32_e32 v12, 0, v22, vcc
	v_add_u32_e32 v12, v12, v26
	v_and_b32_e32 v12, 0xfffff, v12
	v_add_co_u32_e32 v12, vcc, v12, v26
	v_add_u32_e32 v18, 6, v23
	v_addc_co_u32_e32 v13, vcc, 0, v27, vcc
	v_cmp_ne_u32_e32 vcc, 0, v18
                                        ; implicit-def: $vgpr22
	s_and_saveexec_b64 s[28:29], vcc
	s_xor_b64 s[28:29], exec, s[28:29]
; %bb.4440:                             ;   in Loop: Header=BB2_4396 Depth=3
	v_add_u32_e32 v22, 7, v23
	v_cmp_lt_u64_e32 vcc, s[58:59], v[12:13]
	v_cndmask_b32_e32 v22, v18, v22, vcc
	v_cndmask_b32_e64 v18, 0, 1, vcc
	v_lshrrev_b64 v[12:13], v18, v[12:13]
; %bb.4441:                             ;   in Loop: Header=BB2_4396 Depth=3
	s_andn2_saveexec_b64 s[28:29], s[28:29]
; %bb.4442:                             ;   in Loop: Header=BB2_4396 Depth=3
	v_bfe_u32 v22, v12, 23, 1
; %bb.4443:                             ;   in Loop: Header=BB2_4396 Depth=3
	s_or_b64 exec, exec, s[28:29]
	v_lshrrev_b64 v[12:13], 20, v[12:13]
	v_cmp_gt_i32_e32 vcc, 16, v22
	v_cndmask_b32_e32 v13, 0, v13, vcc
	v_cndmask_b32_e32 v12, 7, v12, vcc
	v_cmp_ne_u32_e32 vcc, 0, v22
	v_cmp_ne_u64_e64 s[28:29], 0, v[12:13]
	s_or_b64 s[28:29], vcc, s[28:29]
                                        ; implicit-def: $vgpr18
	s_and_saveexec_b64 vcc, s[28:29]
	s_xor_b64 s[28:29], exec, vcc
; %bb.4444:                             ;   in Loop: Header=BB2_4396 Depth=3
	v_min_i32_e32 v13, 15, v22
	v_lshl_or_b32 v13, v13, 3, v21
	v_and_or_b32 v18, v12, 7, v13
                                        ; implicit-def: $vgpr21
; %bb.4445:                             ;   in Loop: Header=BB2_4396 Depth=3
	s_andn2_saveexec_b64 s[28:29], s[28:29]
; %bb.4446:                             ;   in Loop: Header=BB2_4396 Depth=3
	v_mov_b32_e32 v18, v21
; %bb.4447:                             ;   in Loop: Header=BB2_4396 Depth=3
	s_or_b64 exec, exec, s[28:29]
.LBB2_4448:                             ;   in Loop: Header=BB2_4396 Depth=3
	s_or_b64 exec, exec, s[70:71]
.LBB2_4449:                             ;   in Loop: Header=BB2_4396 Depth=3
	s_andn2_saveexec_b64 s[28:29], s[68:69]
	s_or_b64 exec, exec, s[28:29]
                                        ; implicit-def: $vgpr12
.LBB2_4450:                             ;   in Loop: Header=BB2_4396 Depth=3
	s_andn2_saveexec_b64 s[28:29], s[66:67]
; %bb.4451:                             ;   in Loop: Header=BB2_4396 Depth=3
	v_or_b32_sdwa v12, v12, s92 dst_sel:DWORD dst_unused:UNUSED_PAD src0_sel:BYTE_3 src1_sel:DWORD
	v_cmp_eq_u64_e32 vcc, 0, v[60:61]
	v_cndmask_b32_e32 v18, v12, v18, vcc
; %bb.4452:                             ;   in Loop: Header=BB2_4396 Depth=3
	s_or_b64 exec, exec, s[28:29]
	v_and_b32_e32 v12, 0xff, v20
	v_cmp_ne_u16_e32 vcc, 0, v12
	v_mov_b32_e32 v13, 0
	v_mov_b32_e32 v21, 0
	s_and_saveexec_b64 s[28:29], vcc
	s_cbranch_execz .LBB2_4458
; %bb.4453:                             ;   in Loop: Header=BB2_4396 Depth=3
	v_cmp_ne_u16_e32 vcc, s91, v12
	v_bfrev_b32_e32 v21, 1
	s_and_saveexec_b64 s[66:67], vcc
	s_cbranch_execz .LBB2_4457
; %bb.4454:                             ;   in Loop: Header=BB2_4396 Depth=3
	v_and_b32_e32 v22, 0x7f, v20
	v_cmp_ne_u32_e32 vcc, s92, v22
	v_mov_b32_e32 v21, 0x7f800001
	s_and_saveexec_b64 s[68:69], vcc
	s_cbranch_execz .LBB2_4456
; %bb.4455:                             ;   in Loop: Header=BB2_4396 Depth=3
	v_and_b32_e32 v21, 7, v12
	v_ffbh_u32_e32 v24, v21
	v_min_u32_e32 v26, 32, v24
	v_subrev_u32_e32 v24, 28, v26
	v_lshlrev_b64 v[24:25], v24, v[12:13]
	v_lshrrev_b32_e32 v23, 3, v22
	v_sub_u32_e32 v12, 29, v26
	v_and_b32_e32 v24, 7, v24
	v_cmp_gt_u32_e32 vcc, 8, v22
	v_cndmask_b32_e32 v12, v23, v12, vcc
	v_cndmask_b32_e32 v21, v21, v24, vcc
	v_lshlrev_b32_e32 v20, 24, v20
	v_lshlrev_b32_e32 v21, 20, v21
	v_and_b32_e32 v20, 0x80000000, v20
	v_lshl_add_u32 v12, v12, 23, v0
	v_or3_b32 v21, v20, v12, v21
.LBB2_4456:                             ;   in Loop: Header=BB2_4396 Depth=3
	s_or_b64 exec, exec, s[68:69]
.LBB2_4457:                             ;   in Loop: Header=BB2_4396 Depth=3
	s_or_b64 exec, exec, s[66:67]
.LBB2_4458:                             ;   in Loop: Header=BB2_4396 Depth=3
	s_or_b64 exec, exec, s[28:29]
	v_and_b32_e32 v12, 0xff, v19
	v_cmp_ne_u16_e32 vcc, 0, v12
	s_and_saveexec_b64 s[28:29], vcc
	s_cbranch_execz .LBB2_4464
; %bb.4459:                             ;   in Loop: Header=BB2_4396 Depth=3
	v_cmp_ne_u16_e32 vcc, s91, v12
	v_bfrev_b32_e32 v13, 1
	s_and_saveexec_b64 s[66:67], vcc
	s_cbranch_execz .LBB2_4463
; %bb.4460:                             ;   in Loop: Header=BB2_4396 Depth=3
	v_and_b32_e32 v20, 0x7f, v19
	v_cmp_ne_u32_e32 vcc, s92, v20
	v_mov_b32_e32 v13, 0x7f800001
	s_and_saveexec_b64 s[68:69], vcc
	s_cbranch_execz .LBB2_4462
; %bb.4461:                             ;   in Loop: Header=BB2_4396 Depth=3
	v_and_b32_e32 v22, 7, v12
	v_ffbh_u32_e32 v13, v22
	v_min_u32_e32 v24, 32, v13
	v_subrev_u32_e32 v13, 28, v24
	v_lshlrev_b64 v[12:13], v13, v[12:13]
	v_lshrrev_b32_e32 v23, 3, v20
	v_sub_u32_e32 v13, 29, v24
	v_and_b32_e32 v12, 7, v12
	v_cmp_gt_u32_e32 vcc, 8, v20
	v_cndmask_b32_e32 v13, v23, v13, vcc
	v_cndmask_b32_e32 v12, v22, v12, vcc
	v_lshlrev_b32_e32 v19, 24, v19
	v_lshlrev_b32_e32 v12, 20, v12
	v_and_b32_e32 v19, 0x80000000, v19
	v_lshl_add_u32 v13, v13, 23, v0
	v_or3_b32 v13, v19, v13, v12
.LBB2_4462:                             ;   in Loop: Header=BB2_4396 Depth=3
	s_or_b64 exec, exec, s[68:69]
.LBB2_4463:                             ;   in Loop: Header=BB2_4396 Depth=3
	s_or_b64 exec, exec, s[66:67]
.LBB2_4464:                             ;   in Loop: Header=BB2_4396 Depth=3
	s_or_b64 exec, exec, s[28:29]
	v_add_f32_e32 v12, v21, v13
	v_and_b32_sdwa v20, v12, s91 dst_sel:DWORD dst_unused:UNUSED_PAD src0_sel:BYTE_3 src1_sel:DWORD
	v_and_b32_e32 v22, 0x7f800000, v12
	v_mov_b32_e32 v23, v61
	v_and_b32_e32 v60, 0x7fffff, v12
	v_or_b32_e32 v19, 0x7e, v20
	v_cmp_ne_u64_e32 vcc, s[54:55], v[22:23]
	s_and_saveexec_b64 s[28:29], vcc
	s_xor_b64 s[66:67], exec, s[28:29]
	s_cbranch_execz .LBB2_4478
; %bb.4465:                             ;   in Loop: Header=BB2_4396 Depth=3
	v_and_b32_e32 v22, 0x7fffffff, v12
	v_mov_b32_e32 v23, v61
	v_cmp_gt_u64_e32 vcc, s[56:57], v[22:23]
	s_and_saveexec_b64 s[28:29], vcc
	s_xor_b64 s[68:69], exec, s[28:29]
	s_cbranch_execz .LBB2_4477
; %bb.4466:                             ;   in Loop: Header=BB2_4396 Depth=3
	v_cmp_ne_u32_e32 vcc, 0, v12
	v_mov_b32_e32 v19, 0
	s_and_saveexec_b64 s[70:71], vcc
	s_cbranch_execz .LBB2_4476
; %bb.4467:                             ;   in Loop: Header=BB2_4396 Depth=3
	v_bfe_u32 v12, v12, 23, 8
	v_sub_u32_e32 v19, 0x79, v12
	v_cmp_gt_u32_e32 vcc, s93, v12
	v_add_u32_e32 v13, 0xffffff81, v12
	v_cndmask_b32_e32 v19, 0, v19, vcc
	v_cmp_eq_u32_e32 vcc, 0, v12
	v_mov_b32_e32 v12, 0xffffff82
	v_cndmask_b32_e32 v22, v13, v12, vcc
	v_mov_b32_e32 v12, 0x78
	v_or_b32_e32 v21, 0x800000, v60
	v_cndmask_b32_e32 v19, v19, v12, vcc
	v_cndmask_b32_e32 v60, v21, v60, vcc
	v_add_u32_e32 v12, 20, v19
	v_lshlrev_b64 v[12:13], v12, -1
	v_add_u32_e32 v21, 19, v19
	v_lshrrev_b64 v[26:27], v19, v[60:61]
	v_not_b32_e32 v13, v13
	v_not_b32_e32 v12, v12
	v_lshlrev_b64 v[24:25], v21, 1
	v_lshrrev_b32_e32 v21, 23, v26
	v_and_b32_e32 v13, 0, v13
	v_and_b32_e32 v12, v60, v12
	v_add3_u32 v22, v19, v22, v21
	v_bfe_u32 v21, v26, 20, 1
	v_add_u32_e32 v21, -1, v21
	v_cmp_eq_u64_e32 vcc, v[12:13], v[24:25]
	v_cndmask_b32_e32 v12, 0, v21, vcc
	v_add_u32_e32 v12, v12, v26
	v_and_b32_e32 v12, 0xfffff, v12
	v_add_co_u32_e32 v12, vcc, v12, v26
	v_add_u32_e32 v19, 6, v22
	v_addc_co_u32_e32 v13, vcc, 0, v27, vcc
	v_cmp_ne_u32_e32 vcc, 0, v19
                                        ; implicit-def: $vgpr21
	s_and_saveexec_b64 s[28:29], vcc
	s_xor_b64 s[28:29], exec, s[28:29]
; %bb.4468:                             ;   in Loop: Header=BB2_4396 Depth=3
	v_add_u32_e32 v21, 7, v22
	v_cmp_lt_u64_e32 vcc, s[58:59], v[12:13]
	v_cndmask_b32_e32 v21, v19, v21, vcc
	v_cndmask_b32_e64 v19, 0, 1, vcc
	v_lshrrev_b64 v[12:13], v19, v[12:13]
; %bb.4469:                             ;   in Loop: Header=BB2_4396 Depth=3
	s_andn2_saveexec_b64 s[28:29], s[28:29]
; %bb.4470:                             ;   in Loop: Header=BB2_4396 Depth=3
	v_bfe_u32 v21, v12, 23, 1
; %bb.4471:                             ;   in Loop: Header=BB2_4396 Depth=3
	s_or_b64 exec, exec, s[28:29]
	v_lshrrev_b64 v[12:13], 20, v[12:13]
	v_cmp_gt_i32_e32 vcc, 16, v21
	v_cndmask_b32_e32 v13, 0, v13, vcc
	v_cndmask_b32_e32 v12, 7, v12, vcc
	v_cmp_ne_u32_e32 vcc, 0, v21
	v_cmp_ne_u64_e64 s[28:29], 0, v[12:13]
	s_or_b64 s[28:29], vcc, s[28:29]
                                        ; implicit-def: $vgpr19
	s_and_saveexec_b64 vcc, s[28:29]
	s_xor_b64 s[28:29], exec, vcc
; %bb.4472:                             ;   in Loop: Header=BB2_4396 Depth=3
	v_min_i32_e32 v13, 15, v21
	v_lshl_or_b32 v13, v13, 3, v20
	v_and_or_b32 v19, v12, 7, v13
                                        ; implicit-def: $vgpr20
; %bb.4473:                             ;   in Loop: Header=BB2_4396 Depth=3
	s_andn2_saveexec_b64 s[28:29], s[28:29]
; %bb.4474:                             ;   in Loop: Header=BB2_4396 Depth=3
	v_mov_b32_e32 v19, v20
; %bb.4475:                             ;   in Loop: Header=BB2_4396 Depth=3
	s_or_b64 exec, exec, s[28:29]
.LBB2_4476:                             ;   in Loop: Header=BB2_4396 Depth=3
	s_or_b64 exec, exec, s[70:71]
.LBB2_4477:                             ;   in Loop: Header=BB2_4396 Depth=3
	s_andn2_saveexec_b64 s[28:29], s[68:69]
	s_or_b64 exec, exec, s[28:29]
                                        ; implicit-def: $vgpr12
.LBB2_4478:                             ;   in Loop: Header=BB2_4396 Depth=3
	s_andn2_saveexec_b64 s[28:29], s[66:67]
; %bb.4479:                             ;   in Loop: Header=BB2_4396 Depth=3
	v_or_b32_sdwa v12, v12, s92 dst_sel:DWORD dst_unused:UNUSED_PAD src0_sel:BYTE_3 src1_sel:DWORD
	v_cmp_eq_u64_e32 vcc, 0, v[60:61]
	v_cndmask_b32_e32 v19, v12, v19, vcc
; %bb.4480:                             ;   in Loop: Header=BB2_4396 Depth=3
	s_or_b64 exec, exec, s[28:29]
	v_and_b32_e32 v12, 0xff, v17
	v_cmp_ne_u16_e32 vcc, 0, v12
	v_mov_b32_e32 v13, 0
	v_mov_b32_e32 v20, 0
	s_and_saveexec_b64 s[28:29], vcc
	s_cbranch_execz .LBB2_4486
; %bb.4481:                             ;   in Loop: Header=BB2_4396 Depth=3
	v_cmp_ne_u16_e32 vcc, s91, v12
	v_bfrev_b32_e32 v20, 1
	s_and_saveexec_b64 s[66:67], vcc
	s_cbranch_execz .LBB2_4485
; %bb.4482:                             ;   in Loop: Header=BB2_4396 Depth=3
	v_and_b32_e32 v21, 0x7f, v17
	v_cmp_ne_u32_e32 vcc, s92, v21
	v_mov_b32_e32 v20, 0x7f800001
	s_and_saveexec_b64 s[68:69], vcc
	s_cbranch_execz .LBB2_4484
; %bb.4483:                             ;   in Loop: Header=BB2_4396 Depth=3
	v_and_b32_e32 v20, 7, v12
	v_ffbh_u32_e32 v22, v20
	v_min_u32_e32 v25, 32, v22
	v_subrev_u32_e32 v22, 28, v25
	v_lshlrev_b64 v[22:23], v22, v[12:13]
	v_lshrrev_b32_e32 v24, 3, v21
	v_sub_u32_e32 v12, 29, v25
	v_and_b32_e32 v22, 7, v22
	v_cmp_gt_u32_e32 vcc, 8, v21
	v_cndmask_b32_e32 v12, v24, v12, vcc
	v_cndmask_b32_e32 v20, v20, v22, vcc
	v_lshlrev_b32_e32 v17, 24, v17
	v_lshlrev_b32_e32 v20, 20, v20
	v_and_b32_e32 v17, 0x80000000, v17
	v_lshl_add_u32 v12, v12, 23, v0
	v_or3_b32 v20, v17, v12, v20
.LBB2_4484:                             ;   in Loop: Header=BB2_4396 Depth=3
	s_or_b64 exec, exec, s[68:69]
.LBB2_4485:                             ;   in Loop: Header=BB2_4396 Depth=3
	s_or_b64 exec, exec, s[66:67]
.LBB2_4486:                             ;   in Loop: Header=BB2_4396 Depth=3
	s_or_b64 exec, exec, s[28:29]
	v_and_b32_e32 v12, 0xff, v16
	v_cmp_ne_u16_e32 vcc, 0, v12
	s_and_saveexec_b64 s[28:29], vcc
	s_cbranch_execz .LBB2_4492
; %bb.4487:                             ;   in Loop: Header=BB2_4396 Depth=3
	v_cmp_ne_u16_e32 vcc, s91, v12
	v_bfrev_b32_e32 v13, 1
	s_and_saveexec_b64 s[66:67], vcc
	s_cbranch_execz .LBB2_4491
; %bb.4488:                             ;   in Loop: Header=BB2_4396 Depth=3
	v_and_b32_e32 v17, 0x7f, v16
	v_cmp_ne_u32_e32 vcc, s92, v17
	v_mov_b32_e32 v13, 0x7f800001
	s_and_saveexec_b64 s[68:69], vcc
	s_cbranch_execz .LBB2_4490
; %bb.4489:                             ;   in Loop: Header=BB2_4396 Depth=3
	v_and_b32_e32 v21, 7, v12
	v_ffbh_u32_e32 v13, v21
	v_min_u32_e32 v23, 32, v13
	v_subrev_u32_e32 v13, 28, v23
	v_lshlrev_b64 v[12:13], v13, v[12:13]
	v_lshrrev_b32_e32 v22, 3, v17
	v_sub_u32_e32 v13, 29, v23
	v_and_b32_e32 v12, 7, v12
	v_cmp_gt_u32_e32 vcc, 8, v17
	v_cndmask_b32_e32 v13, v22, v13, vcc
	v_cndmask_b32_e32 v12, v21, v12, vcc
	v_lshlrev_b32_e32 v16, 24, v16
	v_lshlrev_b32_e32 v12, 20, v12
	v_and_b32_e32 v16, 0x80000000, v16
	v_lshl_add_u32 v13, v13, 23, v0
	v_or3_b32 v13, v16, v13, v12
.LBB2_4490:                             ;   in Loop: Header=BB2_4396 Depth=3
	s_or_b64 exec, exec, s[68:69]
.LBB2_4491:                             ;   in Loop: Header=BB2_4396 Depth=3
	s_or_b64 exec, exec, s[66:67]
.LBB2_4492:                             ;   in Loop: Header=BB2_4396 Depth=3
	s_or_b64 exec, exec, s[28:29]
	v_add_f32_e32 v12, v20, v13
	v_and_b32_sdwa v16, v12, s91 dst_sel:DWORD dst_unused:UNUSED_PAD src0_sel:BYTE_3 src1_sel:DWORD
	v_and_b32_e32 v20, 0x7f800000, v12
	v_mov_b32_e32 v21, v61
	v_and_b32_e32 v60, 0x7fffff, v12
	v_or_b32_e32 v13, 0x7e, v16
	v_cmp_ne_u64_e32 vcc, s[54:55], v[20:21]
	s_and_saveexec_b64 s[28:29], vcc
	s_xor_b64 s[66:67], exec, s[28:29]
	s_cbranch_execz .LBB2_4506
; %bb.4493:                             ;   in Loop: Header=BB2_4396 Depth=3
	v_and_b32_e32 v20, 0x7fffffff, v12
	v_mov_b32_e32 v21, v61
	v_cmp_gt_u64_e32 vcc, s[56:57], v[20:21]
	s_and_saveexec_b64 s[28:29], vcc
	s_xor_b64 s[68:69], exec, s[28:29]
	s_cbranch_execz .LBB2_4505
; %bb.4494:                             ;   in Loop: Header=BB2_4396 Depth=3
	v_cmp_ne_u32_e32 vcc, 0, v12
	v_mov_b32_e32 v13, 0
	s_and_saveexec_b64 s[70:71], vcc
	s_cbranch_execz .LBB2_4504
; %bb.4495:                             ;   in Loop: Header=BB2_4396 Depth=3
	v_bfe_u32 v12, v12, 23, 8
	v_sub_u32_e32 v17, 0x79, v12
	v_cmp_gt_u32_e32 vcc, s93, v12
	v_add_u32_e32 v13, 0xffffff81, v12
	v_cndmask_b32_e32 v17, 0, v17, vcc
	v_cmp_eq_u32_e32 vcc, 0, v12
	v_mov_b32_e32 v12, 0xffffff82
	v_cndmask_b32_e32 v21, v13, v12, vcc
	v_mov_b32_e32 v12, 0x78
	v_or_b32_e32 v20, 0x800000, v60
	v_cndmask_b32_e32 v17, v17, v12, vcc
	v_cndmask_b32_e32 v60, v20, v60, vcc
	v_add_u32_e32 v12, 20, v17
	v_lshlrev_b64 v[12:13], v12, -1
	v_add_u32_e32 v20, 19, v17
	v_lshrrev_b64 v[24:25], v17, v[60:61]
	v_not_b32_e32 v13, v13
	v_not_b32_e32 v12, v12
	v_lshlrev_b64 v[22:23], v20, 1
	v_lshrrev_b32_e32 v20, 23, v24
	v_and_b32_e32 v13, 0, v13
	v_and_b32_e32 v12, v60, v12
	v_add3_u32 v21, v17, v21, v20
	v_bfe_u32 v17, v24, 20, 1
	v_add_u32_e32 v17, -1, v17
	v_cmp_eq_u64_e32 vcc, v[12:13], v[22:23]
	v_cndmask_b32_e32 v12, 0, v17, vcc
	v_add_u32_e32 v12, v12, v24
	v_and_b32_e32 v12, 0xfffff, v12
	v_add_co_u32_e32 v12, vcc, v12, v24
	v_add_u32_e32 v20, 6, v21
	v_addc_co_u32_e32 v13, vcc, 0, v25, vcc
	v_cmp_ne_u32_e32 vcc, 0, v20
                                        ; implicit-def: $vgpr17
	s_and_saveexec_b64 s[28:29], vcc
	s_xor_b64 s[28:29], exec, s[28:29]
; %bb.4496:                             ;   in Loop: Header=BB2_4396 Depth=3
	v_add_u32_e32 v17, 7, v21
	v_cmp_lt_u64_e32 vcc, s[58:59], v[12:13]
	v_cndmask_b32_e32 v17, v20, v17, vcc
	v_cndmask_b32_e64 v20, 0, 1, vcc
	v_lshrrev_b64 v[12:13], v20, v[12:13]
; %bb.4497:                             ;   in Loop: Header=BB2_4396 Depth=3
	s_andn2_saveexec_b64 s[28:29], s[28:29]
; %bb.4498:                             ;   in Loop: Header=BB2_4396 Depth=3
	v_bfe_u32 v17, v12, 23, 1
; %bb.4499:                             ;   in Loop: Header=BB2_4396 Depth=3
	s_or_b64 exec, exec, s[28:29]
	v_lshrrev_b64 v[12:13], 20, v[12:13]
	v_cmp_gt_i32_e32 vcc, 16, v17
	v_cndmask_b32_e32 v13, 0, v13, vcc
	v_cndmask_b32_e32 v12, 7, v12, vcc
	v_cmp_ne_u32_e32 vcc, 0, v17
	v_cmp_ne_u64_e64 s[28:29], 0, v[12:13]
	s_or_b64 s[28:29], vcc, s[28:29]
                                        ; implicit-def: $vgpr13
	s_and_saveexec_b64 vcc, s[28:29]
	s_xor_b64 s[28:29], exec, vcc
; %bb.4500:                             ;   in Loop: Header=BB2_4396 Depth=3
	v_min_i32_e32 v13, 15, v17
	v_lshl_or_b32 v13, v13, 3, v16
	v_and_or_b32 v13, v12, 7, v13
                                        ; implicit-def: $vgpr16
; %bb.4501:                             ;   in Loop: Header=BB2_4396 Depth=3
	s_andn2_saveexec_b64 s[28:29], s[28:29]
; %bb.4502:                             ;   in Loop: Header=BB2_4396 Depth=3
	v_mov_b32_e32 v13, v16
; %bb.4503:                             ;   in Loop: Header=BB2_4396 Depth=3
	s_or_b64 exec, exec, s[28:29]
.LBB2_4504:                             ;   in Loop: Header=BB2_4396 Depth=3
	s_or_b64 exec, exec, s[70:71]
.LBB2_4505:                             ;   in Loop: Header=BB2_4396 Depth=3
	s_andn2_saveexec_b64 s[28:29], s[68:69]
	s_or_b64 exec, exec, s[28:29]
                                        ; implicit-def: $vgpr12
.LBB2_4506:                             ;   in Loop: Header=BB2_4396 Depth=3
	s_andn2_saveexec_b64 s[28:29], s[66:67]
	s_cbranch_execz .LBB2_4395
; %bb.4507:                             ;   in Loop: Header=BB2_4396 Depth=3
	v_or_b32_sdwa v12, v12, s92 dst_sel:DWORD dst_unused:UNUSED_PAD src0_sel:BYTE_3 src1_sel:DWORD
	v_cmp_eq_u64_e32 vcc, 0, v[60:61]
	v_cndmask_b32_e32 v13, v12, v13, vcc
	s_branch .LBB2_4395
.LBB2_4508:                             ;   in Loop: Header=BB2_1783 Depth=2
	s_or_b64 exec, exec, s[36:37]
.LBB2_4509:                             ;   in Loop: Header=BB2_1783 Depth=2
	s_or_b64 exec, exec, s[34:35]
	v_lshlrev_b32_e32 v4, 8, v6
	v_cmp_ne_u32_e32 vcc, v14, v4
	s_and_saveexec_b64 s[34:35], vcc
	s_cbranch_execz .LBB2_4541
; %bb.4510:                             ;   in Loop: Header=BB2_1783 Depth=2
	v_add_u32_e32 v3, v15, v3
	v_and_b32_e32 v3, 0xffffffc0, v3
	v_sub_u32_e32 v3, v15, v3
	v_lshlrev_b32_e32 v2, 6, v2
	v_sub_u32_e32 v2, v3, v2
	v_add_u32_e32 v3, v4, v2
	v_sub_u32_e32 v2, v14, v3
	v_cmp_lt_i32_e32 vcc, 0, v2
	s_and_b64 exec, exec, vcc
	s_cbranch_execz .LBB2_4541
; %bb.4511:                             ;   in Loop: Header=BB2_1783 Depth=2
	s_trap 2
	ds_read_b128 v[4:7], v0
	ds_read_b64 v[10:11], v0
	v_add_u32_e32 v1, v3, v1
	v_ashrrev_i32_e32 v3, 31, v1
	s_mov_b64 s[36:37], 0
	s_waitcnt lgkmcnt(0)
	v_add_co_u32_e32 v4, vcc, v4, v1
	v_addc_co_u32_e32 v5, vcc, v5, v3, vcc
	v_add_co_u32_e32 v8, vcc, v6, v1
	v_addc_co_u32_e32 v9, vcc, v7, v3, vcc
	v_add_co_u32_e32 v10, vcc, v10, v1
	v_addc_co_u32_e32 v11, vcc, v11, v3, vcc
	s_branch .LBB2_4513
.LBB2_4512:                             ;   in Loop: Header=BB2_4513 Depth=3
	s_or_b64 exec, exec, s[28:29]
	flat_store_byte v[10:11], v3 glc slc
	v_accvgpr_read_b32 v3, a36
	v_add_co_u32_e32 v4, vcc, v4, v3
	v_accvgpr_read_b32 v6, a37
	v_addc_co_u32_e32 v5, vcc, v5, v6, vcc
	v_add_co_u32_e32 v8, vcc, v8, v3
	v_accvgpr_read_b32 v1, a23
	v_addc_co_u32_e32 v9, vcc, v9, v6, vcc
	v_sub_u32_e32 v2, v2, v1
	v_cmp_gt_i32_e32 vcc, 1, v2
	s_or_b64 s[36:37], vcc, s[36:37]
	v_add_co_u32_e32 v10, vcc, v10, v3
	v_addc_co_u32_e32 v11, vcc, v11, v6, vcc
	s_andn2_b64 exec, exec, s[36:37]
	s_cbranch_execz .LBB2_4541
.LBB2_4513:                             ;   Parent Loop BB2_47 Depth=1
                                        ;     Parent Loop BB2_1783 Depth=2
                                        ; =>    This Inner Loop Header: Depth=3
	flat_load_ubyte v7, v[4:5] glc slc
	flat_load_ubyte v3, v[8:9] glc slc
	v_mov_b32_e32 v1, 0
	v_mov_b32_e32 v6, 0
	s_waitcnt vmcnt(0) lgkmcnt(0)
	v_cmp_ne_u16_e32 vcc, 0, v7
	s_and_saveexec_b64 s[28:29], vcc
	s_cbranch_execz .LBB2_4519
; %bb.4514:                             ;   in Loop: Header=BB2_4513 Depth=3
	v_cmp_ne_u16_e32 vcc, s91, v7
	v_bfrev_b32_e32 v6, 1
	s_and_saveexec_b64 s[66:67], vcc
	s_cbranch_execz .LBB2_4518
; %bb.4515:                             ;   in Loop: Header=BB2_4513 Depth=3
	v_and_b32_e32 v12, 0xffff, v7
	v_and_b32_e32 v13, 0x7f, v12
	v_cmp_ne_u32_e32 vcc, s92, v13
	v_mov_b32_e32 v6, 0x7f800001
	s_and_saveexec_b64 s[68:69], vcc
	s_cbranch_execz .LBB2_4517
; %bb.4516:                             ;   in Loop: Header=BB2_4513 Depth=3
	v_and_b32_e32 v6, 7, v12
	v_ffbh_u32_e32 v14, v6
	v_min_u32_e32 v17, 32, v14
	v_subrev_u32_e32 v14, 28, v17
	v_lshlrev_b64 v[14:15], v14, v[12:13]
	v_lshrrev_b32_e32 v16, 3, v13
	v_sub_u32_e32 v12, 29, v17
	v_and_b32_e32 v14, 7, v14
	v_cmp_gt_u32_e32 vcc, 8, v13
	v_cndmask_b32_e32 v12, v16, v12, vcc
	v_cndmask_b32_e32 v6, v6, v14, vcc
	v_lshlrev_b32_e32 v7, 24, v7
	v_lshlrev_b32_e32 v6, 20, v6
	v_and_b32_e32 v7, 0x80000000, v7
	v_lshl_add_u32 v12, v12, 23, v0
	v_or3_b32 v6, v7, v12, v6
.LBB2_4517:                             ;   in Loop: Header=BB2_4513 Depth=3
	s_or_b64 exec, exec, s[68:69]
.LBB2_4518:                             ;   in Loop: Header=BB2_4513 Depth=3
	s_or_b64 exec, exec, s[66:67]
.LBB2_4519:                             ;   in Loop: Header=BB2_4513 Depth=3
	s_or_b64 exec, exec, s[28:29]
	v_and_b32_e32 v12, 0xff, v3
	v_cmp_ne_u16_e32 vcc, 0, v12
	s_and_saveexec_b64 s[28:29], vcc
	s_cbranch_execz .LBB2_4525
; %bb.4520:                             ;   in Loop: Header=BB2_4513 Depth=3
	v_cmp_ne_u16_e32 vcc, s91, v12
	v_bfrev_b32_e32 v1, 1
	s_and_saveexec_b64 s[66:67], vcc
	s_cbranch_execz .LBB2_4524
; %bb.4521:                             ;   in Loop: Header=BB2_4513 Depth=3
	v_and_b32_e32 v7, 0x7f, v3
	v_cmp_ne_u32_e32 vcc, s92, v7
	v_mov_b32_e32 v1, 0x7f800001
	s_and_saveexec_b64 s[68:69], vcc
	s_cbranch_execz .LBB2_4523
; %bb.4522:                             ;   in Loop: Header=BB2_4513 Depth=3
	v_and_b32_e32 v1, 7, v12
	v_ffbh_u32_e32 v13, v1
	v_min_u32_e32 v15, 32, v13
	v_subrev_u32_e32 v13, 28, v15
	v_lshlrev_b64 v[12:13], v13, v[12:13]
	v_lshrrev_b32_e32 v14, 3, v7
	v_sub_u32_e32 v13, 29, v15
	v_and_b32_e32 v12, 7, v12
	v_cmp_gt_u32_e32 vcc, 8, v7
	v_lshlrev_b32_e32 v3, 24, v3
	v_cndmask_b32_e32 v7, v14, v13, vcc
	v_cndmask_b32_e32 v1, v1, v12, vcc
	v_and_b32_e32 v3, 0x80000000, v3
	v_lshlrev_b32_e32 v1, 20, v1
	v_lshl_add_u32 v7, v7, 23, v0
	v_or3_b32 v1, v3, v7, v1
.LBB2_4523:                             ;   in Loop: Header=BB2_4513 Depth=3
	s_or_b64 exec, exec, s[68:69]
.LBB2_4524:                             ;   in Loop: Header=BB2_4513 Depth=3
	s_or_b64 exec, exec, s[66:67]
.LBB2_4525:                             ;   in Loop: Header=BB2_4513 Depth=3
	s_or_b64 exec, exec, s[28:29]
	v_add_f32_e32 v6, v6, v1
	v_and_b32_sdwa v1, v6, s91 dst_sel:DWORD dst_unused:UNUSED_PAD src0_sel:BYTE_3 src1_sel:DWORD
	v_and_b32_e32 v12, 0x7f800000, v6
	v_mov_b32_e32 v13, v61
	v_and_b32_e32 v60, 0x7fffff, v6
	v_or_b32_e32 v3, 0x7e, v1
	v_cmp_ne_u64_e32 vcc, s[54:55], v[12:13]
	s_and_saveexec_b64 s[28:29], vcc
	s_xor_b64 s[66:67], exec, s[28:29]
	s_cbranch_execz .LBB2_4539
; %bb.4526:                             ;   in Loop: Header=BB2_4513 Depth=3
	v_and_b32_e32 v12, 0x7fffffff, v6
	v_mov_b32_e32 v13, v61
	v_cmp_gt_u64_e32 vcc, s[56:57], v[12:13]
	s_and_saveexec_b64 s[28:29], vcc
	s_xor_b64 s[68:69], exec, s[28:29]
	s_cbranch_execz .LBB2_4538
; %bb.4527:                             ;   in Loop: Header=BB2_4513 Depth=3
	v_cmp_ne_u32_e32 vcc, 0, v6
	v_mov_b32_e32 v3, 0
	s_and_saveexec_b64 s[70:71], vcc
	s_cbranch_execz .LBB2_4537
; %bb.4528:                             ;   in Loop: Header=BB2_4513 Depth=3
	v_bfe_u32 v3, v6, 23, 8
	v_sub_u32_e32 v7, 0x79, v3
	v_cmp_gt_u32_e32 vcc, s93, v3
	v_add_u32_e32 v6, 0xffffff81, v3
	v_cndmask_b32_e32 v7, 0, v7, vcc
	v_cmp_eq_u32_e32 vcc, 0, v3
	v_mov_b32_e32 v3, 0xffffff82
	v_cndmask_b32_e32 v3, v6, v3, vcc
	v_mov_b32_e32 v6, 0x78
	v_cndmask_b32_e32 v18, v7, v6, vcc
	v_add_u32_e32 v6, 20, v18
	v_or_b32_e32 v12, 0x800000, v60
	v_lshlrev_b64 v[6:7], v6, -1
	v_cndmask_b32_e32 v60, v12, v60, vcc
	v_not_b32_e32 v6, v6
	v_and_b32_e32 v12, v60, v6
	v_add_u32_e32 v6, 19, v18
	v_lshrrev_b64 v[16:17], v18, v[60:61]
	v_not_b32_e32 v7, v7
	v_lshlrev_b64 v[14:15], v6, 1
	v_lshrrev_b32_e32 v6, 23, v16
	v_and_b32_e32 v13, 0, v7
	v_add3_u32 v7, v18, v3, v6
	v_bfe_u32 v6, v16, 20, 1
	v_add_u32_e32 v6, -1, v6
	v_cmp_eq_u64_e32 vcc, v[12:13], v[14:15]
	v_cndmask_b32_e32 v6, 0, v6, vcc
	v_add_u32_e32 v6, v6, v16
	v_and_b32_e32 v6, 0xfffff, v6
	v_add_co_u32_e32 v12, vcc, v6, v16
	v_add_u32_e32 v3, 6, v7
	v_addc_co_u32_e32 v13, vcc, 0, v17, vcc
	v_cmp_ne_u32_e32 vcc, 0, v3
                                        ; implicit-def: $vgpr6
	s_and_saveexec_b64 s[28:29], vcc
	s_xor_b64 s[28:29], exec, s[28:29]
; %bb.4529:                             ;   in Loop: Header=BB2_4513 Depth=3
	v_add_u32_e32 v6, 7, v7
	v_cmp_lt_u64_e32 vcc, s[58:59], v[12:13]
	v_cndmask_b32_e32 v6, v3, v6, vcc
	v_cndmask_b32_e64 v3, 0, 1, vcc
	v_lshrrev_b64 v[12:13], v3, v[12:13]
; %bb.4530:                             ;   in Loop: Header=BB2_4513 Depth=3
	s_andn2_saveexec_b64 s[28:29], s[28:29]
; %bb.4531:                             ;   in Loop: Header=BB2_4513 Depth=3
	v_bfe_u32 v6, v12, 23, 1
; %bb.4532:                             ;   in Loop: Header=BB2_4513 Depth=3
	s_or_b64 exec, exec, s[28:29]
	v_lshrrev_b64 v[12:13], 20, v[12:13]
	v_cmp_gt_i32_e32 vcc, 16, v6
	v_cndmask_b32_e32 v13, 0, v13, vcc
	v_cndmask_b32_e32 v12, 7, v12, vcc
	v_cmp_ne_u32_e32 vcc, 0, v6
	v_cmp_ne_u64_e64 s[28:29], 0, v[12:13]
	s_or_b64 s[28:29], vcc, s[28:29]
                                        ; implicit-def: $vgpr3
	s_and_saveexec_b64 vcc, s[28:29]
	s_xor_b64 s[28:29], exec, vcc
; %bb.4533:                             ;   in Loop: Header=BB2_4513 Depth=3
	v_min_i32_e32 v3, 15, v6
	v_lshl_or_b32 v1, v3, 3, v1
	v_and_or_b32 v3, v12, 7, v1
                                        ; implicit-def: $vgpr1
; %bb.4534:                             ;   in Loop: Header=BB2_4513 Depth=3
	s_andn2_saveexec_b64 s[28:29], s[28:29]
; %bb.4535:                             ;   in Loop: Header=BB2_4513 Depth=3
	v_mov_b32_e32 v3, v1
; %bb.4536:                             ;   in Loop: Header=BB2_4513 Depth=3
	s_or_b64 exec, exec, s[28:29]
.LBB2_4537:                             ;   in Loop: Header=BB2_4513 Depth=3
	s_or_b64 exec, exec, s[70:71]
.LBB2_4538:                             ;   in Loop: Header=BB2_4513 Depth=3
	s_andn2_saveexec_b64 s[28:29], s[68:69]
	s_or_b64 exec, exec, s[28:29]
                                        ; implicit-def: $vgpr6
.LBB2_4539:                             ;   in Loop: Header=BB2_4513 Depth=3
	s_andn2_saveexec_b64 s[28:29], s[66:67]
	s_cbranch_execz .LBB2_4512
; %bb.4540:                             ;   in Loop: Header=BB2_4513 Depth=3
	v_or_b32_sdwa v1, v6, s92 dst_sel:DWORD dst_unused:UNUSED_PAD src0_sel:BYTE_3 src1_sel:DWORD
	v_cmp_eq_u64_e32 vcc, 0, v[60:61]
	v_cndmask_b32_e32 v3, v1, v3, vcc
	s_branch .LBB2_4512
.LBB2_4541:                             ;   in Loop: Header=BB2_1783 Depth=2
	s_or_b64 exec, exec, s[34:35]
	v_accvgpr_read_b32 v6, a22
	s_or_b64 exec, exec, s[30:31]
	s_and_saveexec_b64 s[28:29], s[10:11]
	s_cbranch_execnz .LBB2_1857
	s_branch .LBB2_2647
.LBB2_4542:                             ;   in Loop: Header=BB2_47 Depth=1
	s_or_b64 exec, exec, s[60:61]
	v_cmp_gt_i32_e32 vcc, 2, v1
	s_and_saveexec_b64 s[30:31], vcc
	s_cbranch_execz .LBB2_4616
.LBB2_4543:                             ;   in Loop: Header=BB2_47 Depth=1
	v_cmp_eq_u32_e64 s[28:29], 0, v1
	s_mov_b64 s[34:35], 0
	s_branch .LBB2_4545
.LBB2_4544:                             ;   in Loop: Header=BB2_4545 Depth=2
	s_or_b64 exec, exec, s[28:29]
	buffer_load_dword v1, off, s[0:3], s33 offset:176 ; 4-byte Folded Reload
	v_accvgpr_read_b32 v2, a58
	s_mov_b64 s[28:29], 0
	s_waitcnt vmcnt(0)
	v_add_u32_e32 v1, v2, v1
	buffer_store_dword v1, off, s[0:3], s33 offset:176 ; 4-byte Folded Spill
	s_andn2_b64 exec, exec, s[34:35]
	s_cbranch_execz .LBB2_4617
.LBB2_4545:                             ;   Parent Loop BB2_47 Depth=1
                                        ; =>  This Loop Header: Depth=2
                                        ;       Child Loop BB2_4551 Depth 3
                                        ;       Child Loop BB2_4581 Depth 3
	;; [unrolled: 1-line block ×3, first 2 shown]
	v_and_b32_e32 v1, 12, v57
	s_mov_b64 s[60:61], -1
	v_cmp_ne_u32_e32 vcc, 0, v1
	s_and_saveexec_b64 s[36:37], vcc
	s_cbranch_execz .LBB2_4557
; %bb.4546:                             ;   in Loop: Header=BB2_4545 Depth=2
	v_and_b32_e32 v4, 8, v57
	v_add_co_u32_e32 v2, vcc, v50, v4
	v_addc_co_u32_e32 v3, vcc, 0, v51, vcc
	v_add_co_u32_e32 v8, vcc, 2, v44
	v_addc_co_u32_e32 v9, vcc, 0, v45, vcc
	v_cmp_lt_u64_e32 vcc, v[2:3], v[8:9]
	v_mov_b32_e32 v1, 1
	s_and_saveexec_b64 s[60:61], vcc
	s_cbranch_execz .LBB2_4556
; %bb.4547:                             ;   in Loop: Header=BB2_4545 Depth=2
	s_mov_b64 s[62:63], 0
	v_mov_b32_e32 v1, 0
                                        ; implicit-def: $sgpr64_sgpr65
	s_branch .LBB2_4551
.LBB2_4548:                             ;   in Loop: Header=BB2_4551 Depth=3
	s_or_b64 exec, exec, s[72:73]
	v_mov_b32_e32 v2, 0
	s_orn2_b64 s[70:71], s[70:71], exec
.LBB2_4549:                             ;   in Loop: Header=BB2_4551 Depth=3
	s_or_b64 exec, exec, s[68:69]
	s_andn2_b64 vcc, s[64:65], exec
	s_and_b64 s[64:65], s[70:71], exec
	s_or_b64 s[64:65], vcc, s[64:65]
	v_mov_b32_e32 v1, v2
.LBB2_4550:                             ;   in Loop: Header=BB2_4551 Depth=3
	s_or_b64 exec, exec, s[66:67]
	s_waitcnt vmcnt(0) lgkmcnt(0)
	v_add_co_u32_e32 v2, vcc, v50, v4
	v_addc_co_u32_e32 v3, vcc, 0, v51, vcc
	v_cmp_ge_u64_e32 vcc, v[2:3], v[8:9]
	s_xor_b64 s[66:67], s[64:65], -1
	s_or_b64 vcc, s[66:67], vcc
	s_and_b64 vcc, exec, vcc
	s_or_b64 s[62:63], vcc, s[62:63]
	s_andn2_b64 exec, exec, s[62:63]
	s_cbranch_execz .LBB2_4555
.LBB2_4551:                             ;   Parent Loop BB2_47 Depth=1
                                        ;     Parent Loop BB2_4545 Depth=2
                                        ; =>    This Inner Loop Header: Depth=3
	s_sleep 1
	flat_load_dwordx2 v[50:51], v[48:49] glc
	v_and_b32_e32 v2, 64, v57
	v_cmp_eq_u32_e32 vcc, 0, v2
	s_andn2_b64 s[64:65], s[64:65], exec
	s_and_saveexec_b64 s[66:67], vcc
	s_cbranch_execz .LBB2_4550
; %bb.4552:                             ;   in Loop: Header=BB2_4551 Depth=3
	v_add_u32_e32 v2, 1, v1
	v_cmp_lt_i32_e32 vcc, s89, v1
	s_mov_b64 s[70:71], -1
	s_and_saveexec_b64 s[68:69], vcc
	s_cbranch_execz .LBB2_4549
; %bb.4553:                             ;   in Loop: Header=BB2_4551 Depth=3
	s_trap 2
	ds_read_b64 v[2:3], v0
	s_waitcnt vmcnt(0) lgkmcnt(0)
	flat_load_dword v1, v[2:3] glc
	s_waitcnt vmcnt(0) lgkmcnt(0)
	buffer_invl2
	buffer_wbinvl1_vol
	v_cmp_ne_u32_e32 vcc, 0, v1
	s_and_saveexec_b64 s[72:73], vcc
	s_cbranch_execz .LBB2_4548
; %bb.4554:                             ;   in Loop: Header=BB2_4551 Depth=3
	v_or_b32_e32 v57, 64, v57
	s_xor_b64 s[70:71], exec, -1
	ds_write_b32 v0, v1
	s_trap 2
	s_branch .LBB2_4548
.LBB2_4555:                             ;   in Loop: Header=BB2_4545 Depth=2
	s_or_b64 exec, exec, s[62:63]
	v_and_b32_e32 v1, 12, v57
.LBB2_4556:                             ;   in Loop: Header=BB2_4545 Depth=2
	s_or_b64 exec, exec, s[60:61]
	v_cmp_eq_u32_e32 vcc, 0, v1
	s_orn2_b64 s[60:61], vcc, exec
	;;#ASMSTART
	s_wakeup
	;;#ASMEND
.LBB2_4557:                             ;   in Loop: Header=BB2_4545 Depth=2
	s_or_b64 exec, exec, s[36:37]
	buffer_load_dword v2, off, s[0:3], s33 offset:176 ; 4-byte Folded Reload
	s_xor_b64 s[28:29], s[28:29], -1
	v_accvgpr_read_b32 v1, a56
	s_and_b64 s[28:29], exec, s[28:29]
	s_or_b64 s[34:35], s[28:29], s[34:35]
	s_xor_b64 s[28:29], s[60:61], -1
	s_waitcnt vmcnt(0)
	v_sub_u32_e32 v1, v1, v2
	v_accvgpr_read_b32 v2, a58
	v_min_i32_e32 v2, v2, v1
	v_accvgpr_write_b32 a58, v2
	s_and_saveexec_b64 s[36:37], s[28:29]
	s_cbranch_execz .LBB2_4573
; %bb.4558:                             ;   in Loop: Header=BB2_4545 Depth=2
	v_and_b32_e32 v1, 0x108, v57
	v_cmp_ne_u32_e32 vcc, s90, v1
	v_and_b32_e32 v4, 7, v44
	s_and_saveexec_b64 s[28:29], vcc
	s_xor_b64 s[28:29], exec, s[28:29]
	s_andn2_saveexec_b64 s[28:29], s[28:29]
	s_cbranch_execz .LBB2_4560
; %bb.4559:                             ;   in Loop: Header=BB2_4545 Depth=2
	v_accvgpr_read_b32 v2, a12
	v_accvgpr_read_b32 v3, a13
	;; [unrolled: 1-line block ×3, first 2 shown]
	v_mad_u64_u32 v[2:3], vcc, v4, 24, v[2:3]
	v_ashrrev_i32_e32 v9, 31, v8
	flat_store_dwordx2 v[2:3], v[8:9] offset:8
.LBB2_4560:                             ;   in Loop: Header=BB2_4545 Depth=2
	s_or_b64 exec, exec, s[28:29]
	v_and_b32_e32 v1, 0x100, v57
	v_cmp_ne_u32_e32 vcc, 0, v1
	s_mov_b64 s[28:29], -1
                                        ; implicit-def: $vgpr8_vgpr9
	s_and_saveexec_b64 s[60:61], vcc
	s_cbranch_execz .LBB2_4564
; %bb.4561:                             ;   in Loop: Header=BB2_4545 Depth=2
	v_accvgpr_read_b32 v2, a12
	v_accvgpr_read_b32 v3, a13
	v_mad_u64_u32 v[10:11], s[28:29], v4, 24, v[2:3]
	v_mov_b32_e32 v2, v11
	v_mad_u64_u32 v[2:3], s[28:29], v61, 24, v[2:3]
	v_mov_b32_e32 v11, v2
	flat_load_dword v1, v[10:11]
                                        ; implicit-def: $vgpr8_vgpr9
	s_waitcnt vmcnt(0) lgkmcnt(0)
	v_cmp_ne_u32_e32 vcc, 1, v1
	v_cmp_eq_u32_e64 s[28:29], 1, v1
	s_and_saveexec_b64 s[62:63], s[28:29]
	s_cbranch_execz .LBB2_4563
; %bb.4562:                             ;   in Loop: Header=BB2_4545 Depth=2
	flat_load_dword v8, v[10:11] offset:4 glc
	s_waitcnt vmcnt(0) lgkmcnt(0)
	v_ashrrev_i32_e32 v9, 31, v8
.LBB2_4563:                             ;   in Loop: Header=BB2_4545 Depth=2
	s_or_b64 exec, exec, s[62:63]
	s_orn2_b64 s[28:29], vcc, exec
.LBB2_4564:                             ;   in Loop: Header=BB2_4545 Depth=2
	s_or_b64 exec, exec, s[60:61]
	s_and_saveexec_b64 vcc, s[28:29]
; %bb.4565:                             ;   in Loop: Header=BB2_4545 Depth=2
	v_accvgpr_read_b32 v6, a16
	v_accvgpr_read_b32 v3, a17
	v_mul_lo_u32 v1, v61, v6
	v_mul_lo_u32 v2, v4, v3
	v_mad_u64_u32 v[8:9], s[28:29], v4, v6, 0
	v_accvgpr_read_b32 v6, a22
	v_add3_u32 v9, v9, v2, v1
; %bb.4566:                             ;   in Loop: Header=BB2_4545 Depth=2
	s_or_b64 exec, exec, vcc
	v_accvgpr_read_b32 v2, a18
	v_accvgpr_read_b32 v3, a19
	v_add_co_u32_e32 v2, vcc, v2, v8
	v_addc_co_u32_e32 v3, vcc, v3, v9, vcc
	v_and_b32_e32 v1, 0x2000, v57
	v_cmp_ne_u32_e32 vcc, 0, v1
	s_trap 2
	ds_write_b64 v0, v[2:3]
	s_and_saveexec_b64 s[28:29], vcc
	s_cbranch_execz .LBB2_4568
; %bb.4567:                             ;   in Loop: Header=BB2_4545 Depth=2
	ds_read_b64 v[2:3], v0 offset:584
	s_waitcnt lgkmcnt(0)
	v_add_co_u32_e32 v2, vcc, 1, v2
	v_addc_co_u32_e32 v3, vcc, 0, v3, vcc
	ds_write_b64 v0, v[2:3] offset:584
.LBB2_4568:                             ;   in Loop: Header=BB2_4545 Depth=2
	s_or_b64 exec, exec, s[28:29]
	v_add_co_u32_e32 v44, vcc, 2, v44
	v_addc_co_u32_e32 v45, vcc, 0, v45, vcc
	s_or_b64 exec, exec, s[36:37]
	s_and_saveexec_b64 s[28:29], s[10:11]
	s_cbranch_execnz .LBB2_4574
.LBB2_4569:                             ;   in Loop: Header=BB2_4545 Depth=2
	s_or_b64 exec, exec, s[28:29]
                                        ; implicit-def: $vgpr1
	s_and_saveexec_b64 s[28:29], s[24:25]
	s_xor_b64 s[28:29], exec, s[28:29]
	s_cbranch_execz .LBB2_4592
.LBB2_4570:                             ;   in Loop: Header=BB2_4545 Depth=2
	s_trap 2
	ds_read_b32 v2, v0
	v_accvgpr_read_b32 v4, a58
	v_cmp_lt_i32_e32 vcc, 0, v4
	v_and_b32_e32 v3, 16, v57
	v_and_b32_e32 v1, 16, v57
	s_waitcnt lgkmcnt(0)
	v_readfirstlane_b32 s36, v2
	s_cmp_eq_u32 s36, 0
	s_cselect_b64 s[36:37], -1, 0
	s_and_b64 s[36:37], vcc, s[36:37]
	v_cmp_ne_u32_e32 vcc, 0, v3
	s_and_b64 s[36:37], vcc, s[36:37]
	s_and_saveexec_b64 vcc, s[36:37]
	s_cbranch_execz .LBB2_4572
; %bb.4571:                             ;   in Loop: Header=BB2_4545 Depth=2
	v_mov_b32_e32 v1, 1
	s_waitcnt vmcnt(0)
	buffer_wbinvl1_vol
.LBB2_4572:                             ;   in Loop: Header=BB2_4545 Depth=2
	s_or_b64 exec, exec, vcc
	s_andn2_saveexec_b64 s[28:29], s[28:29]
	s_cbranch_execz .LBB2_4611
	s_branch .LBB2_4593
.LBB2_4573:                             ;   in Loop: Header=BB2_4545 Depth=2
	s_or_b64 exec, exec, s[36:37]
	s_and_saveexec_b64 s[28:29], s[10:11]
	s_cbranch_execz .LBB2_4569
.LBB2_4574:                             ;   in Loop: Header=BB2_4545 Depth=2
	s_and_saveexec_b64 vcc, s[46:47]
	s_xor_b64 s[36:37], exec, vcc
	s_cbranch_execz .LBB2_4589
; %bb.4575:                             ;   in Loop: Header=BB2_4545 Depth=2
	s_and_saveexec_b64 s[60:61], s[16:17]
	s_cbranch_execz .LBB2_4588
; %bb.4576:                             ;   in Loop: Header=BB2_4545 Depth=2
	s_mov_b64 s[64:65], exec
	v_mbcnt_lo_u32_b32 v1, s64, 0
	v_mbcnt_hi_u32_b32 v1, s65, v1
	v_cmp_eq_u32_e32 vcc, 0, v1
	s_waitcnt vmcnt(0) lgkmcnt(0)
	buffer_wbinvl1_vol
	s_and_saveexec_b64 s[62:63], vcc
	s_cbranch_execz .LBB2_4578
; %bb.4577:                             ;   in Loop: Header=BB2_4545 Depth=2
	s_bcnt1_i32_b64 vcc_lo, s[64:65]
	v_mov_b32_e32 v60, vcc_lo
	ds_add_u64 v0, v[60:61]
	s_trap 2
.LBB2_4578:                             ;   in Loop: Header=BB2_4545 Depth=2
	s_or_b64 exec, exec, s[62:63]
	s_trap 2
	ds_read_b64 v[2:3], v0
	v_accvgpr_read_b32 v4, a14
	v_accvgpr_read_b32 v5, a15
	v_add_co_u32_e32 v4, vcc, v4, v6
	v_addc_co_u32_e32 v5, vcc, 0, v5, vcc
	v_accvgpr_write_b32 a15, v5
	v_accvgpr_write_b32 a14, v4
	s_waitcnt lgkmcnt(0)
	v_cmp_lt_u64_e32 vcc, v[2:3], v[4:5]
	s_and_saveexec_b64 s[62:63], vcc
	s_cbranch_execz .LBB2_4587
; %bb.4579:                             ;   in Loop: Header=BB2_4545 Depth=2
	s_mov_b32 s74, 0
	s_mov_b64 s[64:65], 0
                                        ; implicit-def: $sgpr66_sgpr67
                                        ; implicit-def: $sgpr68_sgpr69
	s_branch .LBB2_4581
.LBB2_4580:                             ;   in Loop: Header=BB2_4581 Depth=3
	s_or_b64 exec, exec, s[72:73]
	s_and_b64 vcc, exec, vcc
	s_or_b64 s[64:65], vcc, s[64:65]
	s_andn2_b64 vcc, s[66:67], exec
	s_and_b64 s[66:67], s[68:69], exec
	s_or_b64 s[66:67], vcc, s[66:67]
	s_andn2_b64 exec, exec, s[64:65]
	s_cbranch_execz .LBB2_4585
.LBB2_4581:                             ;   Parent Loop BB2_47 Depth=1
                                        ;     Parent Loop BB2_4545 Depth=2
                                        ; =>    This Inner Loop Header: Depth=3
	s_add_i32 s74, s74, 1
	s_cmpk_lg_i32 s74, 0x2710
	s_cselect_b64 s[70:71], -1, 0
	s_and_b64 vcc, exec, s[70:71]
                                        ; implicit-def: $sgpr72_sgpr73
	s_cbranch_vccnz .LBB2_4583
; %bb.4582:                             ;   in Loop: Header=BB2_4581 Depth=3
	s_trap 2
	ds_read_b64 v[2:3], v0
	s_andn2_b64 s[70:71], s[70:71], exec
	s_mov_b32 s74, 0
	s_mov_b64 s[72:73], -1
	s_waitcnt lgkmcnt(0)
	flat_load_dword v1, v[2:3] glc
	s_waitcnt vmcnt(0) lgkmcnt(0)
	buffer_invl2
	buffer_wbinvl1_vol
	v_cmp_eq_u32_e32 vcc, 0, v1
	s_and_b64 vcc, vcc, exec
	s_or_b64 s[70:71], s[70:71], vcc
.LBB2_4583:                             ;   in Loop: Header=BB2_4581 Depth=3
	s_andn2_b64 s[68:69], s[68:69], exec
	s_and_b64 s[72:73], s[72:73], exec
	s_mov_b64 vcc, -1
	s_or_b64 s[68:69], s[68:69], s[72:73]
	s_and_saveexec_b64 s[72:73], s[70:71]
	s_cbranch_execz .LBB2_4580
; %bb.4584:                             ;   in Loop: Header=BB2_4581 Depth=3
	s_sleep 1
	s_trap 2
	ds_read_b64 v[2:3], v0
	v_accvgpr_read_b32 v4, a14
	v_accvgpr_read_b32 v5, a15
	s_andn2_b64 s[68:69], s[68:69], exec
	s_waitcnt lgkmcnt(0)
	v_cmp_ge_u64_e32 vcc, v[2:3], v[4:5]
	s_orn2_b64 vcc, vcc, exec
	s_branch .LBB2_4580
.LBB2_4585:                             ;   in Loop: Header=BB2_4545 Depth=2
	s_or_b64 exec, exec, s[64:65]
	s_and_saveexec_b64 vcc, s[66:67]
	s_xor_b64 vcc, exec, vcc
	s_cbranch_execz .LBB2_4587
; %bb.4586:                             ;   in Loop: Header=BB2_4545 Depth=2
	v_mov_b32_e32 v1, 1
	ds_write_b32 v0, v1
	s_trap 2
.LBB2_4587:                             ;   in Loop: Header=BB2_4545 Depth=2
	s_or_b64 exec, exec, s[62:63]
	;;#ASMSTART
	s_wakeup
	;;#ASMEND
.LBB2_4588:                             ;   in Loop: Header=BB2_4545 Depth=2
	s_or_b64 exec, exec, s[60:61]
.LBB2_4589:                             ;   in Loop: Header=BB2_4545 Depth=2
	s_andn2_saveexec_b64 vcc, s[36:37]
	s_cbranch_execz .LBB2_4591
; %bb.4590:                             ;   in Loop: Header=BB2_4545 Depth=2
	s_waitcnt vmcnt(0) lgkmcnt(0)
	buffer_wbinvl1_vol
	s_barrier
.LBB2_4591:                             ;   in Loop: Header=BB2_4545 Depth=2
	s_or_b64 exec, exec, vcc
	s_or_b64 exec, exec, s[28:29]
                                        ; implicit-def: $vgpr1
	s_and_saveexec_b64 s[28:29], s[24:25]
	s_xor_b64 s[28:29], exec, s[28:29]
	s_cbranch_execnz .LBB2_4570
.LBB2_4592:                             ;   in Loop: Header=BB2_4545 Depth=2
	s_andn2_saveexec_b64 s[28:29], s[28:29]
	s_cbranch_execz .LBB2_4611
.LBB2_4593:                             ;   in Loop: Header=BB2_4545 Depth=2
	s_and_saveexec_b64 vcc, s[46:47]
	s_xor_b64 s[36:37], exec, vcc
	s_cbranch_execz .LBB2_4608
; %bb.4594:                             ;   in Loop: Header=BB2_4545 Depth=2
	s_and_saveexec_b64 s[60:61], s[16:17]
	s_cbranch_execz .LBB2_4607
; %bb.4595:                             ;   in Loop: Header=BB2_4545 Depth=2
	s_mov_b64 s[64:65], exec
	v_mbcnt_lo_u32_b32 v1, s64, 0
	v_mbcnt_hi_u32_b32 v1, s65, v1
	v_cmp_eq_u32_e32 vcc, 0, v1
	;;#ASMSTART
	s_waitcnt lgkmcnt(0) vmcnt(0)
	;;#ASMEND
	s_and_saveexec_b64 s[62:63], vcc
	s_cbranch_execz .LBB2_4597
; %bb.4596:                             ;   in Loop: Header=BB2_4545 Depth=2
	s_bcnt1_i32_b64 vcc_lo, s[64:65]
	v_mov_b32_e32 v60, vcc_lo
	ds_add_u64 v0, v[60:61]
	s_trap 2
.LBB2_4597:                             ;   in Loop: Header=BB2_4545 Depth=2
	s_or_b64 exec, exec, s[62:63]
	s_trap 2
	ds_read_b64 v[2:3], v0
	v_accvgpr_read_b32 v4, a14
	v_accvgpr_read_b32 v5, a15
	v_add_co_u32_e32 v4, vcc, v4, v6
	v_addc_co_u32_e32 v5, vcc, 0, v5, vcc
	v_accvgpr_write_b32 a15, v5
	v_accvgpr_write_b32 a14, v4
	s_waitcnt lgkmcnt(0)
	v_cmp_lt_u64_e32 vcc, v[2:3], v[4:5]
	s_and_saveexec_b64 s[62:63], vcc
	s_cbranch_execz .LBB2_4606
; %bb.4598:                             ;   in Loop: Header=BB2_4545 Depth=2
	s_mov_b32 s74, 0
	s_mov_b64 s[64:65], 0
                                        ; implicit-def: $sgpr66_sgpr67
                                        ; implicit-def: $sgpr68_sgpr69
	s_branch .LBB2_4600
.LBB2_4599:                             ;   in Loop: Header=BB2_4600 Depth=3
	s_or_b64 exec, exec, s[72:73]
	s_and_b64 vcc, exec, vcc
	s_or_b64 s[64:65], vcc, s[64:65]
	s_andn2_b64 vcc, s[66:67], exec
	s_and_b64 s[66:67], s[68:69], exec
	s_or_b64 s[66:67], vcc, s[66:67]
	s_andn2_b64 exec, exec, s[64:65]
	s_cbranch_execz .LBB2_4604
.LBB2_4600:                             ;   Parent Loop BB2_47 Depth=1
                                        ;     Parent Loop BB2_4545 Depth=2
                                        ; =>    This Inner Loop Header: Depth=3
	s_add_i32 s74, s74, 1
	s_cmpk_lg_i32 s74, 0x2710
	s_cselect_b64 s[70:71], -1, 0
	s_and_b64 vcc, exec, s[70:71]
                                        ; implicit-def: $sgpr72_sgpr73
	s_cbranch_vccnz .LBB2_4602
; %bb.4601:                             ;   in Loop: Header=BB2_4600 Depth=3
	s_trap 2
	ds_read_b64 v[2:3], v0
	s_andn2_b64 s[70:71], s[70:71], exec
	s_mov_b32 s74, 0
	s_mov_b64 s[72:73], -1
	s_waitcnt vmcnt(0) lgkmcnt(0)
	flat_load_dword v1, v[2:3] glc
	s_waitcnt vmcnt(0) lgkmcnt(0)
	buffer_invl2
	buffer_wbinvl1_vol
	v_cmp_eq_u32_e32 vcc, 0, v1
	s_and_b64 vcc, vcc, exec
	s_or_b64 s[70:71], s[70:71], vcc
.LBB2_4602:                             ;   in Loop: Header=BB2_4600 Depth=3
	s_andn2_b64 s[68:69], s[68:69], exec
	s_and_b64 s[72:73], s[72:73], exec
	s_mov_b64 vcc, -1
	s_or_b64 s[68:69], s[68:69], s[72:73]
	s_and_saveexec_b64 s[72:73], s[70:71]
	s_cbranch_execz .LBB2_4599
; %bb.4603:                             ;   in Loop: Header=BB2_4600 Depth=3
	s_sleep 1
	s_trap 2
	ds_read_b64 v[2:3], v0
	v_accvgpr_read_b32 v4, a14
	v_accvgpr_read_b32 v5, a15
	s_andn2_b64 s[68:69], s[68:69], exec
	s_waitcnt lgkmcnt(0)
	v_cmp_ge_u64_e32 vcc, v[2:3], v[4:5]
	s_orn2_b64 vcc, vcc, exec
	s_branch .LBB2_4599
.LBB2_4604:                             ;   in Loop: Header=BB2_4545 Depth=2
	s_or_b64 exec, exec, s[64:65]
	s_and_saveexec_b64 vcc, s[66:67]
	s_xor_b64 vcc, exec, vcc
	s_cbranch_execz .LBB2_4606
; %bb.4605:                             ;   in Loop: Header=BB2_4545 Depth=2
	v_mov_b32_e32 v1, 1
	ds_write_b32 v0, v1
	s_trap 2
.LBB2_4606:                             ;   in Loop: Header=BB2_4545 Depth=2
	s_or_b64 exec, exec, s[62:63]
	;;#ASMSTART
	s_wakeup
	;;#ASMEND
.LBB2_4607:                             ;   in Loop: Header=BB2_4545 Depth=2
	s_or_b64 exec, exec, s[60:61]
.LBB2_4608:                             ;   in Loop: Header=BB2_4545 Depth=2
	s_andn2_saveexec_b64 vcc, s[36:37]
	s_cbranch_execz .LBB2_4610
; %bb.4609:                             ;   in Loop: Header=BB2_4545 Depth=2
	;;#ASMSTART
	s_waitcnt lgkmcnt(0) vmcnt(0)
	;;#ASMEND
	s_barrier
.LBB2_4610:                             ;   in Loop: Header=BB2_4545 Depth=2
	s_or_b64 exec, exec, vcc
	v_and_b32_e32 v1, 16, v57
.LBB2_4611:                             ;   in Loop: Header=BB2_4545 Depth=2
	s_or_b64 exec, exec, s[28:29]
	v_cmp_ne_u32_e32 vcc, 0, v1
	s_xor_b64 s[28:29], s[12:13], -1
	s_and_b64 vcc, vcc, s[28:29]
	s_and_saveexec_b64 s[28:29], vcc
	s_cbranch_execz .LBB2_4613
; %bb.4612:                             ;   in Loop: Header=BB2_4545 Depth=2
	v_accvgpr_read_b32 v2, a20
	v_accvgpr_read_b32 v3, a21
	v_mov_b32_e32 v1, 1
	flat_store_dword v[2:3], v1
.LBB2_4613:                             ;   in Loop: Header=BB2_4545 Depth=2
	s_or_b64 exec, exec, s[28:29]
	v_and_b32_e32 v1, 48, v57
	v_cmp_ne_u32_e32 vcc, 0, v1
	s_and_saveexec_b64 s[28:29], vcc
	s_cbranch_execz .LBB2_4544
; %bb.4614:                             ;   in Loop: Header=BB2_4545 Depth=2
	v_add_co_u32_e32 v44, vcc, 2, v44
	v_addc_co_u32_e32 v45, vcc, 0, v45, vcc
	flat_store_dwordx2 v[48:49], v[44:45]
	s_branch .LBB2_4544
.LBB2_4615:                             ;   in Loop: Header=BB2_47 Depth=1
	s_or_b64 exec, exec, s[62:63]
	s_or_b64 exec, exec, s[60:61]
	v_cmp_gt_i32_e32 vcc, 2, v1
	s_and_saveexec_b64 s[30:31], vcc
	s_cbranch_execnz .LBB2_4543
.LBB2_4616:                             ;   in Loop: Header=BB2_47 Depth=1
	s_or_b64 exec, exec, s[30:31]
	s_and_b64 vcc, exec, s[26:27]
	s_cbranch_vccz .LBB2_4618
	s_branch .LBB2_4876
.LBB2_4617:                             ;   in Loop: Header=BB2_47 Depth=1
	s_or_b64 exec, exec, s[34:35]
	s_or_b64 exec, exec, s[30:31]
	s_and_b64 vcc, exec, s[26:27]
	s_cbranch_vccnz .LBB2_4876
.LBB2_4618:                             ;   in Loop: Header=BB2_47 Depth=1
	s_mov_b32 s74, 1
.LBB2_4619:                             ;   Parent Loop BB2_47 Depth=1
                                        ; =>  This Loop Header: Depth=2
                                        ;       Child Loop BB2_4622 Depth 3
                                        ;         Child Loop BB2_4630 Depth 4
                                        ;         Child Loop BB2_4656 Depth 4
	;; [unrolled: 1-line block ×4, first 2 shown]
                                        ;           Child Loop BB2_4697 Depth 5
                                        ;         Child Loop BB2_4703 Depth 4
                                        ;           Child Loop BB2_4704 Depth 5
                                        ;         Child Loop BB2_4713 Depth 4
                                        ;         Child Loop BB2_4718 Depth 4
                                        ;           Child Loop BB2_4719 Depth 5
                                        ;         Child Loop BB2_4732 Depth 4
                                        ;         Child Loop BB2_4737 Depth 4
                                        ;         Child Loop BB2_4745 Depth 4
                                        ;         Child Loop BB2_4750 Depth 4
                                        ;         Child Loop BB2_4761 Depth 4
                                        ;         Child Loop BB2_4784 Depth 4
                                        ;       Child Loop BB2_4802 Depth 3
                                        ;         Child Loop BB2_4808 Depth 4
                                        ;         Child Loop BB2_4838 Depth 4
	;; [unrolled: 1-line block ×3, first 2 shown]
	s_sub_i32 s26, s81, s74
	s_cmp_le_i32 s76, s26
	s_cselect_b32 s27, s76, 0
	s_sub_i32 s26, s26, s27
	v_accvgpr_read_b32 v6, a50
	s_ashr_i32 s27, s26, 31
	v_accvgpr_read_b32 v7, a51
	v_mul_lo_u32 v1, v6, s27
	v_mul_lo_u32 v4, v7, s26
	v_mad_u64_u32 v[2:3], s[26:27], v6, s26, 0
	v_add3_u32 v3, v3, v1, v4
	v_accvgpr_read_b32 v4, a52
	v_accvgpr_read_b32 v5, a53
	v_sub_co_u32_e32 v4, vcc, v4, v2
	v_subb_co_u32_e32 v5, vcc, v5, v3, vcc
	v_cmp_lt_i64_e32 vcc, v[6:7], v[4:5]
	v_cndmask_b32_e32 v1, v4, v6, vcc
	v_max_i32_e32 v6, 0, v1
	v_add_u32_e32 v4, 31, v6
	v_lshrrev_b32_e32 v4, 1, v4
	v_and_b32_e32 v4, 0x3ffffff0, v4
	v_cmp_lt_i32_e32 vcc, 0, v1
	v_max_i32_e32 v4, s84, v4
	s_and_b64 s[26:27], s[52:53], vcc
	v_mov_b32_e32 v1, 0
	v_mov_b32_e32 v7, 0
	s_and_saveexec_b64 s[36:37], s[26:27]
	s_cbranch_execz .LBB2_4799
; %bb.4620:                             ;   in Loop: Header=BB2_4619 Depth=2
	v_accvgpr_read_b32 v1, a54
	v_add_co_u32_e32 v16, vcc, v2, v1
	v_accvgpr_read_b32 v1, a55
	v_addc_co_u32_e32 v17, vcc, v3, v1, vcc
	s_mov_b32 s75, 1
	s_mov_b64 s[62:63], -1
	s_mov_b64 s[60:61], 0
	v_mov_b32_e32 v7, 0
	s_branch .LBB2_4622
.LBB2_4621:                             ;   in Loop: Header=BB2_4622 Depth=3
	s_or_b64 exec, exec, s[26:27]
	v_add_u32_e32 v7, v4, v7
	v_cmp_ge_i32_e32 vcc, v7, v6
	s_xor_b64 s[26:27], s[62:63], -1
	s_or_b64 s[26:27], s[26:27], vcc
	s_and_b64 s[26:27], exec, s[26:27]
	s_or_b64 s[60:61], s[26:27], s[60:61]
	s_mov_b64 s[62:63], 0
	v_mov_b32_e32 v1, s75
	s_mov_b32 s75, 2
	s_andn2_b64 exec, exec, s[60:61]
	s_cbranch_execz .LBB2_4872
.LBB2_4622:                             ;   Parent Loop BB2_47 Depth=1
                                        ;     Parent Loop BB2_4619 Depth=2
                                        ; =>    This Loop Header: Depth=3
                                        ;         Child Loop BB2_4630 Depth 4
                                        ;         Child Loop BB2_4656 Depth 4
	;; [unrolled: 1-line block ×4, first 2 shown]
                                        ;           Child Loop BB2_4697 Depth 5
                                        ;         Child Loop BB2_4703 Depth 4
                                        ;           Child Loop BB2_4704 Depth 5
                                        ;         Child Loop BB2_4713 Depth 4
                                        ;         Child Loop BB2_4718 Depth 4
                                        ;           Child Loop BB2_4719 Depth 5
                                        ;         Child Loop BB2_4732 Depth 4
                                        ;         Child Loop BB2_4737 Depth 4
	;; [unrolled: 1-line block ×6, first 2 shown]
	s_and_saveexec_b64 s[26:27], s[4:5]
	s_cbranch_execz .LBB2_4624
; %bb.4623:                             ;   in Loop: Header=BB2_4622 Depth=3
	s_trap 2
	ds_read_b128 v[8:11], v0
	v_ashrrev_i32_e32 v5, 31, v7
	s_waitcnt lgkmcnt(0)
	v_add_co_u32_e32 v1, vcc, v8, v16
	v_addc_co_u32_e32 v3, vcc, v9, v17, vcc
	v_add_co_u32_e32 v2, vcc, v1, v7
	v_addc_co_u32_e32 v3, vcc, v3, v5, vcc
	v_add_co_u32_e32 v1, vcc, v10, v16
	ds_write_b64 v0, v[2:3]
	v_addc_co_u32_e32 v2, vcc, v11, v17, vcc
	v_add_co_u32_e32 v1, vcc, v1, v7
	v_addc_co_u32_e32 v2, vcc, v2, v5, vcc
	v_cmp_ne_u64_e32 vcc, 0, v[10:11]
	v_cndmask_b32_e32 v3, 0, v2, vcc
	v_cndmask_b32_e32 v2, 0, v1, vcc
	ds_write_b64 v0, v[2:3]
.LBB2_4624:                             ;   in Loop: Header=BB2_4622 Depth=3
	s_or_b64 exec, exec, s[26:27]
	v_and_b32_e32 v1, 12, v57
	v_cmp_ne_u32_e32 vcc, 0, v1
	s_mov_b64 s[28:29], -1
	s_and_saveexec_b64 s[26:27], vcc
	s_cbranch_execz .LBB2_4636
; %bb.4625:                             ;   in Loop: Header=BB2_4622 Depth=3
	v_and_b32_e32 v2, 8, v57
	v_add_co_u32_e32 v10, vcc, v50, v2
	v_addc_co_u32_e32 v11, vcc, 0, v51, vcc
	v_add_co_u32_e32 v8, vcc, 2, v44
	v_addc_co_u32_e32 v9, vcc, 0, v45, vcc
	v_cmp_lt_u64_e32 vcc, v[10:11], v[8:9]
	v_mov_b32_e32 v1, 1
	s_and_saveexec_b64 s[28:29], vcc
	s_cbranch_execz .LBB2_4635
; %bb.4626:                             ;   in Loop: Header=BB2_4622 Depth=3
	s_mov_b64 s[30:31], 0
	v_mov_b32_e32 v1, 0
                                        ; implicit-def: $sgpr34_sgpr35
	s_branch .LBB2_4630
.LBB2_4627:                             ;   in Loop: Header=BB2_4630 Depth=4
	s_or_b64 exec, exec, s[70:71]
	v_mov_b32_e32 v3, 0
	s_orn2_b64 s[68:69], s[68:69], exec
.LBB2_4628:                             ;   in Loop: Header=BB2_4630 Depth=4
	s_or_b64 exec, exec, s[66:67]
	s_andn2_b64 vcc, s[34:35], exec
	s_and_b64 s[34:35], s[68:69], exec
	s_or_b64 s[34:35], vcc, s[34:35]
	v_mov_b32_e32 v1, v3
.LBB2_4629:                             ;   in Loop: Header=BB2_4630 Depth=4
	s_or_b64 exec, exec, s[64:65]
	s_waitcnt vmcnt(0) lgkmcnt(0)
	v_add_co_u32_e32 v10, vcc, v50, v2
	v_addc_co_u32_e32 v11, vcc, 0, v51, vcc
	v_cmp_ge_u64_e32 vcc, v[10:11], v[8:9]
	s_xor_b64 s[64:65], s[34:35], -1
	s_or_b64 vcc, s[64:65], vcc
	s_and_b64 vcc, exec, vcc
	s_or_b64 s[30:31], vcc, s[30:31]
	s_andn2_b64 exec, exec, s[30:31]
	s_cbranch_execz .LBB2_4634
.LBB2_4630:                             ;   Parent Loop BB2_47 Depth=1
                                        ;     Parent Loop BB2_4619 Depth=2
                                        ;       Parent Loop BB2_4622 Depth=3
                                        ; =>      This Inner Loop Header: Depth=4
	s_sleep 1
	flat_load_dwordx2 v[50:51], v[48:49] glc
	v_and_b32_e32 v3, 64, v57
	v_cmp_eq_u32_e32 vcc, 0, v3
	s_andn2_b64 s[34:35], s[34:35], exec
	s_and_saveexec_b64 s[64:65], vcc
	s_cbranch_execz .LBB2_4629
; %bb.4631:                             ;   in Loop: Header=BB2_4630 Depth=4
	v_add_u32_e32 v3, 1, v1
	v_cmp_lt_i32_e32 vcc, s89, v1
	s_mov_b64 s[68:69], -1
	s_and_saveexec_b64 s[66:67], vcc
	s_cbranch_execz .LBB2_4628
; %bb.4632:                             ;   in Loop: Header=BB2_4630 Depth=4
	s_trap 2
	ds_read_b64 v[10:11], v0
	s_waitcnt vmcnt(0) lgkmcnt(0)
	flat_load_dword v1, v[10:11] glc
	s_waitcnt vmcnt(0) lgkmcnt(0)
	buffer_invl2
	buffer_wbinvl1_vol
	v_cmp_ne_u32_e32 vcc, 0, v1
	s_and_saveexec_b64 s[70:71], vcc
	s_cbranch_execz .LBB2_4627
; %bb.4633:                             ;   in Loop: Header=BB2_4630 Depth=4
	v_or_b32_e32 v57, 64, v57
	s_xor_b64 s[68:69], exec, -1
	ds_write_b32 v0, v1
	s_trap 2
	s_branch .LBB2_4627
.LBB2_4634:                             ;   in Loop: Header=BB2_4622 Depth=3
	s_or_b64 exec, exec, s[30:31]
	v_and_b32_e32 v1, 12, v57
.LBB2_4635:                             ;   in Loop: Header=BB2_4622 Depth=3
	s_or_b64 exec, exec, s[28:29]
	v_cmp_eq_u32_e32 vcc, 0, v1
	s_orn2_b64 s[28:29], vcc, exec
	;;#ASMSTART
	s_wakeup
	;;#ASMEND
.LBB2_4636:                             ;   in Loop: Header=BB2_4622 Depth=3
	s_or_b64 exec, exec, s[26:27]
	v_sub_u32_e32 v1, v6, v7
	s_xor_b64 s[26:27], s[28:29], -1
	v_min_i32_e32 v4, v4, v1
	s_and_saveexec_b64 s[28:29], s[26:27]
	s_cbranch_execz .LBB2_4648
; %bb.4637:                             ;   in Loop: Header=BB2_4622 Depth=3
	v_and_b32_e32 v1, 0x108, v57
	v_cmp_ne_u32_e32 vcc, s90, v1
	v_and_b32_e32 v2, 7, v44
	s_and_saveexec_b64 s[26:27], vcc
	s_xor_b64 s[26:27], exec, s[26:27]
	s_andn2_saveexec_b64 s[26:27], s[26:27]
	s_cbranch_execz .LBB2_4639
; %bb.4638:                             ;   in Loop: Header=BB2_4622 Depth=3
	v_accvgpr_read_b32 v8, a12
	v_accvgpr_read_b32 v9, a13
	v_mad_u64_u32 v[8:9], vcc, v2, 24, v[8:9]
	v_ashrrev_i32_e32 v5, 31, v4
	flat_store_dwordx2 v[8:9], v[4:5] offset:8
.LBB2_4639:                             ;   in Loop: Header=BB2_4622 Depth=3
	s_or_b64 exec, exec, s[26:27]
	v_and_b32_e32 v1, 0x100, v57
	v_cmp_ne_u32_e32 vcc, 0, v1
	s_mov_b64 s[26:27], -1
                                        ; implicit-def: $vgpr8_vgpr9
	s_and_saveexec_b64 s[30:31], vcc
	s_cbranch_execz .LBB2_4643
; %bb.4640:                             ;   in Loop: Header=BB2_4622 Depth=3
	v_accvgpr_read_b32 v8, a12
	v_accvgpr_read_b32 v9, a13
	v_mad_u64_u32 v[10:11], s[26:27], v2, 24, v[8:9]
	v_mov_b32_e32 v8, v11
	v_mad_u64_u32 v[8:9], s[26:27], v61, 24, v[8:9]
	v_mov_b32_e32 v11, v8
	flat_load_dword v1, v[10:11]
                                        ; implicit-def: $vgpr8_vgpr9
	s_waitcnt vmcnt(0) lgkmcnt(0)
	v_cmp_ne_u32_e32 vcc, 1, v1
	v_cmp_eq_u32_e64 s[26:27], 1, v1
	s_and_saveexec_b64 s[34:35], s[26:27]
	s_cbranch_execz .LBB2_4642
; %bb.4641:                             ;   in Loop: Header=BB2_4622 Depth=3
	flat_load_dword v8, v[10:11] offset:4 glc
	s_waitcnt vmcnt(0) lgkmcnt(0)
	v_ashrrev_i32_e32 v9, 31, v8
.LBB2_4642:                             ;   in Loop: Header=BB2_4622 Depth=3
	s_or_b64 exec, exec, s[34:35]
	s_orn2_b64 s[26:27], vcc, exec
.LBB2_4643:                             ;   in Loop: Header=BB2_4622 Depth=3
	s_or_b64 exec, exec, s[30:31]
	s_and_saveexec_b64 vcc, s[26:27]
; %bb.4644:                             ;   in Loop: Header=BB2_4622 Depth=3
	v_accvgpr_read_b32 v8, a16
	v_accvgpr_read_b32 v3, a17
	v_mul_lo_u32 v1, v61, v8
	v_mul_lo_u32 v3, v2, v3
	v_mad_u64_u32 v[8:9], s[26:27], v2, v8, 0
	v_add3_u32 v9, v9, v3, v1
; %bb.4645:                             ;   in Loop: Header=BB2_4622 Depth=3
	s_or_b64 exec, exec, vcc
	v_accvgpr_read_b32 v2, a18
	v_accvgpr_read_b32 v3, a19
	v_add_co_u32_e32 v2, vcc, v2, v8
	v_addc_co_u32_e32 v3, vcc, v3, v9, vcc
	v_and_b32_e32 v1, 0x2000, v57
	v_cmp_ne_u32_e32 vcc, 0, v1
	s_trap 2
	ds_write_b64 v0, v[2:3]
	s_and_saveexec_b64 s[26:27], vcc
	s_cbranch_execz .LBB2_4647
; %bb.4646:                             ;   in Loop: Header=BB2_4622 Depth=3
	ds_read_b64 v[2:3], v0 offset:584
	s_waitcnt lgkmcnt(0)
	v_add_co_u32_e32 v2, vcc, 1, v2
	v_addc_co_u32_e32 v3, vcc, 0, v3, vcc
	ds_write_b64 v0, v[2:3] offset:584
.LBB2_4647:                             ;   in Loop: Header=BB2_4622 Depth=3
	s_or_b64 exec, exec, s[26:27]
	v_add_co_u32_e32 v44, vcc, 2, v44
	v_addc_co_u32_e32 v45, vcc, 0, v45, vcc
.LBB2_4648:                             ;   in Loop: Header=BB2_4622 Depth=3
	s_or_b64 exec, exec, s[28:29]
	s_and_saveexec_b64 s[26:27], s[10:11]
	s_cbranch_execz .LBB2_4667
; %bb.4649:                             ;   in Loop: Header=BB2_4622 Depth=3
	s_and_saveexec_b64 s[28:29], s[46:47]
	s_xor_b64 s[28:29], exec, s[28:29]
	s_cbranch_execz .LBB2_4664
; %bb.4650:                             ;   in Loop: Header=BB2_4622 Depth=3
	s_and_saveexec_b64 s[30:31], s[16:17]
	s_cbranch_execz .LBB2_4663
; %bb.4651:                             ;   in Loop: Header=BB2_4622 Depth=3
	s_mov_b64 s[64:65], exec
	v_mbcnt_lo_u32_b32 v1, s64, 0
	v_mbcnt_hi_u32_b32 v1, s65, v1
	v_cmp_eq_u32_e32 vcc, 0, v1
	s_waitcnt vmcnt(0) lgkmcnt(0)
	buffer_wbinvl1_vol
	s_and_saveexec_b64 s[34:35], vcc
	s_cbranch_execz .LBB2_4653
; %bb.4652:                             ;   in Loop: Header=BB2_4622 Depth=3
	s_bcnt1_i32_b64 vcc_lo, s[64:65]
	v_mov_b32_e32 v60, vcc_lo
	ds_add_u64 v0, v[60:61]
	s_trap 2
.LBB2_4653:                             ;   in Loop: Header=BB2_4622 Depth=3
	s_or_b64 exec, exec, s[34:35]
	s_trap 2
	ds_read_b64 v[2:3], v0
	v_accvgpr_read_b32 v8, a14
	v_accvgpr_read_b32 v10, a22
	;; [unrolled: 1-line block ×3, first 2 shown]
	v_add_co_u32_e32 v8, vcc, v8, v10
	v_addc_co_u32_e32 v9, vcc, 0, v9, vcc
	v_accvgpr_write_b32 a15, v9
	v_accvgpr_write_b32 a14, v8
	s_waitcnt lgkmcnt(0)
	v_cmp_lt_u64_e32 vcc, v[2:3], v[8:9]
	s_and_saveexec_b64 s[34:35], vcc
	s_cbranch_execz .LBB2_4662
; %bb.4654:                             ;   in Loop: Header=BB2_4622 Depth=3
	s_mov_b32 s95, 0
	s_mov_b64 s[64:65], 0
                                        ; implicit-def: $sgpr66_sgpr67
                                        ; implicit-def: $sgpr68_sgpr69
	s_branch .LBB2_4656
.LBB2_4655:                             ;   in Loop: Header=BB2_4656 Depth=4
	s_or_b64 exec, exec, s[72:73]
	s_and_b64 vcc, exec, vcc
	s_or_b64 s[64:65], vcc, s[64:65]
	s_andn2_b64 vcc, s[66:67], exec
	s_and_b64 s[66:67], s[68:69], exec
	s_or_b64 s[66:67], vcc, s[66:67]
	s_andn2_b64 exec, exec, s[64:65]
	s_cbranch_execz .LBB2_4660
.LBB2_4656:                             ;   Parent Loop BB2_47 Depth=1
                                        ;     Parent Loop BB2_4619 Depth=2
                                        ;       Parent Loop BB2_4622 Depth=3
                                        ; =>      This Inner Loop Header: Depth=4
	s_add_i32 s95, s95, 1
	s_cmpk_lg_i32 s95, 0x2710
	s_cselect_b64 s[70:71], -1, 0
	s_and_b64 vcc, exec, s[70:71]
                                        ; implicit-def: $sgpr72_sgpr73
	s_cbranch_vccnz .LBB2_4658
; %bb.4657:                             ;   in Loop: Header=BB2_4656 Depth=4
	s_trap 2
	ds_read_b64 v[2:3], v0
	s_andn2_b64 s[70:71], s[70:71], exec
	s_mov_b32 s95, 0
	s_mov_b64 s[72:73], -1
	s_waitcnt lgkmcnt(0)
	flat_load_dword v1, v[2:3] glc
	s_waitcnt vmcnt(0) lgkmcnt(0)
	buffer_invl2
	buffer_wbinvl1_vol
	v_cmp_eq_u32_e32 vcc, 0, v1
	s_and_b64 vcc, vcc, exec
	s_or_b64 s[70:71], s[70:71], vcc
.LBB2_4658:                             ;   in Loop: Header=BB2_4656 Depth=4
	s_andn2_b64 s[68:69], s[68:69], exec
	s_and_b64 s[72:73], s[72:73], exec
	s_mov_b64 vcc, -1
	s_or_b64 s[68:69], s[68:69], s[72:73]
	s_and_saveexec_b64 s[72:73], s[70:71]
	s_cbranch_execz .LBB2_4655
; %bb.4659:                             ;   in Loop: Header=BB2_4656 Depth=4
	s_sleep 1
	s_trap 2
	ds_read_b64 v[2:3], v0
	v_accvgpr_read_b32 v8, a14
	v_accvgpr_read_b32 v9, a15
	s_andn2_b64 s[68:69], s[68:69], exec
	s_waitcnt lgkmcnt(0)
	v_cmp_ge_u64_e32 vcc, v[2:3], v[8:9]
	s_orn2_b64 vcc, vcc, exec
	s_branch .LBB2_4655
.LBB2_4660:                             ;   in Loop: Header=BB2_4622 Depth=3
	s_or_b64 exec, exec, s[64:65]
	s_and_saveexec_b64 vcc, s[66:67]
	s_xor_b64 vcc, exec, vcc
	s_cbranch_execz .LBB2_4662
; %bb.4661:                             ;   in Loop: Header=BB2_4622 Depth=3
	v_mov_b32_e32 v1, 1
	ds_write_b32 v0, v1
	s_trap 2
.LBB2_4662:                             ;   in Loop: Header=BB2_4622 Depth=3
	s_or_b64 exec, exec, s[34:35]
	;;#ASMSTART
	s_wakeup
	;;#ASMEND
.LBB2_4663:                             ;   in Loop: Header=BB2_4622 Depth=3
	s_or_b64 exec, exec, s[30:31]
.LBB2_4664:                             ;   in Loop: Header=BB2_4622 Depth=3
	s_andn2_saveexec_b64 s[28:29], s[28:29]
	s_cbranch_execz .LBB2_4666
; %bb.4665:                             ;   in Loop: Header=BB2_4622 Depth=3
	s_waitcnt vmcnt(0) lgkmcnt(0)
	buffer_wbinvl1_vol
	s_barrier
.LBB2_4666:                             ;   in Loop: Header=BB2_4622 Depth=3
	s_or_b64 exec, exec, s[28:29]
.LBB2_4667:                             ;   in Loop: Header=BB2_4622 Depth=3
	s_or_b64 exec, exec, s[26:27]
	s_trap 2
	ds_read_b32 v2, v0
	v_and_b32_e32 v1, 0x4000, v57
	v_cmp_ne_u32_e32 vcc, 0, v1
	s_xor_b64 s[26:27], s[6:7], -1
	s_and_b64 s[28:29], s[26:27], vcc
	s_and_saveexec_b64 s[26:27], s[28:29]
	s_cbranch_execz .LBB2_4686
; %bb.4668:                             ;   in Loop: Header=BB2_4622 Depth=3
	s_and_saveexec_b64 s[28:29], s[46:47]
	s_xor_b64 s[28:29], exec, s[28:29]
	s_cbranch_execz .LBB2_4683
; %bb.4669:                             ;   in Loop: Header=BB2_4622 Depth=3
	s_and_saveexec_b64 s[30:31], s[16:17]
	s_cbranch_execz .LBB2_4682
; %bb.4670:                             ;   in Loop: Header=BB2_4622 Depth=3
	s_mov_b64 s[64:65], exec
	v_mbcnt_lo_u32_b32 v1, s64, 0
	v_mbcnt_hi_u32_b32 v1, s65, v1
	v_cmp_eq_u32_e32 vcc, 0, v1
	s_waitcnt vmcnt(0) lgkmcnt(0)
	buffer_wbinvl1_vol
	s_and_saveexec_b64 s[34:35], vcc
	s_cbranch_execz .LBB2_4672
; %bb.4671:                             ;   in Loop: Header=BB2_4622 Depth=3
	s_bcnt1_i32_b64 vcc_lo, s[64:65]
	v_mov_b32_e32 v60, vcc_lo
	ds_add_u64 v0, v[60:61]
	s_trap 2
.LBB2_4672:                             ;   in Loop: Header=BB2_4622 Depth=3
	s_or_b64 exec, exec, s[34:35]
	s_trap 2
	ds_read_b64 v[8:9], v0
	v_accvgpr_read_b32 v10, a14
	v_accvgpr_read_b32 v12, a22
	;; [unrolled: 1-line block ×3, first 2 shown]
	v_add_co_u32_e32 v10, vcc, v10, v12
	v_addc_co_u32_e32 v11, vcc, 0, v11, vcc
	v_accvgpr_write_b32 a15, v11
	v_accvgpr_write_b32 a14, v10
	s_waitcnt lgkmcnt(0)
	v_cmp_lt_u64_e32 vcc, v[8:9], v[10:11]
	s_and_saveexec_b64 s[34:35], vcc
	s_cbranch_execz .LBB2_4681
; %bb.4673:                             ;   in Loop: Header=BB2_4622 Depth=3
	s_mov_b32 s95, 0
	s_mov_b64 s[64:65], 0
                                        ; implicit-def: $sgpr66_sgpr67
                                        ; implicit-def: $sgpr68_sgpr69
	s_branch .LBB2_4675
.LBB2_4674:                             ;   in Loop: Header=BB2_4675 Depth=4
	s_or_b64 exec, exec, s[72:73]
	s_and_b64 vcc, exec, vcc
	s_or_b64 s[64:65], vcc, s[64:65]
	s_andn2_b64 vcc, s[66:67], exec
	s_and_b64 s[66:67], s[68:69], exec
	s_or_b64 s[66:67], vcc, s[66:67]
	s_andn2_b64 exec, exec, s[64:65]
	s_cbranch_execz .LBB2_4679
.LBB2_4675:                             ;   Parent Loop BB2_47 Depth=1
                                        ;     Parent Loop BB2_4619 Depth=2
                                        ;       Parent Loop BB2_4622 Depth=3
                                        ; =>      This Inner Loop Header: Depth=4
	s_add_i32 s95, s95, 1
	s_cmpk_lg_i32 s95, 0x2710
	s_cselect_b64 s[70:71], -1, 0
	s_and_b64 vcc, exec, s[70:71]
                                        ; implicit-def: $sgpr72_sgpr73
	s_cbranch_vccnz .LBB2_4677
; %bb.4676:                             ;   in Loop: Header=BB2_4675 Depth=4
	s_trap 2
	ds_read_b64 v[8:9], v0
	s_andn2_b64 s[70:71], s[70:71], exec
	s_mov_b32 s95, 0
	s_mov_b64 s[72:73], -1
	s_waitcnt lgkmcnt(0)
	flat_load_dword v1, v[8:9] glc
	s_waitcnt vmcnt(0) lgkmcnt(0)
	buffer_invl2
	buffer_wbinvl1_vol
	v_cmp_eq_u32_e32 vcc, 0, v1
	s_and_b64 vcc, vcc, exec
	s_or_b64 s[70:71], s[70:71], vcc
.LBB2_4677:                             ;   in Loop: Header=BB2_4675 Depth=4
	s_andn2_b64 s[68:69], s[68:69], exec
	s_and_b64 s[72:73], s[72:73], exec
	s_mov_b64 vcc, -1
	s_or_b64 s[68:69], s[68:69], s[72:73]
	s_and_saveexec_b64 s[72:73], s[70:71]
	s_cbranch_execz .LBB2_4674
; %bb.4678:                             ;   in Loop: Header=BB2_4675 Depth=4
	s_sleep 1
	s_trap 2
	ds_read_b64 v[8:9], v0
	v_accvgpr_read_b32 v10, a14
	v_accvgpr_read_b32 v11, a15
	s_andn2_b64 s[68:69], s[68:69], exec
	s_waitcnt lgkmcnt(0)
	v_cmp_ge_u64_e32 vcc, v[8:9], v[10:11]
	s_orn2_b64 vcc, vcc, exec
	s_branch .LBB2_4674
.LBB2_4679:                             ;   in Loop: Header=BB2_4622 Depth=3
	s_or_b64 exec, exec, s[64:65]
	s_and_saveexec_b64 vcc, s[66:67]
	s_xor_b64 vcc, exec, vcc
	s_cbranch_execz .LBB2_4681
; %bb.4680:                             ;   in Loop: Header=BB2_4622 Depth=3
	v_mov_b32_e32 v1, 1
	ds_write_b32 v0, v1
	s_trap 2
.LBB2_4681:                             ;   in Loop: Header=BB2_4622 Depth=3
	s_or_b64 exec, exec, s[34:35]
	;;#ASMSTART
	s_wakeup
	;;#ASMEND
.LBB2_4682:                             ;   in Loop: Header=BB2_4622 Depth=3
	s_or_b64 exec, exec, s[30:31]
.LBB2_4683:                             ;   in Loop: Header=BB2_4622 Depth=3
	s_andn2_saveexec_b64 s[28:29], s[28:29]
	s_cbranch_execz .LBB2_4685
; %bb.4684:                             ;   in Loop: Header=BB2_4622 Depth=3
	s_waitcnt vmcnt(0) lgkmcnt(0)
	buffer_wbinvl1_vol
	s_barrier
.LBB2_4685:                             ;   in Loop: Header=BB2_4622 Depth=3
	s_or_b64 exec, exec, s[28:29]
.LBB2_4686:                             ;   in Loop: Header=BB2_4622 Depth=3
	s_or_b64 exec, exec, s[26:27]
	s_trap 2
	ds_read_b64 v[8:9], v0
	v_mov_b32_e32 v1, 0
	s_waitcnt lgkmcnt(0)
	v_readfirstlane_b32 s26, v8
	v_readfirstlane_b32 s27, v9
	s_cmp_eq_u64 s[26:27], 0
	s_cselect_b64 s[26:27], -1, 0
	s_or_b64 s[26:27], s[26:27], s[26:27]
	s_and_b64 vcc, exec, s[26:27]
	s_cbranch_vccnz .LBB2_4753
; %bb.4687:                             ;   in Loop: Header=BB2_4622 Depth=3
	s_trap 2
	ds_read_b64 v[8:9], v0
	v_cmp_eq_u32_e64 s[26:27], 0, v2
	v_cndmask_b32_e64 v1, 0, v4, s[26:27]
	s_mov_b64 s[26:27], -1
	s_waitcnt lgkmcnt(0)
	v_cmp_ne_u64_e32 vcc, 0, v[8:9]
	s_cbranch_vccz .LBB2_4723
; %bb.4688:                             ;   in Loop: Header=BB2_4622 Depth=3
	s_and_saveexec_b64 s[28:29], s[20:21]
	s_cbranch_execz .LBB2_4690
; %bb.4689:                             ;   in Loop: Header=BB2_4622 Depth=3
	ds_read_b32 v2, v0 offset:720
	s_waitcnt lgkmcnt(0)
	v_and_b32_e32 v2, 15, v2
	v_cmp_eq_u32_e32 vcc, 0, v2
	s_orn2_b64 s[26:27], vcc, exec
.LBB2_4690:                             ;   in Loop: Header=BB2_4622 Depth=3
	s_or_b64 exec, exec, s[28:29]
	s_and_saveexec_b64 s[28:29], s[22:23]
	s_cbranch_execz .LBB2_4692
; %bb.4691:                             ;   in Loop: Header=BB2_4622 Depth=3
	ds_read_b32 v2, v0 offset:784
	s_waitcnt lgkmcnt(0)
	v_and_b32_e32 v2, 15, v2
	v_cmp_eq_u32_e32 vcc, 0, v2
	s_and_b64 vcc, s[26:27], vcc
	s_andn2_b64 s[26:27], s[26:27], exec
	s_and_b64 vcc, vcc, exec
	s_or_b64 s[26:27], s[26:27], vcc
.LBB2_4692:                             ;   in Loop: Header=BB2_4622 Depth=3
	s_or_b64 exec, exec, s[28:29]
	s_xor_b64 s[26:27], s[26:27], -1
	v_cndmask_b32_e64 v2, 0, 1, s[26:27]
	;;#ASMSTART
	;;#ASMEND
	s_mov_b64 s[28:29], -1
	v_cmp_ne_u32_e32 vcc, 0, v2
	v_mov_b32_e32 v5, 0
	v_mov_b32_e32 v12, v1
	v_accvgpr_read_b32 v13, a3
	v_accvgpr_read_b32 v2, a31
	s_cbranch_vccz .LBB2_4694
; %bb.4693:                             ;   in Loop: Header=BB2_4622 Depth=3
	s_and_saveexec_b64 s[30:31], s[28:29]
	s_cbranch_execnz .LBB2_4711
	s_branch .LBB2_4722
.LBB2_4694:                             ;   in Loop: Header=BB2_4622 Depth=3
	v_accvgpr_read_b32 v2, a24
	v_sub_u32_e32 v5, v1, v2
	v_ashrrev_i32_e32 v2, 31, v1
	v_lshrrev_b32_e32 v2, 22, v2
	v_add_u32_e32 v2, v1, v2
	v_and_b32_e32 v18, 0xfffffc00, v2
	v_accvgpr_read_b32 v3, a25
	v_sub_u32_e32 v21, v1, v18
	v_ashrrev_i32_e32 v3, 10, v2
	v_cmp_lt_i32_e64 s[26:27], 15, v21
	v_accvgpr_read_b32 v2, a41
	v_addc_co_u32_e64 v20, vcc, v3, v2, s[26:27]
	v_cmp_lt_i32_e32 vcc, 15, v5
	s_and_saveexec_b64 s[64:65], vcc
	s_cbranch_execz .LBB2_4700
; %bb.4695:                             ;   in Loop: Header=BB2_4622 Depth=3
	s_trap 2
	ds_read_b64 v[2:3], v0
	ds_read_b128 v[8:11], v0
	v_accvgpr_read_b32 v12, a24
	v_accvgpr_read_b32 v13, a25
	s_mov_b64 s[66:67], 0
	s_waitcnt lgkmcnt(0)
	v_add_co_u32_e32 v14, vcc, v2, v12
	v_addc_co_u32_e32 v15, vcc, v3, v13, vcc
	v_add_co_u32_e32 v2, vcc, v8, v12
	v_addc_co_u32_e32 v3, vcc, v9, v13, vcc
	;; [unrolled: 2-line block ×3, first 2 shown]
.LBB2_4696:                             ;   Parent Loop BB2_47 Depth=1
                                        ;     Parent Loop BB2_4619 Depth=2
                                        ;       Parent Loop BB2_4622 Depth=3
                                        ; =>      This Loop Header: Depth=4
                                        ;           Child Loop BB2_4697 Depth 5
	global_load_dwordx4 v[10:13], v[14:15], off glc slc
	s_mov_b64 s[70:71], -1
	s_mov_b64 s[68:69], 0
	s_waitcnt vmcnt(0)
.LBB2_4697:                             ;   Parent Loop BB2_47 Depth=1
                                        ;     Parent Loop BB2_4619 Depth=2
                                        ;       Parent Loop BB2_4622 Depth=3
                                        ;         Parent Loop BB2_4696 Depth=4
                                        ; =>        This Inner Loop Header: Depth=5
	s_cmp_eq_u32 s68, 0
	s_cselect_b64 s[28:29], -1, 0
	s_cmp_eq_u32 s68, 1
	s_cselect_b64 s[34:35], -1, 0
	v_cndmask_b32_e64 v19, 0, 1, s[70:71]
	v_cndmask_b32_e64 v22, v2, v8, s[34:35]
	v_cmp_ne_u32_e64 s[30:31], 1, v19
	v_cndmask_b32_e64 v23, v3, v9, s[34:35]
	v_add_co_u32_e32 v19, vcc, 0x400, v22
	global_store_dwordx4 v[22:23], v[10:13], off glc slc
	v_addc_co_u32_e32 v22, vcc, 0, v23, vcc
	s_mov_b64 s[70:71], 0
	s_mov_b64 s[68:69], 1
	v_cndmask_b32_e64 v8, v8, v19, s[34:35]
	s_and_b64 vcc, exec, s[30:31]
	v_cndmask_b32_e64 v9, v9, v22, s[34:35]
	v_cndmask_b32_e64 v3, v3, v22, s[28:29]
	;; [unrolled: 1-line block ×3, first 2 shown]
	s_cbranch_vccz .LBB2_4697
; %bb.4698:                             ;   in Loop: Header=BB2_4696 Depth=4
	v_accvgpr_read_b32 v10, a32
	v_add_co_u32_e32 v2, vcc, v2, v10
	v_accvgpr_read_b32 v11, a33
	v_addc_co_u32_e32 v3, vcc, v3, v11, vcc
	v_add_co_u32_e32 v8, vcc, v8, v10
	v_addc_co_u32_e32 v9, vcc, v9, v11, vcc
	v_accvgpr_read_b32 v10, a42
	v_add_co_u32_e32 v14, vcc, v10, v14
	v_accvgpr_read_b32 v10, a43
	v_addc_co_u32_e32 v15, vcc, v10, v15, vcc
	v_accvgpr_read_b32 v10, a28
	v_sub_u32_e32 v5, v5, v10
	v_cmp_gt_i32_e32 vcc, 16, v5
	v_accvgpr_read_b32 v10, a22
	s_or_b64 s[66:67], vcc, s[66:67]
	v_sub_u32_e32 v20, v20, v10
	s_andn2_b64 exec, exec, s[66:67]
	s_cbranch_execnz .LBB2_4696
; %bb.4699:                             ;   in Loop: Header=BB2_4622 Depth=3
	s_or_b64 exec, exec, s[66:67]
.LBB2_4700:                             ;   in Loop: Header=BB2_4622 Depth=3
	s_or_b64 exec, exec, s[64:65]
	v_and_b32_e32 v3, 15, v1
	v_cndmask_b32_e64 v19, v21, v3, s[26:27]
	v_cmp_ne_u32_e32 vcc, 0, v19
	s_mov_b64 s[28:29], 0
	v_mov_b32_e32 v5, 0
                                        ; implicit-def: $vgpr12
                                        ; implicit-def: $vgpr13
                                        ; implicit-def: $vgpr2
	s_and_saveexec_b64 s[64:65], vcc
	s_cbranch_execz .LBB2_4710
; %bb.4701:                             ;   in Loop: Header=BB2_4622 Depth=3
	v_sub_u32_e32 v2, v21, v3
	v_cndmask_b32_e64 v2, 0, v2, s[26:27]
	v_add_u32_e32 v18, v2, v18
	v_cmp_lt_i32_e32 vcc, 0, v20
	v_accvgpr_read_b32 v2, a22
	v_cndmask_b32_e32 v2, 0, v2, vcc
	v_sub_u32_e32 v2, v2, v20
	v_accvgpr_read_b32 v3, a40
	v_lshl_add_u32 v2, v2, 6, v3
	v_ashrrev_i32_e32 v3, 31, v2
	v_lshrrev_b32_e32 v3, 26, v3
	v_add_u32_e32 v3, v2, v3
	v_ashrrev_i32_e32 v8, 6, v3
	v_and_b32_e32 v3, 0xffffffc0, v3
	v_sub_u32_e32 v20, v2, v3
	v_ashrrev_i32_e32 v3, 31, v19
	v_lshrrev_b32_e32 v3, 22, v3
	v_add_u32_e32 v3, v19, v3
	v_and_b32_e32 v21, 0xfffffc00, v3
	v_lshlrev_b32_e32 v2, 4, v20
	v_sub_u32_e32 v23, v19, v21
	v_lshl_add_u32 v2, v8, 10, v2
	v_ashrrev_i32_e32 v9, 10, v3
	v_cmp_lt_i32_e64 s[26:27], 15, v23
	v_sub_u32_e32 v5, v19, v2
	v_addc_co_u32_e64 v3, vcc, 0, v9, s[26:27]
	v_sub_u32_e32 v22, v3, v8
	v_cmp_lt_i32_e32 vcc, 15, v5
	s_and_saveexec_b64 s[66:67], vcc
	s_cbranch_execz .LBB2_4707
; %bb.4702:                             ;   in Loop: Header=BB2_4622 Depth=3
	s_trap 2
	ds_read_b64 v[12:13], v0
	ds_read_b128 v[8:11], v0
	v_add_u32_e32 v24, v2, v18
	v_ashrrev_i32_e32 v25, 31, v24
	s_mov_b64 s[68:69], 0
	s_waitcnt lgkmcnt(0)
	v_add_co_u32_e32 v14, vcc, v12, v24
	v_addc_co_u32_e32 v15, vcc, v13, v25, vcc
	v_add_co_u32_e32 v2, vcc, v8, v24
	v_addc_co_u32_e32 v3, vcc, v9, v25, vcc
	;; [unrolled: 2-line block ×3, first 2 shown]
.LBB2_4703:                             ;   Parent Loop BB2_47 Depth=1
                                        ;     Parent Loop BB2_4619 Depth=2
                                        ;       Parent Loop BB2_4622 Depth=3
                                        ; =>      This Loop Header: Depth=4
                                        ;           Child Loop BB2_4704 Depth 5
	global_load_dwordx4 v[10:13], v[14:15], off glc slc
	s_mov_b64 s[72:73], -1
	s_mov_b64 s[70:71], 0
	s_waitcnt vmcnt(0)
.LBB2_4704:                             ;   Parent Loop BB2_47 Depth=1
                                        ;     Parent Loop BB2_4619 Depth=2
                                        ;       Parent Loop BB2_4622 Depth=3
                                        ;         Parent Loop BB2_4703 Depth=4
                                        ; =>        This Inner Loop Header: Depth=5
	s_cmp_eq_u32 s70, 0
	s_cselect_b64 s[28:29], -1, 0
	s_cmp_eq_u32 s70, 1
	v_cndmask_b32_e64 v24, 0, 1, s[72:73]
	s_cselect_b64 s[34:35], -1, 0
	v_cmp_ne_u32_e64 s[30:31], 1, v24
	v_cndmask_b32_e64 v25, v3, v9, s[34:35]
	v_cndmask_b32_e64 v24, v2, v8, s[34:35]
	global_store_dwordx4 v[24:25], v[10:13], off glc slc
	v_add_co_u32_e32 v24, vcc, 0x400, v24
	v_addc_co_u32_e32 v25, vcc, 0, v25, vcc
	s_mov_b64 s[72:73], 0
	s_mov_b64 s[70:71], 1
	v_cndmask_b32_e64 v8, v8, v24, s[34:35]
	s_and_b64 vcc, exec, s[30:31]
	v_cndmask_b32_e64 v9, v9, v25, s[34:35]
	v_cndmask_b32_e64 v3, v3, v25, s[28:29]
	;; [unrolled: 1-line block ×3, first 2 shown]
	s_cbranch_vccz .LBB2_4704
; %bb.4705:                             ;   in Loop: Header=BB2_4703 Depth=4
	v_accvgpr_read_b32 v10, a32
	v_add_co_u32_e32 v2, vcc, v2, v10
	v_accvgpr_read_b32 v11, a33
	v_addc_co_u32_e32 v3, vcc, v3, v11, vcc
	v_add_co_u32_e32 v8, vcc, v8, v10
	v_addc_co_u32_e32 v9, vcc, v9, v11, vcc
	v_accvgpr_read_b32 v10, a42
	v_add_co_u32_e32 v14, vcc, v10, v14
	v_accvgpr_read_b32 v10, a43
	v_addc_co_u32_e32 v15, vcc, v10, v15, vcc
	v_accvgpr_read_b32 v10, a28
	v_sub_u32_e32 v5, v5, v10
	v_cmp_gt_i32_e32 vcc, 16, v5
	v_accvgpr_read_b32 v10, a22
	s_or_b64 s[68:69], vcc, s[68:69]
	v_sub_u32_e32 v22, v22, v10
	s_andn2_b64 exec, exec, s[68:69]
	s_cbranch_execnz .LBB2_4703
; %bb.4706:                             ;   in Loop: Header=BB2_4622 Depth=3
	s_or_b64 exec, exec, s[68:69]
.LBB2_4707:                             ;   in Loop: Header=BB2_4622 Depth=3
	s_or_b64 exec, exec, s[66:67]
	v_and_b32_e32 v3, 15, v19
	v_cndmask_b32_e64 v12, v23, v3, s[26:27]
	v_cmp_ne_u32_e32 vcc, 0, v12
	s_mov_b64 s[28:29], 0
	v_mov_b32_e32 v5, 0
                                        ; implicit-def: $vgpr13
                                        ; implicit-def: $vgpr2
	s_and_saveexec_b64 s[30:31], vcc
	s_cbranch_execz .LBB2_4709
; %bb.4708:                             ;   in Loop: Header=BB2_4622 Depth=3
	v_sub_u32_e32 v2, v23, v3
	v_cndmask_b32_e64 v2, 0, v2, s[26:27]
	v_add3_u32 v5, v21, v18, v2
	v_cmp_lt_i32_e32 vcc, 0, v22
	v_accvgpr_read_b32 v2, a22
	v_cndmask_b32_e32 v2, 0, v2, vcc
	v_sub_u32_e32 v2, v2, v22
	v_lshl_add_u32 v13, v2, 6, v20
	v_ashrrev_i32_e32 v2, 31, v13
	v_lshrrev_b32_e32 v2, 26, v2
	v_add_u32_e32 v2, v13, v2
	s_mov_b64 s[28:29], exec
	v_ashrrev_i32_e32 v2, 6, v2
.LBB2_4709:                             ;   in Loop: Header=BB2_4622 Depth=3
	s_or_b64 exec, exec, s[30:31]
	s_and_b64 s[28:29], s[28:29], exec
.LBB2_4710:                             ;   in Loop: Header=BB2_4622 Depth=3
	s_or_b64 exec, exec, s[64:65]
	s_and_saveexec_b64 s[30:31], s[28:29]
	s_cbranch_execz .LBB2_4722
.LBB2_4711:                             ;   in Loop: Header=BB2_4622 Depth=3
	v_ashrrev_i32_e32 v3, 31, v12
	v_lshrrev_b32_e32 v3, 23, v3
	v_add_u32_e32 v3, v12, v3
	v_ashrrev_i32_e32 v18, 9, v3
	v_sub_u32_e32 v14, v18, v2
	v_ashrrev_i32_e32 v3, 31, v13
	v_cmp_lt_i32_e32 vcc, 0, v14
	v_lshrrev_b32_e32 v15, 26, v3
	s_and_saveexec_b64 s[26:27], vcc
	s_cbranch_execz .LBB2_4715
; %bb.4712:                             ;   in Loop: Header=BB2_4622 Depth=3
	s_trap 2
	ds_read_b64 v[20:21], v0
	ds_read_b128 v[8:11], v0
	v_add_u32_e32 v3, v13, v15
	v_and_b32_e32 v3, 0xffffffc0, v3
	v_sub_u32_e32 v3, v13, v3
	v_lshlrev_b32_e32 v2, 9, v2
	v_add3_u32 v19, v5, v3, v2
	v_ashrrev_i32_e32 v22, 31, v19
	s_waitcnt lgkmcnt(0)
	v_add_co_u32_e32 v2, vcc, v8, v19
	v_addc_co_u32_e32 v3, vcc, v9, v22, vcc
	v_add_co_u32_e32 v8, vcc, v10, v19
	v_addc_co_u32_e32 v9, vcc, v11, v22, vcc
	;; [unrolled: 2-line block ×4, first 2 shown]
	s_mov_b64 s[28:29], 0
	v_accvgpr_read_b32 v30, a22
	v_accvgpr_read_b32 v29, a34
	;; [unrolled: 1-line block ×3, first 2 shown]
.LBB2_4713:                             ;   Parent Loop BB2_47 Depth=1
                                        ;     Parent Loop BB2_4619 Depth=2
                                        ;       Parent Loop BB2_4622 Depth=3
                                        ; =>      This Inner Loop Header: Depth=4
	v_add_co_u32_e32 v20, vcc, 0xfffffe40, v10
	v_addc_co_u32_e32 v21, vcc, -1, v11, vcc
	v_add_co_u32_e32 v22, vcc, 0xfffffe80, v10
	v_addc_co_u32_e32 v23, vcc, -1, v11, vcc
	flat_load_ubyte v24, v[20:21] glc slc
	v_add_co_u32_e32 v20, vcc, 0xfffffec0, v10
	v_addc_co_u32_e32 v21, vcc, -1, v11, vcc
	flat_load_ubyte v25, v[22:23] glc slc
	v_add_co_u32_e32 v22, vcc, s85, v10
	flat_load_ubyte v19, v[10:11] glc slc
	v_addc_co_u32_e32 v23, vcc, -1, v11, vcc
	flat_load_ubyte v26, v[20:21] glc slc
	v_add_co_u32_e32 v20, vcc, 0xffffff40, v10
	v_addc_co_u32_e32 v21, vcc, -1, v11, vcc
	flat_load_ubyte v27, v[22:23] glc slc
	v_add_co_u32_e32 v22, vcc, 0xffffff80, v10
	;; [unrolled: 3-line block ×3, first 2 shown]
	flat_load_ubyte v22, v[22:23] glc slc
	v_addc_co_u32_e32 v21, vcc, -1, v11, vcc
	flat_load_ubyte v20, v[20:21] glc slc
	v_sub_u32_e32 v14, v14, v30
	v_cmp_gt_i32_e32 vcc, 1, v14
	s_or_b64 s[28:29], vcc, s[28:29]
	v_add_co_u32_e32 v10, vcc, v10, v29
	v_addc_co_u32_e32 v11, vcc, v11, v31, vcc
	s_waitcnt vmcnt(0) lgkmcnt(0)
	flat_store_byte v[2:3], v19 offset:448 glc slc
	flat_store_byte v[2:3], v24 glc slc
	flat_store_byte v[2:3], v25 offset:64 glc slc
	flat_store_byte v[2:3], v26 offset:128 glc slc
	;; [unrolled: 1-line block ×6, first 2 shown]
	flat_store_byte v[8:9], v24 glc slc
	flat_store_byte v[8:9], v25 offset:64 glc slc
	flat_store_byte v[8:9], v26 offset:128 glc slc
	;; [unrolled: 1-line block ×7, first 2 shown]
	v_add_co_u32_e32 v2, vcc, v2, v29
	v_addc_co_u32_e32 v3, vcc, v3, v31, vcc
	v_add_co_u32_e32 v8, vcc, v8, v29
	v_addc_co_u32_e32 v9, vcc, v9, v31, vcc
	s_andn2_b64 exec, exec, s[28:29]
	s_cbranch_execnz .LBB2_4713
; %bb.4714:                             ;   in Loop: Header=BB2_4622 Depth=3
	s_or_b64 exec, exec, s[28:29]
.LBB2_4715:                             ;   in Loop: Header=BB2_4622 Depth=3
	s_or_b64 exec, exec, s[26:27]
	v_lshlrev_b32_e32 v2, 9, v18
	v_cmp_ne_u32_e32 vcc, v12, v2
	s_and_saveexec_b64 s[34:35], vcc
	s_cbranch_execz .LBB2_4721
; %bb.4716:                             ;   in Loop: Header=BB2_4622 Depth=3
	v_add_u32_e32 v3, v13, v15
	v_and_b32_e32 v3, 0xffffffc0, v3
	v_sub_u32_e32 v3, v13, v3
	v_lshlrev_b32_e32 v8, 6, v14
	v_sub_u32_e32 v3, v3, v8
	v_add_u32_e32 v2, v2, v3
	v_sub_u32_e32 v12, v12, v2
	v_cmp_lt_i32_e32 vcc, 0, v12
	s_and_b64 exec, exec, vcc
	s_cbranch_execz .LBB2_4721
; %bb.4717:                             ;   in Loop: Header=BB2_4622 Depth=3
	s_trap 2
	ds_read_b64 v[8:9], v0
	ds_read_b128 v[18:21], v0
	v_add_u32_e32 v5, v2, v5
	v_ashrrev_i32_e32 v13, 31, v5
	s_mov_b64 s[64:65], 0
	s_waitcnt lgkmcnt(0)
	v_add_co_u32_e32 v10, vcc, v8, v5
	v_addc_co_u32_e32 v11, vcc, v9, v13, vcc
	v_add_co_u32_e32 v2, vcc, v18, v5
	v_addc_co_u32_e32 v3, vcc, v19, v13, vcc
	;; [unrolled: 2-line block ×3, first 2 shown]
.LBB2_4718:                             ;   Parent Loop BB2_47 Depth=1
                                        ;     Parent Loop BB2_4619 Depth=2
                                        ;       Parent Loop BB2_4622 Depth=3
                                        ; =>      This Loop Header: Depth=4
                                        ;           Child Loop BB2_4719 Depth 5
	flat_load_ubyte v5, v[10:11] glc slc
	s_mov_b64 s[66:67], -1
	s_mov_b64 s[68:69], 0
	s_waitcnt vmcnt(0)
.LBB2_4719:                             ;   Parent Loop BB2_47 Depth=1
                                        ;     Parent Loop BB2_4619 Depth=2
                                        ;       Parent Loop BB2_4622 Depth=3
                                        ;         Parent Loop BB2_4718 Depth=4
                                        ; =>        This Inner Loop Header: Depth=5
	s_cmp_eq_u32 s68, 1
	s_cselect_b64 vcc, -1, 0
	v_cndmask_b32_e32 v14, v2, v8, vcc
	v_cndmask_b32_e32 v15, v3, v9, vcc
	v_add_co_u32_e64 v13, s[26:27], 64, v14
	s_cmp_eq_u32 s68, 0
	s_waitcnt lgkmcnt(0)
	flat_store_byte v[14:15], v5 glc slc
	v_addc_co_u32_e64 v14, s[26:27], 0, v15, s[26:27]
	s_cselect_b64 s[26:27], -1, 0
	s_and_b64 s[28:29], exec, s[66:67]
	s_mov_b64 s[68:69], 1
	s_mov_b64 s[66:67], 0
	v_cndmask_b32_e32 v9, v9, v14, vcc
	v_cndmask_b32_e32 v8, v8, v13, vcc
	v_cndmask_b32_e64 v3, v3, v14, s[26:27]
	v_cndmask_b32_e64 v2, v2, v13, s[26:27]
	s_mov_b64 vcc, s[28:29]
	s_cbranch_vccnz .LBB2_4719
; %bb.4720:                             ;   in Loop: Header=BB2_4718 Depth=4
	v_accvgpr_read_b32 v14, a30
	v_add_co_u32_e32 v2, vcc, v2, v14
	v_accvgpr_read_b32 v5, a29
	v_addc_co_u32_e32 v3, vcc, v3, v5, vcc
	v_add_co_u32_e32 v8, vcc, v8, v14
	v_addc_co_u32_e32 v9, vcc, v9, v5, vcc
	v_accvgpr_read_b32 v5, a23
	v_sub_u32_e32 v12, v12, v5
	v_cmp_gt_i32_e32 vcc, 1, v12
	v_accvgpr_read_b32 v5, a36
	s_or_b64 s[64:65], vcc, s[64:65]
	v_add_co_u32_e32 v10, vcc, v5, v10
	v_accvgpr_read_b32 v5, a37
	v_addc_co_u32_e32 v11, vcc, v5, v11, vcc
	s_andn2_b64 exec, exec, s[64:65]
	s_cbranch_execnz .LBB2_4718
.LBB2_4721:                             ;   in Loop: Header=BB2_4622 Depth=3
	s_or_b64 exec, exec, s[34:35]
.LBB2_4722:                             ;   in Loop: Header=BB2_4622 Depth=3
	s_or_b64 exec, exec, s[30:31]
	s_mov_b64 s[26:27], 0
.LBB2_4723:                             ;   in Loop: Header=BB2_4622 Depth=3
	s_and_b64 vcc, exec, s[26:27]
	s_cbranch_vccz .LBB2_4753
; %bb.4724:                             ;   in Loop: Header=BB2_4622 Depth=3
	s_mov_b64 s[26:27], -1
	s_and_saveexec_b64 s[28:29], s[20:21]
	s_cbranch_execz .LBB2_4726
; %bb.4725:                             ;   in Loop: Header=BB2_4622 Depth=3
	ds_read_b32 v2, v0 offset:720
	s_waitcnt lgkmcnt(0)
	v_and_b32_e32 v2, 15, v2
	v_cmp_eq_u32_e32 vcc, 0, v2
	s_orn2_b64 s[26:27], vcc, exec
.LBB2_4726:                             ;   in Loop: Header=BB2_4622 Depth=3
	s_or_b64 exec, exec, s[28:29]
	s_and_saveexec_b64 s[28:29], s[18:19]
	s_cbranch_execz .LBB2_4728
; %bb.4727:                             ;   in Loop: Header=BB2_4622 Depth=3
	ds_read_b32 v2, v0 offset:784
	s_waitcnt lgkmcnt(0)
	v_and_b32_e32 v2, 15, v2
	v_cmp_eq_u32_e32 vcc, 0, v2
	s_and_b64 vcc, s[26:27], vcc
	s_andn2_b64 s[26:27], s[26:27], exec
	s_and_b64 vcc, vcc, exec
	s_or_b64 s[26:27], s[26:27], vcc
.LBB2_4728:                             ;   in Loop: Header=BB2_4622 Depth=3
	s_or_b64 exec, exec, s[28:29]
	s_xor_b64 s[26:27], s[26:27], -1
	v_cndmask_b32_e64 v2, 0, 1, s[26:27]
	s_mov_b64 s[30:31], -1
	;;#ASMSTART
	;;#ASMEND
	v_cmp_ne_u32_e32 vcc, 0, v2
	v_mov_b32_e32 v9, 0
	v_mov_b32_e32 v12, v1
	v_accvgpr_read_b32 v13, a3
	v_accvgpr_read_b32 v5, a31
	s_cbranch_vccz .LBB2_4730
; %bb.4729:                             ;   in Loop: Header=BB2_4622 Depth=3
	s_and_saveexec_b64 s[26:27], s[30:31]
	s_cbranch_execnz .LBB2_4743
	s_branch .LBB2_4752
.LBB2_4730:                             ;   in Loop: Header=BB2_4622 Depth=3
	v_accvgpr_read_b32 v2, a24
	v_sub_u32_e32 v5, v1, v2
	v_ashrrev_i32_e32 v2, 31, v1
	v_lshrrev_b32_e32 v2, 22, v2
	v_add_u32_e32 v2, v1, v2
	v_and_b32_e32 v10, 0xfffffc00, v2
	v_accvgpr_read_b32 v3, a25
	v_sub_u32_e32 v15, v1, v10
	v_ashrrev_i32_e32 v3, 10, v2
	v_cmp_lt_i32_e32 vcc, 15, v15
	v_accvgpr_read_b32 v2, a41
	v_addc_co_u32_e64 v14, s[26:27], v3, v2, vcc
	v_cmp_lt_i32_e64 s[26:27], 15, v5
	s_and_saveexec_b64 s[28:29], s[26:27]
	s_cbranch_execz .LBB2_4734
; %bb.4731:                             ;   in Loop: Header=BB2_4622 Depth=3
	s_trap 2
	ds_read_b64 v[2:3], v0
	v_accvgpr_read_b32 v8, a24
	s_mov_b64 s[30:31], 0
	v_accvgpr_read_b32 v9, a25
	v_accvgpr_read_b32 v22, a22
	;; [unrolled: 1-line block ×5, first 2 shown]
.LBB2_4732:                             ;   Parent Loop BB2_47 Depth=1
                                        ;     Parent Loop BB2_4619 Depth=2
                                        ;       Parent Loop BB2_4622 Depth=3
                                        ; =>      This Inner Loop Header: Depth=4
	s_waitcnt lgkmcnt(0)
	v_add_co_u32_e64 v12, s[26:27], v2, v8
	v_addc_co_u32_e64 v13, s[26:27], v3, v9, s[26:27]
	global_load_dwordx4 v[18:21], v[12:13], off glc slc
	v_add_co_u32_e64 v8, s[26:27], v8, v23
	v_sub_u32_e32 v5, v5, v11
	v_addc_co_u32_e64 v9, s[26:27], v9, v24, s[26:27]
	v_cmp_gt_i32_e64 s[26:27], 16, v5
	v_sub_u32_e32 v14, v14, v22
	s_or_b64 s[30:31], s[26:27], s[30:31]
	s_waitcnt vmcnt(0)
	global_store_dwordx4 v[12:13], v[18:21], off glc slc
	s_andn2_b64 exec, exec, s[30:31]
	s_cbranch_execnz .LBB2_4732
; %bb.4733:                             ;   in Loop: Header=BB2_4622 Depth=3
	s_or_b64 exec, exec, s[30:31]
.LBB2_4734:                             ;   in Loop: Header=BB2_4622 Depth=3
	s_or_b64 exec, exec, s[28:29]
	v_and_b32_e32 v2, 15, v1
	v_cndmask_b32_e32 v11, v15, v2, vcc
	v_cmp_ne_u32_e64 s[26:27], 0, v11
	s_mov_b64 s[30:31], 0
	v_mov_b32_e32 v9, 0
                                        ; implicit-def: $vgpr12
                                        ; implicit-def: $vgpr13
                                        ; implicit-def: $vgpr5
	s_and_saveexec_b64 s[28:29], s[26:27]
	s_cbranch_execz .LBB2_4742
; %bb.4735:                             ;   in Loop: Header=BB2_4622 Depth=3
	v_sub_u32_e32 v2, v15, v2
	v_cndmask_b32_e32 v2, 0, v2, vcc
	v_add_u32_e32 v10, v2, v10
	v_cmp_lt_i32_e32 vcc, 0, v14
	v_accvgpr_read_b32 v2, a22
	v_cndmask_b32_e32 v2, 0, v2, vcc
	v_sub_u32_e32 v2, v2, v14
	v_accvgpr_read_b32 v3, a40
	v_lshl_add_u32 v2, v2, 6, v3
	v_ashrrev_i32_e32 v3, 31, v2
	v_lshrrev_b32_e32 v3, 26, v3
	v_add_u32_e32 v3, v2, v3
	v_ashrrev_i32_e32 v8, 6, v3
	v_and_b32_e32 v3, 0xffffffc0, v3
	v_sub_u32_e32 v14, v2, v3
	v_lshlrev_b32_e32 v2, 4, v14
	v_lshl_add_u32 v5, v8, 10, v2
	v_ashrrev_i32_e32 v2, 31, v11
	v_lshrrev_b32_e32 v2, 22, v2
	v_add_u32_e32 v2, v11, v2
	v_and_b32_e32 v15, 0xfffffc00, v2
	v_sub_u32_e32 v19, v11, v15
	v_ashrrev_i32_e32 v3, 10, v2
	v_cmp_lt_i32_e32 vcc, 15, v19
	v_sub_u32_e32 v9, v11, v5
	v_addc_co_u32_e64 v2, s[26:27], 0, v3, vcc
	v_sub_u32_e32 v18, v2, v8
	v_cmp_lt_i32_e64 s[26:27], 15, v9
	s_and_saveexec_b64 s[30:31], s[26:27]
	s_cbranch_execz .LBB2_4739
; %bb.4736:                             ;   in Loop: Header=BB2_4622 Depth=3
	s_trap 2
	ds_read_b64 v[2:3], v0
	v_add_u32_e32 v8, v5, v10
	v_ashrrev_i32_e32 v5, 31, v8
	s_mov_b64 s[34:35], 0
	v_accvgpr_read_b32 v24, a22
	v_accvgpr_read_b32 v25, a28
	;; [unrolled: 1-line block ×4, first 2 shown]
.LBB2_4737:                             ;   Parent Loop BB2_47 Depth=1
                                        ;     Parent Loop BB2_4619 Depth=2
                                        ;       Parent Loop BB2_4622 Depth=3
                                        ; =>      This Inner Loop Header: Depth=4
	s_waitcnt lgkmcnt(0)
	v_add_co_u32_e64 v12, s[26:27], v2, v8
	v_addc_co_u32_e64 v13, s[26:27], v3, v5, s[26:27]
	global_load_dwordx4 v[20:23], v[12:13], off glc slc
	v_add_co_u32_e64 v8, s[26:27], v8, v26
	v_sub_u32_e32 v9, v9, v25
	v_addc_co_u32_e64 v5, s[26:27], v5, v27, s[26:27]
	v_cmp_gt_i32_e64 s[26:27], 16, v9
	v_sub_u32_e32 v18, v18, v24
	s_or_b64 s[34:35], s[26:27], s[34:35]
	s_waitcnt vmcnt(0)
	global_store_dwordx4 v[12:13], v[20:23], off glc slc
	s_andn2_b64 exec, exec, s[34:35]
	s_cbranch_execnz .LBB2_4737
; %bb.4738:                             ;   in Loop: Header=BB2_4622 Depth=3
	s_or_b64 exec, exec, s[34:35]
.LBB2_4739:                             ;   in Loop: Header=BB2_4622 Depth=3
	s_or_b64 exec, exec, s[30:31]
	v_and_b32_e32 v2, 15, v11
	v_cndmask_b32_e32 v12, v19, v2, vcc
	v_cmp_ne_u32_e64 s[26:27], 0, v12
	s_mov_b64 s[30:31], 0
	v_mov_b32_e32 v9, 0
                                        ; implicit-def: $vgpr13
                                        ; implicit-def: $vgpr5
	s_and_saveexec_b64 s[34:35], s[26:27]
	s_cbranch_execz .LBB2_4741
; %bb.4740:                             ;   in Loop: Header=BB2_4622 Depth=3
	v_sub_u32_e32 v2, v19, v2
	v_cndmask_b32_e32 v2, 0, v2, vcc
	v_add3_u32 v9, v15, v10, v2
	v_cmp_lt_i32_e32 vcc, 0, v18
	v_accvgpr_read_b32 v2, a22
	v_cndmask_b32_e32 v2, 0, v2, vcc
	v_sub_u32_e32 v2, v2, v18
	v_lshl_add_u32 v13, v2, 6, v14
	v_ashrrev_i32_e32 v2, 31, v13
	v_lshrrev_b32_e32 v2, 26, v2
	v_add_u32_e32 v2, v13, v2
	s_mov_b64 s[30:31], exec
	v_ashrrev_i32_e32 v5, 6, v2
.LBB2_4741:                             ;   in Loop: Header=BB2_4622 Depth=3
	s_or_b64 exec, exec, s[34:35]
	s_and_b64 s[30:31], s[30:31], exec
.LBB2_4742:                             ;   in Loop: Header=BB2_4622 Depth=3
	s_or_b64 exec, exec, s[28:29]
	s_and_saveexec_b64 s[26:27], s[30:31]
	s_cbranch_execz .LBB2_4752
.LBB2_4743:                             ;   in Loop: Header=BB2_4622 Depth=3
	v_ashrrev_i32_e32 v2, 31, v12
	v_lshrrev_b32_e32 v2, 23, v2
	v_add_u32_e32 v2, v12, v2
	v_ashrrev_i32_e32 v18, 9, v2
	v_sub_u32_e32 v14, v18, v5
	v_ashrrev_i32_e32 v2, 31, v13
	v_cmp_lt_i32_e32 vcc, 0, v14
	v_lshrrev_b32_e32 v15, 26, v2
	s_and_saveexec_b64 s[28:29], vcc
	s_cbranch_execz .LBB2_4747
; %bb.4744:                             ;   in Loop: Header=BB2_4622 Depth=3
	s_trap 2
	ds_read_b64 v[2:3], v0
	v_add_u32_e32 v8, v13, v15
	v_and_b32_e32 v8, 0xffffffc0, v8
	v_sub_u32_e32 v8, v13, v8
	v_lshlrev_b32_e32 v5, 9, v5
	v_add3_u32 v8, v9, v8, v5
	v_ashrrev_i32_e32 v5, 31, v8
	s_mov_b64 s[30:31], 0
	s_waitcnt lgkmcnt(0)
	v_pk_mov_b32 v[10:11], v[2:3], v[2:3] op_sel:[0,1]
	v_accvgpr_read_b32 v30, a22
	v_accvgpr_read_b32 v29, a34
	;; [unrolled: 1-line block ×3, first 2 shown]
.LBB2_4745:                             ;   Parent Loop BB2_47 Depth=1
                                        ;     Parent Loop BB2_4619 Depth=2
                                        ;       Parent Loop BB2_4622 Depth=3
                                        ; =>      This Inner Loop Header: Depth=4
	v_add_co_u32_e32 v20, vcc, v8, v10
	v_addc_co_u32_e32 v21, vcc, v5, v11, vcc
	flat_load_ubyte v19, v[20:21] glc slc
	flat_load_ubyte v22, v[20:21] offset:64 glc slc
	flat_load_ubyte v23, v[20:21] offset:128 glc slc
	;; [unrolled: 1-line block ×7, first 2 shown]
	v_add_co_u32_e32 v20, vcc, v8, v2
	v_addc_co_u32_e32 v21, vcc, v5, v3, vcc
	v_add_co_u32_e32 v10, vcc, v10, v29
	v_addc_co_u32_e32 v11, vcc, v11, v31, vcc
	v_add_co_u32_e32 v2, vcc, v2, v29
	v_sub_u32_e32 v14, v14, v30
	v_addc_co_u32_e32 v3, vcc, v3, v31, vcc
	v_cmp_gt_i32_e32 vcc, 1, v14
	s_or_b64 s[30:31], vcc, s[30:31]
	s_waitcnt vmcnt(0) lgkmcnt(0)
	flat_store_byte v[20:21], v19 glc slc
	flat_store_byte v[20:21], v22 offset:64 glc slc
	flat_store_byte v[20:21], v23 offset:128 glc slc
	;; [unrolled: 1-line block ×7, first 2 shown]
	s_andn2_b64 exec, exec, s[30:31]
	s_cbranch_execnz .LBB2_4745
; %bb.4746:                             ;   in Loop: Header=BB2_4622 Depth=3
	s_or_b64 exec, exec, s[30:31]
.LBB2_4747:                             ;   in Loop: Header=BB2_4622 Depth=3
	s_or_b64 exec, exec, s[28:29]
	v_lshlrev_b32_e32 v2, 9, v18
	v_cmp_ne_u32_e32 vcc, v12, v2
	s_mov_b64 s[28:29], exec
	s_and_b64 vcc, s[28:29], vcc
	v_accvgpr_read_b32 v11, a23
	v_accvgpr_read_b32 v18, a36
	v_accvgpr_read_b32 v19, a37
	s_mov_b64 exec, vcc
	s_cbranch_execz .LBB2_4751
; %bb.4748:                             ;   in Loop: Header=BB2_4622 Depth=3
	v_add_u32_e32 v3, v13, v15
	v_and_b32_e32 v3, 0xffffffc0, v3
	v_sub_u32_e32 v3, v13, v3
	v_lshlrev_b32_e32 v5, 6, v14
	v_sub_u32_e32 v3, v3, v5
	v_add_u32_e32 v5, v2, v3
	v_sub_u32_e32 v10, v12, v5
	v_cmp_lt_i32_e32 vcc, 0, v10
	s_and_b64 exec, exec, vcc
	s_cbranch_execz .LBB2_4751
; %bb.4749:                             ;   in Loop: Header=BB2_4622 Depth=3
	s_trap 2
	ds_read_b64 v[2:3], v0
	v_add_u32_e32 v8, v5, v9
	v_ashrrev_i32_e32 v5, 31, v8
	s_mov_b64 s[30:31], 0
.LBB2_4750:                             ;   Parent Loop BB2_47 Depth=1
                                        ;     Parent Loop BB2_4619 Depth=2
                                        ;       Parent Loop BB2_4622 Depth=3
                                        ; =>      This Inner Loop Header: Depth=4
	s_waitcnt lgkmcnt(0)
	v_add_co_u32_e32 v12, vcc, v2, v8
	v_addc_co_u32_e32 v13, vcc, v3, v5, vcc
	flat_load_ubyte v9, v[12:13] glc slc
	v_add_co_u32_e32 v8, vcc, v8, v18
	v_sub_u32_e32 v10, v10, v11
	v_addc_co_u32_e32 v5, vcc, v5, v19, vcc
	v_cmp_gt_i32_e32 vcc, 1, v10
	s_or_b64 s[30:31], vcc, s[30:31]
	s_waitcnt vmcnt(0) lgkmcnt(0)
	flat_store_byte v[12:13], v9 glc slc
	s_andn2_b64 exec, exec, s[30:31]
	s_cbranch_execnz .LBB2_4750
.LBB2_4751:                             ;   in Loop: Header=BB2_4622 Depth=3
	s_or_b64 exec, exec, s[28:29]
.LBB2_4752:                             ;   in Loop: Header=BB2_4622 Depth=3
	s_or_b64 exec, exec, s[26:27]
.LBB2_4753:                             ;   in Loop: Header=BB2_4622 Depth=3
	s_and_saveexec_b64 s[26:27], s[10:11]
	s_cbranch_execz .LBB2_4772
; %bb.4754:                             ;   in Loop: Header=BB2_4622 Depth=3
	s_and_saveexec_b64 s[28:29], s[46:47]
	s_xor_b64 s[28:29], exec, s[28:29]
	s_cbranch_execz .LBB2_4769
; %bb.4755:                             ;   in Loop: Header=BB2_4622 Depth=3
	s_and_saveexec_b64 s[30:31], s[16:17]
	s_cbranch_execz .LBB2_4768
; %bb.4756:                             ;   in Loop: Header=BB2_4622 Depth=3
	s_mov_b64 s[64:65], exec
	v_mbcnt_lo_u32_b32 v2, s64, 0
	v_mbcnt_hi_u32_b32 v2, s65, v2
	v_cmp_eq_u32_e32 vcc, 0, v2
	s_waitcnt vmcnt(0) lgkmcnt(0)
	buffer_wbinvl1_vol
	s_and_saveexec_b64 s[34:35], vcc
	s_cbranch_execz .LBB2_4758
; %bb.4757:                             ;   in Loop: Header=BB2_4622 Depth=3
	s_bcnt1_i32_b64 vcc_lo, s[64:65]
	v_mov_b32_e32 v60, vcc_lo
	ds_add_u64 v0, v[60:61]
	s_trap 2
.LBB2_4758:                             ;   in Loop: Header=BB2_4622 Depth=3
	s_or_b64 exec, exec, s[34:35]
	s_trap 2
	ds_read_b64 v[2:3], v0
	v_accvgpr_read_b32 v8, a14
	v_accvgpr_read_b32 v10, a22
	;; [unrolled: 1-line block ×3, first 2 shown]
	v_add_co_u32_e32 v8, vcc, v8, v10
	v_addc_co_u32_e32 v9, vcc, 0, v9, vcc
	v_accvgpr_write_b32 a15, v9
	v_accvgpr_write_b32 a14, v8
	s_waitcnt lgkmcnt(0)
	v_cmp_lt_u64_e32 vcc, v[2:3], v[8:9]
	s_and_saveexec_b64 s[34:35], vcc
	s_cbranch_execz .LBB2_4767
; %bb.4759:                             ;   in Loop: Header=BB2_4622 Depth=3
	s_mov_b32 s95, 0
	s_mov_b64 s[64:65], 0
                                        ; implicit-def: $sgpr66_sgpr67
                                        ; implicit-def: $sgpr68_sgpr69
	s_branch .LBB2_4761
.LBB2_4760:                             ;   in Loop: Header=BB2_4761 Depth=4
	s_or_b64 exec, exec, s[72:73]
	s_and_b64 vcc, exec, vcc
	s_or_b64 s[64:65], vcc, s[64:65]
	s_andn2_b64 vcc, s[66:67], exec
	s_and_b64 s[66:67], s[68:69], exec
	s_or_b64 s[66:67], vcc, s[66:67]
	s_andn2_b64 exec, exec, s[64:65]
	s_cbranch_execz .LBB2_4765
.LBB2_4761:                             ;   Parent Loop BB2_47 Depth=1
                                        ;     Parent Loop BB2_4619 Depth=2
                                        ;       Parent Loop BB2_4622 Depth=3
                                        ; =>      This Inner Loop Header: Depth=4
	s_add_i32 s95, s95, 1
	s_cmpk_lg_i32 s95, 0x2710
	s_cselect_b64 s[70:71], -1, 0
	s_and_b64 vcc, exec, s[70:71]
                                        ; implicit-def: $sgpr72_sgpr73
	s_cbranch_vccnz .LBB2_4763
; %bb.4762:                             ;   in Loop: Header=BB2_4761 Depth=4
	s_trap 2
	ds_read_b64 v[2:3], v0
	s_andn2_b64 s[70:71], s[70:71], exec
	s_mov_b32 s95, 0
	s_mov_b64 s[72:73], -1
	s_waitcnt lgkmcnt(0)
	flat_load_dword v2, v[2:3] glc
	s_waitcnt vmcnt(0) lgkmcnt(0)
	buffer_invl2
	buffer_wbinvl1_vol
	v_cmp_eq_u32_e32 vcc, 0, v2
	s_and_b64 vcc, vcc, exec
	s_or_b64 s[70:71], s[70:71], vcc
.LBB2_4763:                             ;   in Loop: Header=BB2_4761 Depth=4
	s_andn2_b64 s[68:69], s[68:69], exec
	s_and_b64 s[72:73], s[72:73], exec
	s_mov_b64 vcc, -1
	s_or_b64 s[68:69], s[68:69], s[72:73]
	s_and_saveexec_b64 s[72:73], s[70:71]
	s_cbranch_execz .LBB2_4760
; %bb.4764:                             ;   in Loop: Header=BB2_4761 Depth=4
	s_sleep 1
	s_trap 2
	ds_read_b64 v[2:3], v0
	v_accvgpr_read_b32 v8, a14
	v_accvgpr_read_b32 v9, a15
	s_andn2_b64 s[68:69], s[68:69], exec
	s_waitcnt lgkmcnt(0)
	v_cmp_ge_u64_e32 vcc, v[2:3], v[8:9]
	s_orn2_b64 vcc, vcc, exec
	s_branch .LBB2_4760
.LBB2_4765:                             ;   in Loop: Header=BB2_4622 Depth=3
	s_or_b64 exec, exec, s[64:65]
	s_and_saveexec_b64 vcc, s[66:67]
	s_xor_b64 vcc, exec, vcc
	s_cbranch_execz .LBB2_4767
; %bb.4766:                             ;   in Loop: Header=BB2_4622 Depth=3
	v_mov_b32_e32 v2, 1
	ds_write_b32 v0, v2
	s_trap 2
.LBB2_4767:                             ;   in Loop: Header=BB2_4622 Depth=3
	s_or_b64 exec, exec, s[34:35]
	;;#ASMSTART
	s_wakeup
	;;#ASMEND
.LBB2_4768:                             ;   in Loop: Header=BB2_4622 Depth=3
	s_or_b64 exec, exec, s[30:31]
.LBB2_4769:                             ;   in Loop: Header=BB2_4622 Depth=3
	s_andn2_saveexec_b64 s[28:29], s[28:29]
	s_cbranch_execz .LBB2_4771
; %bb.4770:                             ;   in Loop: Header=BB2_4622 Depth=3
	s_waitcnt vmcnt(0) lgkmcnt(0)
	buffer_wbinvl1_vol
	s_barrier
.LBB2_4771:                             ;   in Loop: Header=BB2_4622 Depth=3
	s_or_b64 exec, exec, s[28:29]
.LBB2_4772:                             ;   in Loop: Header=BB2_4622 Depth=3
	s_or_b64 exec, exec, s[26:27]
                                        ; implicit-def: $vgpr2
	s_and_saveexec_b64 s[26:27], s[24:25]
	s_xor_b64 s[28:29], exec, s[26:27]
	s_cbranch_execz .LBB2_4776
; %bb.4773:                             ;   in Loop: Header=BB2_4622 Depth=3
	v_cmp_lt_i32_e32 vcc, 0, v1
	v_and_b32_e32 v1, 16, v57
	v_cmp_ne_u32_e64 s[26:27], 0, v1
	v_and_b32_e32 v2, 16, v57
	s_and_b64 vcc, s[26:27], vcc
	s_and_saveexec_b64 s[26:27], vcc
	s_cbranch_execz .LBB2_4775
; %bb.4774:                             ;   in Loop: Header=BB2_4622 Depth=3
	v_mov_b32_e32 v2, 1
	s_waitcnt vmcnt(0) lgkmcnt(0)
	buffer_wbinvl1_vol
.LBB2_4775:                             ;   in Loop: Header=BB2_4622 Depth=3
	s_or_b64 exec, exec, s[26:27]
	s_andn2_saveexec_b64 s[26:27], s[28:29]
	s_cbranch_execz .LBB2_4795
	s_branch .LBB2_4777
.LBB2_4776:                             ;   in Loop: Header=BB2_4622 Depth=3
	s_andn2_saveexec_b64 s[26:27], s[28:29]
	s_cbranch_execz .LBB2_4795
.LBB2_4777:                             ;   in Loop: Header=BB2_4622 Depth=3
	s_and_saveexec_b64 s[28:29], s[46:47]
	s_xor_b64 s[28:29], exec, s[28:29]
	s_cbranch_execz .LBB2_4792
; %bb.4778:                             ;   in Loop: Header=BB2_4622 Depth=3
	s_and_saveexec_b64 s[30:31], s[16:17]
	s_cbranch_execz .LBB2_4791
; %bb.4779:                             ;   in Loop: Header=BB2_4622 Depth=3
	s_mov_b64 s[64:65], exec
	v_mbcnt_lo_u32_b32 v1, s64, 0
	v_mbcnt_hi_u32_b32 v1, s65, v1
	v_cmp_eq_u32_e32 vcc, 0, v1
	;;#ASMSTART
	s_waitcnt lgkmcnt(0) vmcnt(0)
	;;#ASMEND
	s_and_saveexec_b64 s[34:35], vcc
	s_cbranch_execz .LBB2_4781
; %bb.4780:                             ;   in Loop: Header=BB2_4622 Depth=3
	s_bcnt1_i32_b64 vcc_lo, s[64:65]
	v_mov_b32_e32 v60, vcc_lo
	ds_add_u64 v0, v[60:61]
	s_trap 2
.LBB2_4781:                             ;   in Loop: Header=BB2_4622 Depth=3
	s_or_b64 exec, exec, s[34:35]
	s_trap 2
	ds_read_b64 v[2:3], v0
	v_accvgpr_read_b32 v8, a14
	v_accvgpr_read_b32 v10, a22
	;; [unrolled: 1-line block ×3, first 2 shown]
	v_add_co_u32_e32 v8, vcc, v8, v10
	v_addc_co_u32_e32 v9, vcc, 0, v9, vcc
	v_accvgpr_write_b32 a15, v9
	v_accvgpr_write_b32 a14, v8
	s_waitcnt lgkmcnt(0)
	v_cmp_lt_u64_e32 vcc, v[2:3], v[8:9]
	s_and_saveexec_b64 s[34:35], vcc
	s_cbranch_execz .LBB2_4790
; %bb.4782:                             ;   in Loop: Header=BB2_4622 Depth=3
	s_mov_b32 s95, 0
	s_mov_b64 s[64:65], 0
                                        ; implicit-def: $sgpr66_sgpr67
                                        ; implicit-def: $sgpr68_sgpr69
	s_branch .LBB2_4784
.LBB2_4783:                             ;   in Loop: Header=BB2_4784 Depth=4
	s_or_b64 exec, exec, s[72:73]
	s_and_b64 vcc, exec, vcc
	s_or_b64 s[64:65], vcc, s[64:65]
	s_andn2_b64 vcc, s[66:67], exec
	s_and_b64 s[66:67], s[68:69], exec
	s_or_b64 s[66:67], vcc, s[66:67]
	s_andn2_b64 exec, exec, s[64:65]
	s_cbranch_execz .LBB2_4788
.LBB2_4784:                             ;   Parent Loop BB2_47 Depth=1
                                        ;     Parent Loop BB2_4619 Depth=2
                                        ;       Parent Loop BB2_4622 Depth=3
                                        ; =>      This Inner Loop Header: Depth=4
	s_add_i32 s95, s95, 1
	s_cmpk_lg_i32 s95, 0x2710
	s_cselect_b64 s[70:71], -1, 0
	s_and_b64 vcc, exec, s[70:71]
                                        ; implicit-def: $sgpr72_sgpr73
	s_cbranch_vccnz .LBB2_4786
; %bb.4785:                             ;   in Loop: Header=BB2_4784 Depth=4
	s_trap 2
	ds_read_b64 v[2:3], v0
	s_andn2_b64 s[70:71], s[70:71], exec
	s_mov_b32 s95, 0
	s_mov_b64 s[72:73], -1
	s_waitcnt vmcnt(0) lgkmcnt(0)
	flat_load_dword v1, v[2:3] glc
	s_waitcnt vmcnt(0) lgkmcnt(0)
	buffer_invl2
	buffer_wbinvl1_vol
	v_cmp_eq_u32_e32 vcc, 0, v1
	s_and_b64 vcc, vcc, exec
	s_or_b64 s[70:71], s[70:71], vcc
.LBB2_4786:                             ;   in Loop: Header=BB2_4784 Depth=4
	s_andn2_b64 s[68:69], s[68:69], exec
	s_and_b64 s[72:73], s[72:73], exec
	s_mov_b64 vcc, -1
	s_or_b64 s[68:69], s[68:69], s[72:73]
	s_and_saveexec_b64 s[72:73], s[70:71]
	s_cbranch_execz .LBB2_4783
; %bb.4787:                             ;   in Loop: Header=BB2_4784 Depth=4
	s_sleep 1
	s_trap 2
	ds_read_b64 v[2:3], v0
	v_accvgpr_read_b32 v8, a14
	v_accvgpr_read_b32 v9, a15
	s_andn2_b64 s[68:69], s[68:69], exec
	s_waitcnt lgkmcnt(0)
	v_cmp_ge_u64_e32 vcc, v[2:3], v[8:9]
	s_orn2_b64 vcc, vcc, exec
	s_branch .LBB2_4783
.LBB2_4788:                             ;   in Loop: Header=BB2_4622 Depth=3
	s_or_b64 exec, exec, s[64:65]
	s_and_saveexec_b64 vcc, s[66:67]
	s_xor_b64 vcc, exec, vcc
	s_cbranch_execz .LBB2_4790
; %bb.4789:                             ;   in Loop: Header=BB2_4622 Depth=3
	v_mov_b32_e32 v1, 1
	ds_write_b32 v0, v1
	s_trap 2
.LBB2_4790:                             ;   in Loop: Header=BB2_4622 Depth=3
	s_or_b64 exec, exec, s[34:35]
	;;#ASMSTART
	s_wakeup
	;;#ASMEND
.LBB2_4791:                             ;   in Loop: Header=BB2_4622 Depth=3
	s_or_b64 exec, exec, s[30:31]
.LBB2_4792:                             ;   in Loop: Header=BB2_4622 Depth=3
	s_andn2_saveexec_b64 s[28:29], s[28:29]
	s_cbranch_execz .LBB2_4794
; %bb.4793:                             ;   in Loop: Header=BB2_4622 Depth=3
	;;#ASMSTART
	s_waitcnt lgkmcnt(0) vmcnt(0)
	;;#ASMEND
	s_barrier
.LBB2_4794:                             ;   in Loop: Header=BB2_4622 Depth=3
	s_or_b64 exec, exec, s[28:29]
	v_and_b32_e32 v2, 16, v57
.LBB2_4795:                             ;   in Loop: Header=BB2_4622 Depth=3
	s_or_b64 exec, exec, s[26:27]
	v_cmp_ne_u32_e32 vcc, 0, v2
	s_xor_b64 s[26:27], s[12:13], -1
	s_and_b64 s[28:29], vcc, s[26:27]
	s_and_saveexec_b64 s[26:27], s[28:29]
	s_cbranch_execz .LBB2_4797
; %bb.4796:                             ;   in Loop: Header=BB2_4622 Depth=3
	v_accvgpr_read_b32 v2, a20
	v_accvgpr_read_b32 v3, a21
	v_mov_b32_e32 v1, 1
	flat_store_dword v[2:3], v1
.LBB2_4797:                             ;   in Loop: Header=BB2_4622 Depth=3
	s_or_b64 exec, exec, s[26:27]
	v_and_b32_e32 v1, 48, v57
	v_cmp_ne_u32_e32 vcc, 0, v1
	s_and_saveexec_b64 s[26:27], vcc
	s_cbranch_execz .LBB2_4621
; %bb.4798:                             ;   in Loop: Header=BB2_4622 Depth=3
	v_add_co_u32_e32 v44, vcc, 2, v44
	v_addc_co_u32_e32 v45, vcc, 0, v45, vcc
	flat_store_dwordx2 v[48:49], v[44:45]
	s_branch .LBB2_4621
.LBB2_4799:                             ;   in Loop: Header=BB2_4619 Depth=2
	s_or_b64 exec, exec, s[36:37]
	v_cmp_gt_i32_e32 vcc, 2, v1
	s_and_saveexec_b64 s[28:29], vcc
	s_cbranch_execz .LBB2_4873
.LBB2_4800:                             ;   in Loop: Header=BB2_4619 Depth=2
	v_cmp_eq_u32_e64 s[26:27], 0, v1
	s_mov_b64 s[30:31], 0
	s_branch .LBB2_4802
.LBB2_4801:                             ;   in Loop: Header=BB2_4802 Depth=3
	s_or_b64 exec, exec, s[26:27]
	v_add_u32_e32 v7, v4, v7
	s_mov_b64 s[26:27], 0
	s_andn2_b64 exec, exec, s[30:31]
	s_cbranch_execz .LBB2_4874
.LBB2_4802:                             ;   Parent Loop BB2_47 Depth=1
                                        ;     Parent Loop BB2_4619 Depth=2
                                        ; =>    This Loop Header: Depth=3
                                        ;         Child Loop BB2_4808 Depth 4
                                        ;         Child Loop BB2_4838 Depth 4
	;; [unrolled: 1-line block ×3, first 2 shown]
	v_and_b32_e32 v1, 12, v57
	s_mov_b64 s[36:37], -1
	v_cmp_ne_u32_e32 vcc, 0, v1
	s_and_saveexec_b64 s[34:35], vcc
	s_cbranch_execz .LBB2_4814
; %bb.4803:                             ;   in Loop: Header=BB2_4802 Depth=3
	v_and_b32_e32 v2, 8, v57
	v_add_co_u32_e32 v10, vcc, v50, v2
	v_addc_co_u32_e32 v11, vcc, 0, v51, vcc
	v_add_co_u32_e32 v8, vcc, 2, v44
	v_addc_co_u32_e32 v9, vcc, 0, v45, vcc
	v_cmp_lt_u64_e32 vcc, v[10:11], v[8:9]
	v_mov_b32_e32 v1, 1
	s_and_saveexec_b64 s[36:37], vcc
	s_cbranch_execz .LBB2_4813
; %bb.4804:                             ;   in Loop: Header=BB2_4802 Depth=3
	s_mov_b64 s[60:61], 0
	v_mov_b32_e32 v1, 0
                                        ; implicit-def: $sgpr62_sgpr63
	s_branch .LBB2_4808
.LBB2_4805:                             ;   in Loop: Header=BB2_4808 Depth=4
	s_or_b64 exec, exec, s[70:71]
	v_mov_b32_e32 v3, 0
	s_orn2_b64 s[68:69], s[68:69], exec
.LBB2_4806:                             ;   in Loop: Header=BB2_4808 Depth=4
	s_or_b64 exec, exec, s[66:67]
	s_andn2_b64 vcc, s[62:63], exec
	s_and_b64 s[62:63], s[68:69], exec
	s_or_b64 s[62:63], vcc, s[62:63]
	v_mov_b32_e32 v1, v3
.LBB2_4807:                             ;   in Loop: Header=BB2_4808 Depth=4
	s_or_b64 exec, exec, s[64:65]
	s_waitcnt vmcnt(0) lgkmcnt(0)
	v_add_co_u32_e32 v10, vcc, v50, v2
	v_addc_co_u32_e32 v11, vcc, 0, v51, vcc
	v_cmp_ge_u64_e32 vcc, v[10:11], v[8:9]
	s_xor_b64 s[64:65], s[62:63], -1
	s_or_b64 vcc, s[64:65], vcc
	s_and_b64 vcc, exec, vcc
	s_or_b64 s[60:61], vcc, s[60:61]
	s_andn2_b64 exec, exec, s[60:61]
	s_cbranch_execz .LBB2_4812
.LBB2_4808:                             ;   Parent Loop BB2_47 Depth=1
                                        ;     Parent Loop BB2_4619 Depth=2
                                        ;       Parent Loop BB2_4802 Depth=3
                                        ; =>      This Inner Loop Header: Depth=4
	s_sleep 1
	flat_load_dwordx2 v[50:51], v[48:49] glc
	v_and_b32_e32 v3, 64, v57
	v_cmp_eq_u32_e32 vcc, 0, v3
	s_andn2_b64 s[62:63], s[62:63], exec
	s_and_saveexec_b64 s[64:65], vcc
	s_cbranch_execz .LBB2_4807
; %bb.4809:                             ;   in Loop: Header=BB2_4808 Depth=4
	v_add_u32_e32 v3, 1, v1
	v_cmp_lt_i32_e32 vcc, s89, v1
	s_mov_b64 s[68:69], -1
	s_and_saveexec_b64 s[66:67], vcc
	s_cbranch_execz .LBB2_4806
; %bb.4810:                             ;   in Loop: Header=BB2_4808 Depth=4
	s_trap 2
	ds_read_b64 v[10:11], v0
	s_waitcnt vmcnt(0) lgkmcnt(0)
	flat_load_dword v1, v[10:11] glc
	s_waitcnt vmcnt(0) lgkmcnt(0)
	buffer_invl2
	buffer_wbinvl1_vol
	v_cmp_ne_u32_e32 vcc, 0, v1
	s_and_saveexec_b64 s[70:71], vcc
	s_cbranch_execz .LBB2_4805
; %bb.4811:                             ;   in Loop: Header=BB2_4808 Depth=4
	v_or_b32_e32 v57, 64, v57
	s_xor_b64 s[68:69], exec, -1
	ds_write_b32 v0, v1
	s_trap 2
	s_branch .LBB2_4805
.LBB2_4812:                             ;   in Loop: Header=BB2_4802 Depth=3
	s_or_b64 exec, exec, s[60:61]
	v_and_b32_e32 v1, 12, v57
.LBB2_4813:                             ;   in Loop: Header=BB2_4802 Depth=3
	s_or_b64 exec, exec, s[36:37]
	v_cmp_eq_u32_e32 vcc, 0, v1
	s_orn2_b64 s[36:37], vcc, exec
	;;#ASMSTART
	s_wakeup
	;;#ASMEND
.LBB2_4814:                             ;   in Loop: Header=BB2_4802 Depth=3
	s_or_b64 exec, exec, s[34:35]
	s_xor_b64 s[26:27], s[26:27], -1
	s_and_b64 s[26:27], exec, s[26:27]
	s_or_b64 s[30:31], s[26:27], s[30:31]
	v_sub_u32_e32 v1, v6, v7
	s_xor_b64 s[26:27], s[36:37], -1
	v_min_i32_e32 v4, v4, v1
	s_and_saveexec_b64 s[34:35], s[26:27]
	s_cbranch_execz .LBB2_4830
; %bb.4815:                             ;   in Loop: Header=BB2_4802 Depth=3
	v_and_b32_e32 v1, 0x108, v57
	v_cmp_ne_u32_e32 vcc, s90, v1
	v_and_b32_e32 v2, 7, v44
	s_and_saveexec_b64 s[26:27], vcc
	s_xor_b64 s[26:27], exec, s[26:27]
	s_andn2_saveexec_b64 s[26:27], s[26:27]
	s_cbranch_execz .LBB2_4817
; %bb.4816:                             ;   in Loop: Header=BB2_4802 Depth=3
	v_accvgpr_read_b32 v8, a12
	v_accvgpr_read_b32 v9, a13
	v_mad_u64_u32 v[8:9], vcc, v2, 24, v[8:9]
	v_ashrrev_i32_e32 v5, 31, v4
	flat_store_dwordx2 v[8:9], v[4:5] offset:8
.LBB2_4817:                             ;   in Loop: Header=BB2_4802 Depth=3
	s_or_b64 exec, exec, s[26:27]
	v_and_b32_e32 v1, 0x100, v57
	v_cmp_ne_u32_e32 vcc, 0, v1
	s_mov_b64 s[26:27], -1
                                        ; implicit-def: $vgpr8_vgpr9
	s_and_saveexec_b64 s[36:37], vcc
	s_cbranch_execz .LBB2_4821
; %bb.4818:                             ;   in Loop: Header=BB2_4802 Depth=3
	v_accvgpr_read_b32 v8, a12
	v_accvgpr_read_b32 v9, a13
	v_mad_u64_u32 v[10:11], s[26:27], v2, 24, v[8:9]
	v_mov_b32_e32 v8, v11
	v_mad_u64_u32 v[8:9], s[26:27], v61, 24, v[8:9]
	v_mov_b32_e32 v11, v8
	flat_load_dword v1, v[10:11]
                                        ; implicit-def: $vgpr8_vgpr9
	s_waitcnt vmcnt(0) lgkmcnt(0)
	v_cmp_ne_u32_e32 vcc, 1, v1
	v_cmp_eq_u32_e64 s[26:27], 1, v1
	s_and_saveexec_b64 s[60:61], s[26:27]
	s_cbranch_execz .LBB2_4820
; %bb.4819:                             ;   in Loop: Header=BB2_4802 Depth=3
	flat_load_dword v8, v[10:11] offset:4 glc
	s_waitcnt vmcnt(0) lgkmcnt(0)
	v_ashrrev_i32_e32 v9, 31, v8
.LBB2_4820:                             ;   in Loop: Header=BB2_4802 Depth=3
	s_or_b64 exec, exec, s[60:61]
	s_orn2_b64 s[26:27], vcc, exec
.LBB2_4821:                             ;   in Loop: Header=BB2_4802 Depth=3
	s_or_b64 exec, exec, s[36:37]
	s_and_saveexec_b64 vcc, s[26:27]
; %bb.4822:                             ;   in Loop: Header=BB2_4802 Depth=3
	v_accvgpr_read_b32 v8, a16
	v_accvgpr_read_b32 v3, a17
	v_mul_lo_u32 v1, v61, v8
	v_mul_lo_u32 v3, v2, v3
	v_mad_u64_u32 v[8:9], s[26:27], v2, v8, 0
	v_add3_u32 v9, v9, v3, v1
; %bb.4823:                             ;   in Loop: Header=BB2_4802 Depth=3
	s_or_b64 exec, exec, vcc
	v_accvgpr_read_b32 v2, a18
	v_accvgpr_read_b32 v3, a19
	v_add_co_u32_e32 v2, vcc, v2, v8
	v_addc_co_u32_e32 v3, vcc, v3, v9, vcc
	v_and_b32_e32 v1, 0x2000, v57
	v_cmp_ne_u32_e32 vcc, 0, v1
	s_trap 2
	ds_write_b64 v0, v[2:3]
	s_and_saveexec_b64 s[26:27], vcc
	s_cbranch_execz .LBB2_4825
; %bb.4824:                             ;   in Loop: Header=BB2_4802 Depth=3
	ds_read_b64 v[2:3], v0 offset:584
	s_waitcnt lgkmcnt(0)
	v_add_co_u32_e32 v2, vcc, 1, v2
	v_addc_co_u32_e32 v3, vcc, 0, v3, vcc
	ds_write_b64 v0, v[2:3] offset:584
.LBB2_4825:                             ;   in Loop: Header=BB2_4802 Depth=3
	s_or_b64 exec, exec, s[26:27]
	v_add_co_u32_e32 v44, vcc, 2, v44
	v_addc_co_u32_e32 v45, vcc, 0, v45, vcc
	s_or_b64 exec, exec, s[34:35]
	s_and_saveexec_b64 s[26:27], s[10:11]
	s_cbranch_execnz .LBB2_4831
.LBB2_4826:                             ;   in Loop: Header=BB2_4802 Depth=3
	s_or_b64 exec, exec, s[26:27]
                                        ; implicit-def: $vgpr1
	s_and_saveexec_b64 s[26:27], s[24:25]
	s_xor_b64 s[26:27], exec, s[26:27]
	s_cbranch_execz .LBB2_4849
.LBB2_4827:                             ;   in Loop: Header=BB2_4802 Depth=3
	s_trap 2
	ds_read_b32 v2, v0
	v_cmp_lt_i32_e32 vcc, 0, v4
	v_and_b32_e32 v3, 16, v57
	v_and_b32_e32 v1, 16, v57
	s_waitcnt lgkmcnt(0)
	v_readfirstlane_b32 s34, v2
	s_cmp_eq_u32 s34, 0
	s_cselect_b64 s[34:35], -1, 0
	s_and_b64 s[34:35], vcc, s[34:35]
	v_cmp_ne_u32_e32 vcc, 0, v3
	s_and_b64 s[34:35], vcc, s[34:35]
	s_and_saveexec_b64 vcc, s[34:35]
	s_cbranch_execz .LBB2_4829
; %bb.4828:                             ;   in Loop: Header=BB2_4802 Depth=3
	v_mov_b32_e32 v1, 1
	s_waitcnt vmcnt(0)
	buffer_wbinvl1_vol
.LBB2_4829:                             ;   in Loop: Header=BB2_4802 Depth=3
	s_or_b64 exec, exec, vcc
	s_andn2_saveexec_b64 s[26:27], s[26:27]
	s_cbranch_execz .LBB2_4868
	s_branch .LBB2_4850
.LBB2_4830:                             ;   in Loop: Header=BB2_4802 Depth=3
	s_or_b64 exec, exec, s[34:35]
	s_and_saveexec_b64 s[26:27], s[10:11]
	s_cbranch_execz .LBB2_4826
.LBB2_4831:                             ;   in Loop: Header=BB2_4802 Depth=3
	s_and_saveexec_b64 vcc, s[46:47]
	s_xor_b64 s[34:35], exec, vcc
	s_cbranch_execz .LBB2_4846
; %bb.4832:                             ;   in Loop: Header=BB2_4802 Depth=3
	s_and_saveexec_b64 s[36:37], s[16:17]
	s_cbranch_execz .LBB2_4845
; %bb.4833:                             ;   in Loop: Header=BB2_4802 Depth=3
	s_mov_b64 s[62:63], exec
	v_mbcnt_lo_u32_b32 v1, s62, 0
	v_mbcnt_hi_u32_b32 v1, s63, v1
	v_cmp_eq_u32_e32 vcc, 0, v1
	s_waitcnt vmcnt(0) lgkmcnt(0)
	buffer_wbinvl1_vol
	s_and_saveexec_b64 s[60:61], vcc
	s_cbranch_execz .LBB2_4835
; %bb.4834:                             ;   in Loop: Header=BB2_4802 Depth=3
	s_bcnt1_i32_b64 vcc_lo, s[62:63]
	v_mov_b32_e32 v60, vcc_lo
	ds_add_u64 v0, v[60:61]
	s_trap 2
.LBB2_4835:                             ;   in Loop: Header=BB2_4802 Depth=3
	s_or_b64 exec, exec, s[60:61]
	s_trap 2
	ds_read_b64 v[2:3], v0
	v_accvgpr_read_b32 v8, a14
	v_accvgpr_read_b32 v10, a22
	;; [unrolled: 1-line block ×3, first 2 shown]
	v_add_co_u32_e32 v8, vcc, v8, v10
	v_addc_co_u32_e32 v9, vcc, 0, v9, vcc
	v_accvgpr_write_b32 a15, v9
	v_accvgpr_write_b32 a14, v8
	s_waitcnt lgkmcnt(0)
	v_cmp_lt_u64_e32 vcc, v[2:3], v[8:9]
	s_and_saveexec_b64 s[60:61], vcc
	s_cbranch_execz .LBB2_4844
; %bb.4836:                             ;   in Loop: Header=BB2_4802 Depth=3
	s_mov_b32 s72, 0
	s_mov_b64 s[62:63], 0
                                        ; implicit-def: $sgpr64_sgpr65
                                        ; implicit-def: $sgpr66_sgpr67
	s_branch .LBB2_4838
.LBB2_4837:                             ;   in Loop: Header=BB2_4838 Depth=4
	s_or_b64 exec, exec, s[70:71]
	s_and_b64 vcc, exec, vcc
	s_or_b64 s[62:63], vcc, s[62:63]
	s_andn2_b64 vcc, s[64:65], exec
	s_and_b64 s[64:65], s[66:67], exec
	s_or_b64 s[64:65], vcc, s[64:65]
	s_andn2_b64 exec, exec, s[62:63]
	s_cbranch_execz .LBB2_4842
.LBB2_4838:                             ;   Parent Loop BB2_47 Depth=1
                                        ;     Parent Loop BB2_4619 Depth=2
                                        ;       Parent Loop BB2_4802 Depth=3
                                        ; =>      This Inner Loop Header: Depth=4
	s_add_i32 s72, s72, 1
	s_cmpk_lg_i32 s72, 0x2710
	s_cselect_b64 s[68:69], -1, 0
	s_and_b64 vcc, exec, s[68:69]
                                        ; implicit-def: $sgpr70_sgpr71
	s_cbranch_vccnz .LBB2_4840
; %bb.4839:                             ;   in Loop: Header=BB2_4838 Depth=4
	s_trap 2
	ds_read_b64 v[2:3], v0
	s_andn2_b64 s[68:69], s[68:69], exec
	s_mov_b32 s72, 0
	s_mov_b64 s[70:71], -1
	s_waitcnt lgkmcnt(0)
	flat_load_dword v1, v[2:3] glc
	s_waitcnt vmcnt(0) lgkmcnt(0)
	buffer_invl2
	buffer_wbinvl1_vol
	v_cmp_eq_u32_e32 vcc, 0, v1
	s_and_b64 vcc, vcc, exec
	s_or_b64 s[68:69], s[68:69], vcc
.LBB2_4840:                             ;   in Loop: Header=BB2_4838 Depth=4
	s_andn2_b64 s[66:67], s[66:67], exec
	s_and_b64 s[70:71], s[70:71], exec
	s_mov_b64 vcc, -1
	s_or_b64 s[66:67], s[66:67], s[70:71]
	s_and_saveexec_b64 s[70:71], s[68:69]
	s_cbranch_execz .LBB2_4837
; %bb.4841:                             ;   in Loop: Header=BB2_4838 Depth=4
	s_sleep 1
	s_trap 2
	ds_read_b64 v[2:3], v0
	v_accvgpr_read_b32 v8, a14
	v_accvgpr_read_b32 v9, a15
	s_andn2_b64 s[66:67], s[66:67], exec
	s_waitcnt lgkmcnt(0)
	v_cmp_ge_u64_e32 vcc, v[2:3], v[8:9]
	s_orn2_b64 vcc, vcc, exec
	s_branch .LBB2_4837
.LBB2_4842:                             ;   in Loop: Header=BB2_4802 Depth=3
	s_or_b64 exec, exec, s[62:63]
	s_and_saveexec_b64 vcc, s[64:65]
	s_xor_b64 vcc, exec, vcc
	s_cbranch_execz .LBB2_4844
; %bb.4843:                             ;   in Loop: Header=BB2_4802 Depth=3
	v_mov_b32_e32 v1, 1
	ds_write_b32 v0, v1
	s_trap 2
.LBB2_4844:                             ;   in Loop: Header=BB2_4802 Depth=3
	s_or_b64 exec, exec, s[60:61]
	;;#ASMSTART
	s_wakeup
	;;#ASMEND
.LBB2_4845:                             ;   in Loop: Header=BB2_4802 Depth=3
	s_or_b64 exec, exec, s[36:37]
.LBB2_4846:                             ;   in Loop: Header=BB2_4802 Depth=3
	s_andn2_saveexec_b64 vcc, s[34:35]
	s_cbranch_execz .LBB2_4848
; %bb.4847:                             ;   in Loop: Header=BB2_4802 Depth=3
	s_waitcnt vmcnt(0) lgkmcnt(0)
	buffer_wbinvl1_vol
	s_barrier
.LBB2_4848:                             ;   in Loop: Header=BB2_4802 Depth=3
	s_or_b64 exec, exec, vcc
	s_or_b64 exec, exec, s[26:27]
                                        ; implicit-def: $vgpr1
	s_and_saveexec_b64 s[26:27], s[24:25]
	s_xor_b64 s[26:27], exec, s[26:27]
	s_cbranch_execnz .LBB2_4827
.LBB2_4849:                             ;   in Loop: Header=BB2_4802 Depth=3
	s_andn2_saveexec_b64 s[26:27], s[26:27]
	s_cbranch_execz .LBB2_4868
.LBB2_4850:                             ;   in Loop: Header=BB2_4802 Depth=3
	s_and_saveexec_b64 vcc, s[46:47]
	s_xor_b64 s[34:35], exec, vcc
	s_cbranch_execz .LBB2_4865
; %bb.4851:                             ;   in Loop: Header=BB2_4802 Depth=3
	s_and_saveexec_b64 s[36:37], s[16:17]
	s_cbranch_execz .LBB2_4864
; %bb.4852:                             ;   in Loop: Header=BB2_4802 Depth=3
	s_mov_b64 s[62:63], exec
	v_mbcnt_lo_u32_b32 v1, s62, 0
	v_mbcnt_hi_u32_b32 v1, s63, v1
	v_cmp_eq_u32_e32 vcc, 0, v1
	;;#ASMSTART
	s_waitcnt lgkmcnt(0) vmcnt(0)
	;;#ASMEND
	s_and_saveexec_b64 s[60:61], vcc
	s_cbranch_execz .LBB2_4854
; %bb.4853:                             ;   in Loop: Header=BB2_4802 Depth=3
	s_bcnt1_i32_b64 vcc_lo, s[62:63]
	v_mov_b32_e32 v60, vcc_lo
	ds_add_u64 v0, v[60:61]
	s_trap 2
.LBB2_4854:                             ;   in Loop: Header=BB2_4802 Depth=3
	s_or_b64 exec, exec, s[60:61]
	s_trap 2
	ds_read_b64 v[2:3], v0
	v_accvgpr_read_b32 v8, a14
	v_accvgpr_read_b32 v10, a22
	;; [unrolled: 1-line block ×3, first 2 shown]
	v_add_co_u32_e32 v8, vcc, v8, v10
	v_addc_co_u32_e32 v9, vcc, 0, v9, vcc
	v_accvgpr_write_b32 a15, v9
	v_accvgpr_write_b32 a14, v8
	s_waitcnt lgkmcnt(0)
	v_cmp_lt_u64_e32 vcc, v[2:3], v[8:9]
	s_and_saveexec_b64 s[60:61], vcc
	s_cbranch_execz .LBB2_4863
; %bb.4855:                             ;   in Loop: Header=BB2_4802 Depth=3
	s_mov_b32 s72, 0
	s_mov_b64 s[62:63], 0
                                        ; implicit-def: $sgpr64_sgpr65
                                        ; implicit-def: $sgpr66_sgpr67
	s_branch .LBB2_4857
.LBB2_4856:                             ;   in Loop: Header=BB2_4857 Depth=4
	s_or_b64 exec, exec, s[70:71]
	s_and_b64 vcc, exec, vcc
	s_or_b64 s[62:63], vcc, s[62:63]
	s_andn2_b64 vcc, s[64:65], exec
	s_and_b64 s[64:65], s[66:67], exec
	s_or_b64 s[64:65], vcc, s[64:65]
	s_andn2_b64 exec, exec, s[62:63]
	s_cbranch_execz .LBB2_4861
.LBB2_4857:                             ;   Parent Loop BB2_47 Depth=1
                                        ;     Parent Loop BB2_4619 Depth=2
                                        ;       Parent Loop BB2_4802 Depth=3
                                        ; =>      This Inner Loop Header: Depth=4
	s_add_i32 s72, s72, 1
	s_cmpk_lg_i32 s72, 0x2710
	s_cselect_b64 s[68:69], -1, 0
	s_and_b64 vcc, exec, s[68:69]
                                        ; implicit-def: $sgpr70_sgpr71
	s_cbranch_vccnz .LBB2_4859
; %bb.4858:                             ;   in Loop: Header=BB2_4857 Depth=4
	s_trap 2
	ds_read_b64 v[2:3], v0
	s_andn2_b64 s[68:69], s[68:69], exec
	s_mov_b32 s72, 0
	s_mov_b64 s[70:71], -1
	s_waitcnt vmcnt(0) lgkmcnt(0)
	flat_load_dword v1, v[2:3] glc
	s_waitcnt vmcnt(0) lgkmcnt(0)
	buffer_invl2
	buffer_wbinvl1_vol
	v_cmp_eq_u32_e32 vcc, 0, v1
	s_and_b64 vcc, vcc, exec
	s_or_b64 s[68:69], s[68:69], vcc
.LBB2_4859:                             ;   in Loop: Header=BB2_4857 Depth=4
	s_andn2_b64 s[66:67], s[66:67], exec
	s_and_b64 s[70:71], s[70:71], exec
	s_mov_b64 vcc, -1
	s_or_b64 s[66:67], s[66:67], s[70:71]
	s_and_saveexec_b64 s[70:71], s[68:69]
	s_cbranch_execz .LBB2_4856
; %bb.4860:                             ;   in Loop: Header=BB2_4857 Depth=4
	s_sleep 1
	s_trap 2
	ds_read_b64 v[2:3], v0
	v_accvgpr_read_b32 v8, a14
	v_accvgpr_read_b32 v9, a15
	s_andn2_b64 s[66:67], s[66:67], exec
	s_waitcnt lgkmcnt(0)
	v_cmp_ge_u64_e32 vcc, v[2:3], v[8:9]
	s_orn2_b64 vcc, vcc, exec
	s_branch .LBB2_4856
.LBB2_4861:                             ;   in Loop: Header=BB2_4802 Depth=3
	s_or_b64 exec, exec, s[62:63]
	s_and_saveexec_b64 vcc, s[64:65]
	s_xor_b64 vcc, exec, vcc
	s_cbranch_execz .LBB2_4863
; %bb.4862:                             ;   in Loop: Header=BB2_4802 Depth=3
	v_mov_b32_e32 v1, 1
	ds_write_b32 v0, v1
	s_trap 2
.LBB2_4863:                             ;   in Loop: Header=BB2_4802 Depth=3
	s_or_b64 exec, exec, s[60:61]
	;;#ASMSTART
	s_wakeup
	;;#ASMEND
.LBB2_4864:                             ;   in Loop: Header=BB2_4802 Depth=3
	s_or_b64 exec, exec, s[36:37]
.LBB2_4865:                             ;   in Loop: Header=BB2_4802 Depth=3
	s_andn2_saveexec_b64 vcc, s[34:35]
	s_cbranch_execz .LBB2_4867
; %bb.4866:                             ;   in Loop: Header=BB2_4802 Depth=3
	;;#ASMSTART
	s_waitcnt lgkmcnt(0) vmcnt(0)
	;;#ASMEND
	s_barrier
.LBB2_4867:                             ;   in Loop: Header=BB2_4802 Depth=3
	s_or_b64 exec, exec, vcc
	v_and_b32_e32 v1, 16, v57
.LBB2_4868:                             ;   in Loop: Header=BB2_4802 Depth=3
	s_or_b64 exec, exec, s[26:27]
	v_cmp_ne_u32_e32 vcc, 0, v1
	s_xor_b64 s[26:27], s[12:13], -1
	s_and_b64 vcc, vcc, s[26:27]
	s_and_saveexec_b64 s[26:27], vcc
	s_cbranch_execz .LBB2_4870
; %bb.4869:                             ;   in Loop: Header=BB2_4802 Depth=3
	v_accvgpr_read_b32 v2, a20
	v_accvgpr_read_b32 v3, a21
	v_mov_b32_e32 v1, 1
	flat_store_dword v[2:3], v1
.LBB2_4870:                             ;   in Loop: Header=BB2_4802 Depth=3
	s_or_b64 exec, exec, s[26:27]
	v_and_b32_e32 v1, 48, v57
	v_cmp_ne_u32_e32 vcc, 0, v1
	s_and_saveexec_b64 s[26:27], vcc
	s_cbranch_execz .LBB2_4801
; %bb.4871:                             ;   in Loop: Header=BB2_4802 Depth=3
	v_add_co_u32_e32 v44, vcc, 2, v44
	v_addc_co_u32_e32 v45, vcc, 0, v45, vcc
	flat_store_dwordx2 v[48:49], v[44:45]
	s_branch .LBB2_4801
.LBB2_4872:                             ;   in Loop: Header=BB2_4619 Depth=2
	s_or_b64 exec, exec, s[60:61]
	s_or_b64 exec, exec, s[36:37]
	v_cmp_gt_i32_e32 vcc, 2, v1
	s_and_saveexec_b64 s[28:29], vcc
	s_cbranch_execnz .LBB2_4800
.LBB2_4873:                             ;   in Loop: Header=BB2_4619 Depth=2
	s_or_b64 exec, exec, s[28:29]
	s_add_i32 s26, s74, 1
	s_cmp_eq_u32 s74, s88
	s_cbranch_scc0 .LBB2_4875
	s_branch .LBB2_4876
.LBB2_4874:                             ;   in Loop: Header=BB2_4619 Depth=2
	s_or_b64 exec, exec, s[30:31]
	s_or_b64 exec, exec, s[28:29]
	s_add_i32 s26, s74, 1
	s_cmp_eq_u32 s74, s88
	s_cbranch_scc1 .LBB2_4876
.LBB2_4875:                             ;   in Loop: Header=BB2_4619 Depth=2
	s_mov_b32 s74, s26
	s_branch .LBB2_4619
.LBB2_4876:                             ;   in Loop: Header=BB2_47 Depth=1
	v_accvgpr_read_b32 v6, a50
	v_accvgpr_read_b32 v7, a51
	v_mul_lo_u32 v1, v7, s86
	v_mul_lo_u32 v4, v6, s87
	v_mad_u64_u32 v[2:3], s[26:27], v6, s86, 0
	v_add3_u32 v3, v3, v4, v1
	v_accvgpr_read_b32 v4, a52
	v_accvgpr_read_b32 v5, a53
	v_sub_co_u32_e32 v4, vcc, v4, v2
	v_subb_co_u32_e32 v5, vcc, v5, v3, vcc
	v_cmp_lt_i64_e32 vcc, v[6:7], v[4:5]
	v_cndmask_b32_e32 v1, v4, v6, vcc
	v_max_i32_e32 v6, 0, v1
	v_add_u32_e32 v4, 31, v6
	v_lshrrev_b32_e32 v4, 1, v4
	v_and_b32_e32 v4, 0x3ffffff0, v4
	v_cmp_lt_i32_e32 vcc, 0, v1
	v_max_i32_e32 v7, s84, v4
	s_and_b64 s[26:27], s[52:53], vcc
	v_mov_b32_e32 v4, 0
	v_mov_b32_e32 v10, 0
	s_and_saveexec_b64 s[28:29], s[26:27]
	s_cbranch_execz .LBB2_5016
; %bb.4877:                             ;   in Loop: Header=BB2_47 Depth=1
	v_accvgpr_read_b32 v1, a54
	v_add_co_u32_e32 v1, vcc, v2, v1
	v_accvgpr_read_b32 v2, a55
	v_addc_co_u32_e32 v11, vcc, v3, v2, vcc
	s_mov_b32 s74, 1
	s_mov_b64 s[34:35], -1
	s_mov_b64 s[30:31], 0
	v_mov_b32_e32 v10, 0
	s_branch .LBB2_4879
.LBB2_4878:                             ;   in Loop: Header=BB2_4879 Depth=2
	s_or_b64 exec, exec, s[26:27]
	v_add_u32_e32 v10, v7, v10
	v_cmp_ge_i32_e32 vcc, v10, v6
	s_xor_b64 s[26:27], s[34:35], -1
	s_or_b64 s[26:27], s[26:27], vcc
	s_and_b64 s[26:27], exec, s[26:27]
	s_or_b64 s[30:31], s[26:27], s[30:31]
	s_mov_b64 s[34:35], 0
	v_mov_b32_e32 v4, s74
	s_mov_b32 s74, 2
	s_andn2_b64 exec, exec, s[30:31]
	s_cbranch_execz .LBB2_5015
.LBB2_4879:                             ;   Parent Loop BB2_47 Depth=1
                                        ; =>  This Loop Header: Depth=2
                                        ;       Child Loop BB2_4887 Depth 3
                                        ;       Child Loop BB2_4911 Depth 3
	;; [unrolled: 1-line block ×9, first 2 shown]
	s_and_saveexec_b64 s[26:27], s[4:5]
	s_cbranch_execz .LBB2_4881
; %bb.4880:                             ;   in Loop: Header=BB2_4879 Depth=2
	s_trap 2
	ds_read_b128 v[2:5], v0
	v_ashrrev_i32_e32 v8, 31, v10
	s_waitcnt lgkmcnt(0)
	v_add_co_u32_e32 v2, vcc, v2, v1
	v_addc_co_u32_e32 v3, vcc, v3, v11, vcc
	v_add_co_u32_e32 v2, vcc, v2, v10
	v_addc_co_u32_e32 v3, vcc, v3, v8, vcc
	ds_write_b64 v0, v[2:3]
	v_add_co_u32_e32 v2, vcc, v4, v1
	v_addc_co_u32_e32 v3, vcc, v5, v11, vcc
	v_add_co_u32_e32 v2, vcc, v2, v10
	v_addc_co_u32_e32 v3, vcc, v3, v8, vcc
	v_cmp_ne_u64_e32 vcc, 0, v[4:5]
	v_cndmask_b32_e32 v3, 0, v3, vcc
	v_cndmask_b32_e32 v2, 0, v2, vcc
	ds_write_b64 v0, v[2:3]
.LBB2_4881:                             ;   in Loop: Header=BB2_4879 Depth=2
	s_or_b64 exec, exec, s[26:27]
	v_and_b32_e32 v2, 4, v57
	v_cmp_ne_u32_e32 vcc, 0, v2
	s_mov_b64 s[36:37], -1
	s_and_saveexec_b64 s[26:27], vcc
	s_cbranch_execz .LBB2_4891
; %bb.4882:                             ;   in Loop: Header=BB2_4879 Depth=2
	v_add_co_u32_e32 v2, vcc, 2, v44
	v_addc_co_u32_e32 v3, vcc, 0, v45, vcc
	v_cmp_lt_u64_e32 vcc, v[50:51], v[2:3]
	v_mov_b32_e32 v4, 1
	s_and_saveexec_b64 s[36:37], vcc
	s_cbranch_execz .LBB2_4902
; %bb.4883:                             ;   in Loop: Header=BB2_4879 Depth=2
	s_mov_b64 s[60:61], 0
	v_mov_b32_e32 v4, 0
                                        ; implicit-def: $sgpr62_sgpr63
	s_branch .LBB2_4887
.LBB2_4884:                             ;   in Loop: Header=BB2_4887 Depth=3
	s_or_b64 exec, exec, s[70:71]
	v_mov_b32_e32 v5, 0
	s_orn2_b64 s[68:69], s[68:69], exec
.LBB2_4885:                             ;   in Loop: Header=BB2_4887 Depth=3
	s_or_b64 exec, exec, s[66:67]
	s_andn2_b64 vcc, s[62:63], exec
	s_and_b64 s[62:63], s[68:69], exec
	s_or_b64 s[62:63], vcc, s[62:63]
	v_mov_b32_e32 v4, v5
.LBB2_4886:                             ;   in Loop: Header=BB2_4887 Depth=3
	s_or_b64 exec, exec, s[64:65]
	s_waitcnt vmcnt(0) lgkmcnt(0)
	v_cmp_ge_u64_e32 vcc, v[50:51], v[2:3]
	s_xor_b64 s[64:65], s[62:63], -1
	s_or_b64 vcc, s[64:65], vcc
	s_and_b64 vcc, exec, vcc
	s_or_b64 s[60:61], vcc, s[60:61]
	s_andn2_b64 exec, exec, s[60:61]
	s_cbranch_execz .LBB2_4901
.LBB2_4887:                             ;   Parent Loop BB2_47 Depth=1
                                        ;     Parent Loop BB2_4879 Depth=2
                                        ; =>    This Inner Loop Header: Depth=3
	s_sleep 1
	flat_load_dwordx2 v[50:51], v[48:49] glc
	v_and_b32_e32 v5, 64, v57
	v_cmp_eq_u32_e32 vcc, 0, v5
	s_andn2_b64 s[62:63], s[62:63], exec
	s_and_saveexec_b64 s[64:65], vcc
	s_cbranch_execz .LBB2_4886
; %bb.4888:                             ;   in Loop: Header=BB2_4887 Depth=3
	v_add_u32_e32 v5, 1, v4
	v_cmp_lt_i32_e32 vcc, s89, v4
	s_mov_b64 s[68:69], -1
	s_and_saveexec_b64 s[66:67], vcc
	s_cbranch_execz .LBB2_4885
; %bb.4889:                             ;   in Loop: Header=BB2_4887 Depth=3
	s_trap 2
	ds_read_b64 v[4:5], v0
	s_waitcnt vmcnt(0) lgkmcnt(0)
	flat_load_dword v4, v[4:5] glc
	s_waitcnt vmcnt(0) lgkmcnt(0)
	buffer_invl2
	buffer_wbinvl1_vol
	v_cmp_ne_u32_e32 vcc, 0, v4
	s_and_saveexec_b64 s[70:71], vcc
	s_cbranch_execz .LBB2_4884
; %bb.4890:                             ;   in Loop: Header=BB2_4887 Depth=3
	v_or_b32_e32 v57, 64, v57
	s_xor_b64 s[68:69], exec, -1
	ds_write_b32 v0, v4
	s_trap 2
	s_branch .LBB2_4884
.LBB2_4891:                             ;   in Loop: Header=BB2_4879 Depth=2
	s_or_b64 exec, exec, s[26:27]
	s_xor_b64 s[26:27], s[36:37], -1
	s_and_saveexec_b64 s[36:37], s[26:27]
	s_cbranch_execz .LBB2_4903
.LBB2_4892:                             ;   in Loop: Header=BB2_4879 Depth=2
	v_and_b32_e32 v2, 0x100, v57
	v_cmp_ne_u32_e32 vcc, 0, v2
	v_and_b32_e32 v8, 7, v44
	s_mov_b64 s[26:27], -1
                                        ; implicit-def: $vgpr2_vgpr3
	s_and_saveexec_b64 s[60:61], vcc
	s_cbranch_execz .LBB2_4896
; %bb.4893:                             ;   in Loop: Header=BB2_4879 Depth=2
	v_accvgpr_read_b32 v2, a12
	v_accvgpr_read_b32 v3, a13
	v_mad_u64_u32 v[4:5], s[26:27], v8, 24, v[2:3]
	flat_load_dword v2, v[4:5]
	s_waitcnt vmcnt(0) lgkmcnt(0)
	v_cmp_ne_u32_e32 vcc, 1, v2
	v_cmp_eq_u32_e64 s[26:27], 1, v2
                                        ; implicit-def: $vgpr2_vgpr3
	s_and_saveexec_b64 s[62:63], s[26:27]
	s_cbranch_execz .LBB2_4895
; %bb.4894:                             ;   in Loop: Header=BB2_4879 Depth=2
	flat_load_dword v2, v[4:5] offset:4 glc
	s_waitcnt vmcnt(0) lgkmcnt(0)
	v_ashrrev_i32_e32 v3, 31, v2
.LBB2_4895:                             ;   in Loop: Header=BB2_4879 Depth=2
	s_or_b64 exec, exec, s[62:63]
	s_orn2_b64 s[26:27], vcc, exec
.LBB2_4896:                             ;   in Loop: Header=BB2_4879 Depth=2
	s_or_b64 exec, exec, s[60:61]
	s_and_saveexec_b64 vcc, s[26:27]
; %bb.4897:                             ;   in Loop: Header=BB2_4879 Depth=2
	v_accvgpr_read_b32 v2, a16
	v_mad_i64_i32 v[2:3], s[26:27], v8, v2, 0
; %bb.4898:                             ;   in Loop: Header=BB2_4879 Depth=2
	s_or_b64 exec, exec, vcc
	v_accvgpr_read_b32 v4, a18
	v_accvgpr_read_b32 v5, a19
	v_add_co_u32_e32 v2, vcc, v4, v2
	v_addc_co_u32_e32 v3, vcc, v5, v3, vcc
	ds_write_b64 v0, v[2:3] offset:720
	v_and_b32_e32 v2, 0x2000, v57
	v_cmp_ne_u32_e32 vcc, 0, v2
	s_and_saveexec_b64 s[26:27], vcc
	s_cbranch_execz .LBB2_4900
; %bb.4899:                             ;   in Loop: Header=BB2_4879 Depth=2
	ds_read_b64 v[2:3], v0 offset:584
	s_waitcnt lgkmcnt(0)
	v_add_co_u32_e32 v2, vcc, 1, v2
	v_addc_co_u32_e32 v3, vcc, 0, v3, vcc
	ds_write_b64 v0, v[2:3] offset:584
.LBB2_4900:                             ;   in Loop: Header=BB2_4879 Depth=2
	s_or_b64 exec, exec, s[26:27]
	v_add_co_u32_e32 v44, vcc, 2, v44
	v_addc_co_u32_e32 v45, vcc, 0, v45, vcc
	s_or_b64 exec, exec, s[36:37]
	s_and_saveexec_b64 s[26:27], s[10:11]
	s_cbranch_execz .LBB2_4922
	s_branch .LBB2_4904
.LBB2_4901:                             ;   in Loop: Header=BB2_4879 Depth=2
	s_or_b64 exec, exec, s[60:61]
	v_and_b32_e32 v4, 4, v57
.LBB2_4902:                             ;   in Loop: Header=BB2_4879 Depth=2
	s_or_b64 exec, exec, s[36:37]
	v_cmp_eq_u32_e32 vcc, 0, v4
	s_orn2_b64 s[36:37], vcc, exec
	;;#ASMSTART
	s_wakeup
	;;#ASMEND
	s_or_b64 exec, exec, s[26:27]
	s_xor_b64 s[26:27], s[36:37], -1
	s_and_saveexec_b64 s[36:37], s[26:27]
	s_cbranch_execnz .LBB2_4892
.LBB2_4903:                             ;   in Loop: Header=BB2_4879 Depth=2
	s_or_b64 exec, exec, s[36:37]
	s_and_saveexec_b64 s[26:27], s[10:11]
	s_cbranch_execz .LBB2_4922
.LBB2_4904:                             ;   in Loop: Header=BB2_4879 Depth=2
	s_and_saveexec_b64 vcc, s[46:47]
	s_xor_b64 s[36:37], exec, vcc
	s_cbranch_execz .LBB2_4919
; %bb.4905:                             ;   in Loop: Header=BB2_4879 Depth=2
	s_and_saveexec_b64 s[60:61], s[16:17]
	s_cbranch_execz .LBB2_4918
; %bb.4906:                             ;   in Loop: Header=BB2_4879 Depth=2
	s_mov_b64 s[64:65], exec
	v_mbcnt_lo_u32_b32 v2, s64, 0
	v_mbcnt_hi_u32_b32 v2, s65, v2
	v_cmp_eq_u32_e32 vcc, 0, v2
	s_waitcnt vmcnt(0) lgkmcnt(0)
	buffer_wbinvl1_vol
	s_and_saveexec_b64 s[62:63], vcc
	s_cbranch_execz .LBB2_4908
; %bb.4907:                             ;   in Loop: Header=BB2_4879 Depth=2
	s_bcnt1_i32_b64 vcc_lo, s[64:65]
	v_mov_b32_e32 v60, vcc_lo
	ds_add_u64 v0, v[60:61]
	s_trap 2
.LBB2_4908:                             ;   in Loop: Header=BB2_4879 Depth=2
	s_or_b64 exec, exec, s[62:63]
	s_trap 2
	ds_read_b64 v[2:3], v0
	v_accvgpr_read_b32 v4, a14
	v_accvgpr_read_b32 v8, a22
	;; [unrolled: 1-line block ×3, first 2 shown]
	v_add_co_u32_e32 v4, vcc, v4, v8
	v_addc_co_u32_e32 v5, vcc, 0, v5, vcc
	v_accvgpr_write_b32 a15, v5
	v_accvgpr_write_b32 a14, v4
	s_waitcnt lgkmcnt(0)
	v_cmp_lt_u64_e32 vcc, v[2:3], v[4:5]
	s_and_saveexec_b64 s[62:63], vcc
	s_cbranch_execz .LBB2_4917
; %bb.4909:                             ;   in Loop: Header=BB2_4879 Depth=2
	s_mov_b32 s75, 0
	s_mov_b64 s[64:65], 0
                                        ; implicit-def: $sgpr66_sgpr67
                                        ; implicit-def: $sgpr68_sgpr69
	s_branch .LBB2_4911
.LBB2_4910:                             ;   in Loop: Header=BB2_4911 Depth=3
	s_or_b64 exec, exec, s[72:73]
	s_and_b64 vcc, exec, vcc
	s_or_b64 s[64:65], vcc, s[64:65]
	s_andn2_b64 vcc, s[66:67], exec
	s_and_b64 s[66:67], s[68:69], exec
	s_or_b64 s[66:67], vcc, s[66:67]
	s_andn2_b64 exec, exec, s[64:65]
	s_cbranch_execz .LBB2_4915
.LBB2_4911:                             ;   Parent Loop BB2_47 Depth=1
                                        ;     Parent Loop BB2_4879 Depth=2
                                        ; =>    This Inner Loop Header: Depth=3
	s_add_i32 s75, s75, 1
	s_cmpk_lg_i32 s75, 0x2710
	s_cselect_b64 s[70:71], -1, 0
	s_and_b64 vcc, exec, s[70:71]
                                        ; implicit-def: $sgpr72_sgpr73
	s_cbranch_vccnz .LBB2_4913
; %bb.4912:                             ;   in Loop: Header=BB2_4911 Depth=3
	s_trap 2
	ds_read_b64 v[2:3], v0
	s_andn2_b64 s[70:71], s[70:71], exec
	s_mov_b32 s75, 0
	s_mov_b64 s[72:73], -1
	s_waitcnt lgkmcnt(0)
	flat_load_dword v2, v[2:3] glc
	s_waitcnt vmcnt(0) lgkmcnt(0)
	buffer_invl2
	buffer_wbinvl1_vol
	v_cmp_eq_u32_e32 vcc, 0, v2
	s_and_b64 vcc, vcc, exec
	s_or_b64 s[70:71], s[70:71], vcc
.LBB2_4913:                             ;   in Loop: Header=BB2_4911 Depth=3
	s_andn2_b64 s[68:69], s[68:69], exec
	s_and_b64 s[72:73], s[72:73], exec
	s_mov_b64 vcc, -1
	s_or_b64 s[68:69], s[68:69], s[72:73]
	s_and_saveexec_b64 s[72:73], s[70:71]
	s_cbranch_execz .LBB2_4910
; %bb.4914:                             ;   in Loop: Header=BB2_4911 Depth=3
	s_sleep 1
	s_trap 2
	ds_read_b64 v[2:3], v0
	v_accvgpr_read_b32 v4, a14
	v_accvgpr_read_b32 v5, a15
	s_andn2_b64 s[68:69], s[68:69], exec
	s_waitcnt lgkmcnt(0)
	v_cmp_ge_u64_e32 vcc, v[2:3], v[4:5]
	s_orn2_b64 vcc, vcc, exec
	s_branch .LBB2_4910
.LBB2_4915:                             ;   in Loop: Header=BB2_4879 Depth=2
	s_or_b64 exec, exec, s[64:65]
	s_and_saveexec_b64 vcc, s[66:67]
	s_xor_b64 vcc, exec, vcc
	s_cbranch_execz .LBB2_4917
; %bb.4916:                             ;   in Loop: Header=BB2_4879 Depth=2
	v_mov_b32_e32 v2, 1
	ds_write_b32 v0, v2
	s_trap 2
.LBB2_4917:                             ;   in Loop: Header=BB2_4879 Depth=2
	s_or_b64 exec, exec, s[62:63]
	;;#ASMSTART
	s_wakeup
	;;#ASMEND
.LBB2_4918:                             ;   in Loop: Header=BB2_4879 Depth=2
	s_or_b64 exec, exec, s[60:61]
.LBB2_4919:                             ;   in Loop: Header=BB2_4879 Depth=2
	s_andn2_saveexec_b64 vcc, s[36:37]
	s_cbranch_execz .LBB2_4921
; %bb.4920:                             ;   in Loop: Header=BB2_4879 Depth=2
	s_waitcnt vmcnt(0) lgkmcnt(0)
	buffer_wbinvl1_vol
	s_barrier
.LBB2_4921:                             ;   in Loop: Header=BB2_4879 Depth=2
	s_or_b64 exec, exec, vcc
.LBB2_4922:                             ;   in Loop: Header=BB2_4879 Depth=2
	s_or_b64 exec, exec, s[26:27]
	s_trap 2
	ds_read_b32 v2, v0
	v_and_b32_e32 v3, 0x4000, v57
	v_cmp_ne_u32_e32 vcc, 0, v3
	s_xor_b64 s[26:27], s[6:7], -1
	s_and_b64 vcc, s[26:27], vcc
	s_and_saveexec_b64 s[26:27], vcc
	s_cbranch_execz .LBB2_4941
; %bb.4923:                             ;   in Loop: Header=BB2_4879 Depth=2
	s_and_saveexec_b64 vcc, s[46:47]
	s_xor_b64 s[36:37], exec, vcc
	s_cbranch_execz .LBB2_4938
; %bb.4924:                             ;   in Loop: Header=BB2_4879 Depth=2
	s_and_saveexec_b64 s[60:61], s[16:17]
	s_cbranch_execz .LBB2_4937
; %bb.4925:                             ;   in Loop: Header=BB2_4879 Depth=2
	s_mov_b64 s[64:65], exec
	v_mbcnt_lo_u32_b32 v3, s64, 0
	v_mbcnt_hi_u32_b32 v3, s65, v3
	v_cmp_eq_u32_e32 vcc, 0, v3
	s_waitcnt vmcnt(0) lgkmcnt(0)
	buffer_wbinvl1_vol
	s_and_saveexec_b64 s[62:63], vcc
	s_cbranch_execz .LBB2_4927
; %bb.4926:                             ;   in Loop: Header=BB2_4879 Depth=2
	s_bcnt1_i32_b64 vcc_lo, s[64:65]
	v_mov_b32_e32 v60, vcc_lo
	ds_add_u64 v0, v[60:61]
	s_trap 2
.LBB2_4927:                             ;   in Loop: Header=BB2_4879 Depth=2
	s_or_b64 exec, exec, s[62:63]
	s_trap 2
	ds_read_b64 v[4:5], v0
	v_accvgpr_read_b32 v8, a14
	v_accvgpr_read_b32 v12, a22
	;; [unrolled: 1-line block ×3, first 2 shown]
	v_add_co_u32_e32 v8, vcc, v8, v12
	v_addc_co_u32_e32 v9, vcc, 0, v9, vcc
	v_accvgpr_write_b32 a15, v9
	v_accvgpr_write_b32 a14, v8
	s_waitcnt lgkmcnt(0)
	v_cmp_lt_u64_e32 vcc, v[4:5], v[8:9]
	s_and_saveexec_b64 s[62:63], vcc
	s_cbranch_execz .LBB2_4936
; %bb.4928:                             ;   in Loop: Header=BB2_4879 Depth=2
	s_mov_b32 s75, 0
	s_mov_b64 s[64:65], 0
                                        ; implicit-def: $sgpr66_sgpr67
                                        ; implicit-def: $sgpr68_sgpr69
	s_branch .LBB2_4930
.LBB2_4929:                             ;   in Loop: Header=BB2_4930 Depth=3
	s_or_b64 exec, exec, s[72:73]
	s_and_b64 vcc, exec, vcc
	s_or_b64 s[64:65], vcc, s[64:65]
	s_andn2_b64 vcc, s[66:67], exec
	s_and_b64 s[66:67], s[68:69], exec
	s_or_b64 s[66:67], vcc, s[66:67]
	s_andn2_b64 exec, exec, s[64:65]
	s_cbranch_execz .LBB2_4934
.LBB2_4930:                             ;   Parent Loop BB2_47 Depth=1
                                        ;     Parent Loop BB2_4879 Depth=2
                                        ; =>    This Inner Loop Header: Depth=3
	s_add_i32 s75, s75, 1
	s_cmpk_lg_i32 s75, 0x2710
	s_cselect_b64 s[70:71], -1, 0
	s_and_b64 vcc, exec, s[70:71]
                                        ; implicit-def: $sgpr72_sgpr73
	s_cbranch_vccnz .LBB2_4932
; %bb.4931:                             ;   in Loop: Header=BB2_4930 Depth=3
	s_trap 2
	ds_read_b64 v[4:5], v0
	s_andn2_b64 s[70:71], s[70:71], exec
	s_mov_b32 s75, 0
	s_mov_b64 s[72:73], -1
	s_waitcnt lgkmcnt(0)
	flat_load_dword v3, v[4:5] glc
	s_waitcnt vmcnt(0) lgkmcnt(0)
	buffer_invl2
	buffer_wbinvl1_vol
	v_cmp_eq_u32_e32 vcc, 0, v3
	s_and_b64 vcc, vcc, exec
	s_or_b64 s[70:71], s[70:71], vcc
.LBB2_4932:                             ;   in Loop: Header=BB2_4930 Depth=3
	s_andn2_b64 s[68:69], s[68:69], exec
	s_and_b64 s[72:73], s[72:73], exec
	s_mov_b64 vcc, -1
	s_or_b64 s[68:69], s[68:69], s[72:73]
	s_and_saveexec_b64 s[72:73], s[70:71]
	s_cbranch_execz .LBB2_4929
; %bb.4933:                             ;   in Loop: Header=BB2_4930 Depth=3
	s_sleep 1
	s_trap 2
	ds_read_b64 v[4:5], v0
	v_accvgpr_read_b32 v8, a14
	v_accvgpr_read_b32 v9, a15
	s_andn2_b64 s[68:69], s[68:69], exec
	s_waitcnt lgkmcnt(0)
	v_cmp_ge_u64_e32 vcc, v[4:5], v[8:9]
	s_orn2_b64 vcc, vcc, exec
	s_branch .LBB2_4929
.LBB2_4934:                             ;   in Loop: Header=BB2_4879 Depth=2
	s_or_b64 exec, exec, s[64:65]
	s_and_saveexec_b64 vcc, s[66:67]
	s_xor_b64 vcc, exec, vcc
	s_cbranch_execz .LBB2_4936
; %bb.4935:                             ;   in Loop: Header=BB2_4879 Depth=2
	v_mov_b32_e32 v3, 1
	ds_write_b32 v0, v3
	s_trap 2
.LBB2_4936:                             ;   in Loop: Header=BB2_4879 Depth=2
	s_or_b64 exec, exec, s[62:63]
	;;#ASMSTART
	s_wakeup
	;;#ASMEND
.LBB2_4937:                             ;   in Loop: Header=BB2_4879 Depth=2
	s_or_b64 exec, exec, s[60:61]
.LBB2_4938:                             ;   in Loop: Header=BB2_4879 Depth=2
	s_andn2_saveexec_b64 vcc, s[36:37]
	s_cbranch_execz .LBB2_4940
; %bb.4939:                             ;   in Loop: Header=BB2_4879 Depth=2
	s_waitcnt vmcnt(0) lgkmcnt(0)
	buffer_wbinvl1_vol
	s_barrier
.LBB2_4940:                             ;   in Loop: Header=BB2_4879 Depth=2
	s_or_b64 exec, exec, vcc
.LBB2_4941:                             ;   in Loop: Header=BB2_4879 Depth=2
	s_or_b64 exec, exec, s[26:27]
	s_trap 2
	ds_read_b64 v[4:5], v0
	v_sub_u32_e32 v3, v6, v10
	v_min_i32_e32 v7, v7, v3
	v_mov_b32_e32 v12, 0
	s_waitcnt lgkmcnt(0)
	v_readfirstlane_b32 s26, v4
	v_readfirstlane_b32 s27, v5
	s_cmp_eq_u64 s[26:27], 0
	s_cselect_b64 s[26:27], -1, 0
	s_or_b64 s[26:27], s[26:27], s[26:27]
	s_and_b64 vcc, exec, s[26:27]
	s_cbranch_vccnz .LBB2_4957
; %bb.4942:                             ;   in Loop: Header=BB2_4879 Depth=2
	s_mov_b64 s[26:27], -1
	s_and_saveexec_b64 s[36:37], s[20:21]
	s_cbranch_execz .LBB2_4944
; %bb.4943:                             ;   in Loop: Header=BB2_4879 Depth=2
	ds_read_b32 v3, v0 offset:720
	s_waitcnt lgkmcnt(0)
	v_and_b32_e32 v3, 15, v3
	v_cmp_eq_u32_e32 vcc, 0, v3
	s_orn2_b64 s[26:27], vcc, exec
.LBB2_4944:                             ;   in Loop: Header=BB2_4879 Depth=2
	s_or_b64 exec, exec, s[36:37]
	s_and_saveexec_b64 s[36:37], s[18:19]
	s_cbranch_execz .LBB2_4946
; %bb.4945:                             ;   in Loop: Header=BB2_4879 Depth=2
	ds_read_b32 v3, v0 offset:784
	s_waitcnt lgkmcnt(0)
	v_and_b32_e32 v3, 15, v3
	v_cmp_eq_u32_e32 vcc, 0, v3
	s_and_b64 vcc, s[26:27], vcc
	s_andn2_b64 s[26:27], s[26:27], exec
	s_and_b64 vcc, vcc, exec
	s_or_b64 s[26:27], s[26:27], vcc
.LBB2_4946:                             ;   in Loop: Header=BB2_4879 Depth=2
	s_or_b64 exec, exec, s[36:37]
	v_cmp_eq_u32_e32 vcc, 0, v2
	s_xor_b64 s[26:27], s[26:27], -1
	v_cndmask_b32_e32 v12, 0, v7, vcc
	v_cndmask_b32_e64 v2, 0, 1, s[26:27]
	v_mov_b32_e32 v13, 0
	s_mov_b64 s[60:61], -1
	;;#ASMSTART
	;;#ASMEND
	v_cmp_ne_u32_e32 vcc, 0, v2
	v_mov_b32_e32 v14, v12
	v_accvgpr_read_b32 v15, a3
	v_accvgpr_read_b32 v4, a31
	s_cbranch_vccz .LBB2_4969
; %bb.4947:                             ;   in Loop: Header=BB2_4879 Depth=2
	s_and_saveexec_b64 s[26:27], s[60:61]
	s_cbranch_execz .LBB2_4982
.LBB2_4948:                             ;   in Loop: Header=BB2_4879 Depth=2
	v_ashrrev_i32_e32 v2, 31, v14
	v_lshrrev_b32_e32 v2, 23, v2
	v_add_u32_e32 v2, v14, v2
	v_ashrrev_i32_e32 v18, 9, v2
	v_sub_u32_e32 v16, v18, v4
	v_ashrrev_i32_e32 v2, 31, v15
	v_cmp_lt_i32_e32 vcc, 0, v16
	v_lshrrev_b32_e32 v17, 26, v2
	s_and_saveexec_b64 s[36:37], vcc
	s_cbranch_execz .LBB2_4952
; %bb.4949:                             ;   in Loop: Header=BB2_4879 Depth=2
	s_trap 2
	ds_read_b64 v[2:3], v0
	v_add_u32_e32 v5, v15, v17
	v_and_b32_e32 v5, 0xffffffc0, v5
	v_sub_u32_e32 v5, v15, v5
	v_lshlrev_b32_e32 v4, 9, v4
	v_add3_u32 v4, v13, v5, v4
	v_ashrrev_i32_e32 v5, 31, v4
	s_mov_b64 s[60:61], 0
	s_waitcnt lgkmcnt(0)
	v_pk_mov_b32 v[8:9], v[2:3], v[2:3] op_sel:[0,1]
	v_accvgpr_read_b32 v30, a22
	v_accvgpr_read_b32 v29, a34
	;; [unrolled: 1-line block ×3, first 2 shown]
.LBB2_4950:                             ;   Parent Loop BB2_47 Depth=1
                                        ;     Parent Loop BB2_4879 Depth=2
                                        ; =>    This Inner Loop Header: Depth=3
	v_add_co_u32_e32 v20, vcc, v4, v8
	v_addc_co_u32_e32 v21, vcc, v5, v9, vcc
	flat_load_ubyte v19, v[20:21] glc slc
	flat_load_ubyte v22, v[20:21] offset:64 glc slc
	flat_load_ubyte v23, v[20:21] offset:128 glc slc
	flat_load_ubyte v24, v[20:21] offset:192 glc slc
	flat_load_ubyte v25, v[20:21] offset:256 glc slc
	flat_load_ubyte v26, v[20:21] offset:320 glc slc
	flat_load_ubyte v27, v[20:21] offset:384 glc slc
	flat_load_ubyte v28, v[20:21] offset:448 glc slc
	v_add_co_u32_e32 v20, vcc, v4, v2
	v_addc_co_u32_e32 v21, vcc, v5, v3, vcc
	v_add_co_u32_e32 v8, vcc, v8, v29
	v_addc_co_u32_e32 v9, vcc, v9, v31, vcc
	v_add_co_u32_e32 v2, vcc, v2, v29
	v_sub_u32_e32 v16, v16, v30
	v_addc_co_u32_e32 v3, vcc, v3, v31, vcc
	v_cmp_gt_i32_e32 vcc, 1, v16
	s_or_b64 s[60:61], vcc, s[60:61]
	s_waitcnt vmcnt(0) lgkmcnt(0)
	flat_store_byte v[20:21], v19 glc slc
	flat_store_byte v[20:21], v22 offset:64 glc slc
	flat_store_byte v[20:21], v23 offset:128 glc slc
	;; [unrolled: 1-line block ×7, first 2 shown]
	s_andn2_b64 exec, exec, s[60:61]
	s_cbranch_execnz .LBB2_4950
; %bb.4951:                             ;   in Loop: Header=BB2_4879 Depth=2
	s_or_b64 exec, exec, s[60:61]
.LBB2_4952:                             ;   in Loop: Header=BB2_4879 Depth=2
	s_or_b64 exec, exec, s[36:37]
	v_lshlrev_b32_e32 v2, 9, v18
	v_cmp_ne_u32_e32 vcc, v14, v2
	s_mov_b64 s[36:37], exec
	s_and_b64 vcc, s[36:37], vcc
	v_accvgpr_read_b32 v18, a23
	v_accvgpr_read_b32 v19, a36
	v_accvgpr_read_b32 v20, a37
	s_mov_b64 exec, vcc
	s_cbranch_execz .LBB2_4956
; %bb.4953:                             ;   in Loop: Header=BB2_4879 Depth=2
	v_add_u32_e32 v3, v15, v17
	v_and_b32_e32 v3, 0xffffffc0, v3
	v_sub_u32_e32 v3, v15, v3
	v_lshlrev_b32_e32 v4, 6, v16
	v_sub_u32_e32 v3, v3, v4
	v_add_u32_e32 v4, v2, v3
	v_sub_u32_e32 v8, v14, v4
	v_cmp_lt_i32_e32 vcc, 0, v8
	s_and_b64 exec, exec, vcc
	s_cbranch_execz .LBB2_4956
; %bb.4954:                             ;   in Loop: Header=BB2_4879 Depth=2
	s_trap 2
	ds_read_b64 v[2:3], v0
	v_add_u32_e32 v4, v4, v13
	v_ashrrev_i32_e32 v5, 31, v4
	s_mov_b64 s[60:61], 0
.LBB2_4955:                             ;   Parent Loop BB2_47 Depth=1
                                        ;     Parent Loop BB2_4879 Depth=2
                                        ; =>    This Inner Loop Header: Depth=3
	s_waitcnt lgkmcnt(0)
	v_add_co_u32_e32 v14, vcc, v2, v4
	v_addc_co_u32_e32 v15, vcc, v3, v5, vcc
	flat_load_ubyte v9, v[14:15] glc slc
	v_add_co_u32_e32 v4, vcc, v4, v19
	v_sub_u32_e32 v8, v8, v18
	v_addc_co_u32_e32 v5, vcc, v5, v20, vcc
	v_cmp_gt_i32_e32 vcc, 1, v8
	s_or_b64 s[60:61], vcc, s[60:61]
	s_waitcnt vmcnt(0) lgkmcnt(0)
	flat_store_byte v[14:15], v9 glc slc
	s_andn2_b64 exec, exec, s[60:61]
	s_cbranch_execnz .LBB2_4955
.LBB2_4956:                             ;   in Loop: Header=BB2_4879 Depth=2
	s_or_b64 exec, exec, s[36:37]
	s_or_b64 exec, exec, s[26:27]
	s_and_saveexec_b64 s[26:27], s[10:11]
	s_cbranch_execz .LBB2_4983
	s_branch .LBB2_4958
.LBB2_4957:                             ;   in Loop: Header=BB2_4879 Depth=2
	s_and_saveexec_b64 s[26:27], s[10:11]
	s_cbranch_execz .LBB2_4983
.LBB2_4958:                             ;   in Loop: Header=BB2_4879 Depth=2
	s_and_saveexec_b64 vcc, s[46:47]
	s_xor_b64 s[36:37], exec, vcc
	s_cbranch_execz .LBB2_4991
; %bb.4959:                             ;   in Loop: Header=BB2_4879 Depth=2
	s_and_saveexec_b64 s[60:61], s[16:17]
	s_cbranch_execz .LBB2_4990
; %bb.4960:                             ;   in Loop: Header=BB2_4879 Depth=2
	s_mov_b64 s[64:65], exec
	v_mbcnt_lo_u32_b32 v2, s64, 0
	v_mbcnt_hi_u32_b32 v2, s65, v2
	v_cmp_eq_u32_e32 vcc, 0, v2
	s_waitcnt vmcnt(0) lgkmcnt(0)
	buffer_wbinvl1_vol
	s_and_saveexec_b64 s[62:63], vcc
	s_cbranch_execz .LBB2_4962
; %bb.4961:                             ;   in Loop: Header=BB2_4879 Depth=2
	s_bcnt1_i32_b64 vcc_lo, s[64:65]
	v_mov_b32_e32 v60, vcc_lo
	ds_add_u64 v0, v[60:61]
	s_trap 2
.LBB2_4962:                             ;   in Loop: Header=BB2_4879 Depth=2
	s_or_b64 exec, exec, s[62:63]
	s_trap 2
	ds_read_b64 v[2:3], v0
	v_accvgpr_read_b32 v4, a14
	v_accvgpr_read_b32 v8, a22
	;; [unrolled: 1-line block ×3, first 2 shown]
	v_add_co_u32_e32 v4, vcc, v4, v8
	v_addc_co_u32_e32 v5, vcc, 0, v5, vcc
	v_accvgpr_write_b32 a15, v5
	v_accvgpr_write_b32 a14, v4
	s_waitcnt lgkmcnt(0)
	v_cmp_lt_u64_e32 vcc, v[2:3], v[4:5]
	s_and_saveexec_b64 s[62:63], vcc
	s_cbranch_execz .LBB2_4989
; %bb.4963:                             ;   in Loop: Header=BB2_4879 Depth=2
	s_mov_b32 s75, 0
	s_mov_b64 s[64:65], 0
                                        ; implicit-def: $sgpr66_sgpr67
                                        ; implicit-def: $sgpr68_sgpr69
	s_branch .LBB2_4965
.LBB2_4964:                             ;   in Loop: Header=BB2_4965 Depth=3
	s_or_b64 exec, exec, s[72:73]
	s_and_b64 vcc, exec, vcc
	s_or_b64 s[64:65], vcc, s[64:65]
	s_andn2_b64 vcc, s[66:67], exec
	s_and_b64 s[66:67], s[68:69], exec
	s_or_b64 s[66:67], vcc, s[66:67]
	s_andn2_b64 exec, exec, s[64:65]
	s_cbranch_execz .LBB2_4987
.LBB2_4965:                             ;   Parent Loop BB2_47 Depth=1
                                        ;     Parent Loop BB2_4879 Depth=2
                                        ; =>    This Inner Loop Header: Depth=3
	s_add_i32 s75, s75, 1
	s_cmpk_lg_i32 s75, 0x2710
	s_cselect_b64 s[70:71], -1, 0
	s_and_b64 vcc, exec, s[70:71]
                                        ; implicit-def: $sgpr72_sgpr73
	s_cbranch_vccnz .LBB2_4967
; %bb.4966:                             ;   in Loop: Header=BB2_4965 Depth=3
	s_trap 2
	ds_read_b64 v[2:3], v0
	s_andn2_b64 s[70:71], s[70:71], exec
	s_mov_b32 s75, 0
	s_mov_b64 s[72:73], -1
	s_waitcnt lgkmcnt(0)
	flat_load_dword v2, v[2:3] glc
	s_waitcnt vmcnt(0) lgkmcnt(0)
	buffer_invl2
	buffer_wbinvl1_vol
	v_cmp_eq_u32_e32 vcc, 0, v2
	s_and_b64 vcc, vcc, exec
	s_or_b64 s[70:71], s[70:71], vcc
.LBB2_4967:                             ;   in Loop: Header=BB2_4965 Depth=3
	s_andn2_b64 s[68:69], s[68:69], exec
	s_and_b64 s[72:73], s[72:73], exec
	s_mov_b64 vcc, -1
	s_or_b64 s[68:69], s[68:69], s[72:73]
	s_and_saveexec_b64 s[72:73], s[70:71]
	s_cbranch_execz .LBB2_4964
; %bb.4968:                             ;   in Loop: Header=BB2_4965 Depth=3
	s_sleep 1
	s_trap 2
	ds_read_b64 v[2:3], v0
	v_accvgpr_read_b32 v4, a14
	v_accvgpr_read_b32 v5, a15
	s_andn2_b64 s[68:69], s[68:69], exec
	s_waitcnt lgkmcnt(0)
	v_cmp_ge_u64_e32 vcc, v[2:3], v[4:5]
	s_orn2_b64 vcc, vcc, exec
	s_branch .LBB2_4964
.LBB2_4969:                             ;   in Loop: Header=BB2_4879 Depth=2
	v_accvgpr_read_b32 v2, a24
	v_sub_u32_e32 v9, v12, v2
	v_ashrrev_i32_e32 v2, 31, v12
	v_lshrrev_b32_e32 v2, 22, v2
	v_add_u32_e32 v2, v12, v2
	v_and_b32_e32 v8, 0xfffffc00, v2
	v_accvgpr_read_b32 v3, a25
	v_sub_u32_e32 v17, v12, v8
	v_ashrrev_i32_e32 v3, 10, v2
	v_cmp_lt_i32_e32 vcc, 15, v17
	v_accvgpr_read_b32 v2, a41
	v_addc_co_u32_e64 v16, s[26:27], v3, v2, vcc
	v_cmp_lt_i32_e64 s[26:27], 15, v9
	s_and_saveexec_b64 s[36:37], s[26:27]
	s_cbranch_execz .LBB2_4973
; %bb.4970:                             ;   in Loop: Header=BB2_4879 Depth=2
	s_trap 2
	ds_read_b64 v[2:3], v0
	v_accvgpr_read_b32 v4, a24
	s_mov_b64 s[60:61], 0
	v_accvgpr_read_b32 v5, a25
	v_accvgpr_read_b32 v22, a22
	v_accvgpr_read_b32 v13, a28
	v_accvgpr_read_b32 v23, a42
	v_accvgpr_read_b32 v24, a43
.LBB2_4971:                             ;   Parent Loop BB2_47 Depth=1
                                        ;     Parent Loop BB2_4879 Depth=2
                                        ; =>    This Inner Loop Header: Depth=3
	s_waitcnt lgkmcnt(0)
	v_add_co_u32_e64 v14, s[26:27], v2, v4
	v_addc_co_u32_e64 v15, s[26:27], v3, v5, s[26:27]
	global_load_dwordx4 v[18:21], v[14:15], off glc slc
	v_add_co_u32_e64 v4, s[26:27], v4, v23
	v_sub_u32_e32 v9, v9, v13
	v_addc_co_u32_e64 v5, s[26:27], v5, v24, s[26:27]
	v_cmp_gt_i32_e64 s[26:27], 16, v9
	v_sub_u32_e32 v16, v16, v22
	s_or_b64 s[60:61], s[26:27], s[60:61]
	s_waitcnt vmcnt(0)
	global_store_dwordx4 v[14:15], v[18:21], off glc slc
	s_andn2_b64 exec, exec, s[60:61]
	s_cbranch_execnz .LBB2_4971
; %bb.4972:                             ;   in Loop: Header=BB2_4879 Depth=2
	s_or_b64 exec, exec, s[60:61]
.LBB2_4973:                             ;   in Loop: Header=BB2_4879 Depth=2
	s_or_b64 exec, exec, s[36:37]
	v_and_b32_e32 v2, 15, v12
	v_cndmask_b32_e32 v9, v17, v2, vcc
	v_cmp_ne_u32_e64 s[26:27], 0, v9
	s_mov_b64 s[60:61], 0
	v_mov_b32_e32 v13, 0
                                        ; implicit-def: $vgpr14
                                        ; implicit-def: $vgpr15
                                        ; implicit-def: $vgpr4
	s_and_saveexec_b64 s[36:37], s[26:27]
	s_cbranch_execz .LBB2_4981
; %bb.4974:                             ;   in Loop: Header=BB2_4879 Depth=2
	v_sub_u32_e32 v2, v17, v2
	v_cndmask_b32_e32 v2, 0, v2, vcc
	v_add_u32_e32 v8, v2, v8
	v_cmp_lt_i32_e32 vcc, 0, v16
	v_accvgpr_read_b32 v2, a22
	v_cndmask_b32_e32 v2, 0, v2, vcc
	v_sub_u32_e32 v2, v2, v16
	v_accvgpr_read_b32 v3, a40
	v_lshl_add_u32 v2, v2, 6, v3
	v_ashrrev_i32_e32 v3, 31, v2
	v_lshrrev_b32_e32 v3, 26, v3
	v_add_u32_e32 v3, v2, v3
	v_ashrrev_i32_e32 v5, 6, v3
	v_and_b32_e32 v3, 0xffffffc0, v3
	v_sub_u32_e32 v16, v2, v3
	v_lshlrev_b32_e32 v2, 4, v16
	v_lshl_add_u32 v4, v5, 10, v2
	v_ashrrev_i32_e32 v2, 31, v9
	v_lshrrev_b32_e32 v2, 22, v2
	v_add_u32_e32 v2, v9, v2
	v_and_b32_e32 v17, 0xfffffc00, v2
	v_sub_u32_e32 v19, v9, v17
	v_ashrrev_i32_e32 v3, 10, v2
	v_cmp_lt_i32_e32 vcc, 15, v19
	v_sub_u32_e32 v13, v9, v4
	v_addc_co_u32_e64 v2, s[26:27], 0, v3, vcc
	v_sub_u32_e32 v18, v2, v5
	v_cmp_lt_i32_e64 s[26:27], 15, v13
	s_and_saveexec_b64 s[60:61], s[26:27]
	s_cbranch_execz .LBB2_4978
; %bb.4975:                             ;   in Loop: Header=BB2_4879 Depth=2
	s_trap 2
	ds_read_b64 v[2:3], v0
	v_add_u32_e32 v4, v4, v8
	v_ashrrev_i32_e32 v5, 31, v4
	s_mov_b64 s[62:63], 0
	v_accvgpr_read_b32 v24, a22
	v_accvgpr_read_b32 v25, a28
	v_accvgpr_read_b32 v26, a42
	v_accvgpr_read_b32 v27, a43
.LBB2_4976:                             ;   Parent Loop BB2_47 Depth=1
                                        ;     Parent Loop BB2_4879 Depth=2
                                        ; =>    This Inner Loop Header: Depth=3
	s_waitcnt lgkmcnt(0)
	v_add_co_u32_e64 v14, s[26:27], v2, v4
	v_addc_co_u32_e64 v15, s[26:27], v3, v5, s[26:27]
	global_load_dwordx4 v[20:23], v[14:15], off glc slc
	v_add_co_u32_e64 v4, s[26:27], v4, v26
	v_sub_u32_e32 v13, v13, v25
	v_addc_co_u32_e64 v5, s[26:27], v5, v27, s[26:27]
	v_cmp_gt_i32_e64 s[26:27], 16, v13
	v_sub_u32_e32 v18, v18, v24
	s_or_b64 s[62:63], s[26:27], s[62:63]
	s_waitcnt vmcnt(0)
	global_store_dwordx4 v[14:15], v[20:23], off glc slc
	s_andn2_b64 exec, exec, s[62:63]
	s_cbranch_execnz .LBB2_4976
; %bb.4977:                             ;   in Loop: Header=BB2_4879 Depth=2
	s_or_b64 exec, exec, s[62:63]
.LBB2_4978:                             ;   in Loop: Header=BB2_4879 Depth=2
	s_or_b64 exec, exec, s[60:61]
	v_and_b32_e32 v2, 15, v9
	v_cndmask_b32_e32 v14, v19, v2, vcc
	v_cmp_ne_u32_e64 s[26:27], 0, v14
	s_mov_b64 s[60:61], 0
	v_mov_b32_e32 v13, 0
                                        ; implicit-def: $vgpr15
                                        ; implicit-def: $vgpr4
	s_and_saveexec_b64 s[62:63], s[26:27]
	s_cbranch_execz .LBB2_4980
; %bb.4979:                             ;   in Loop: Header=BB2_4879 Depth=2
	v_sub_u32_e32 v2, v19, v2
	v_cndmask_b32_e32 v2, 0, v2, vcc
	v_add3_u32 v13, v17, v8, v2
	v_cmp_lt_i32_e32 vcc, 0, v18
	v_accvgpr_read_b32 v2, a22
	v_cndmask_b32_e32 v2, 0, v2, vcc
	v_sub_u32_e32 v2, v2, v18
	v_lshl_add_u32 v15, v2, 6, v16
	v_ashrrev_i32_e32 v2, 31, v15
	v_lshrrev_b32_e32 v2, 26, v2
	v_add_u32_e32 v2, v15, v2
	s_mov_b64 s[60:61], exec
	v_ashrrev_i32_e32 v4, 6, v2
.LBB2_4980:                             ;   in Loop: Header=BB2_4879 Depth=2
	s_or_b64 exec, exec, s[62:63]
	s_and_b64 s[60:61], s[60:61], exec
.LBB2_4981:                             ;   in Loop: Header=BB2_4879 Depth=2
	s_or_b64 exec, exec, s[36:37]
	s_and_saveexec_b64 s[26:27], s[60:61]
	s_cbranch_execnz .LBB2_4948
.LBB2_4982:                             ;   in Loop: Header=BB2_4879 Depth=2
	s_or_b64 exec, exec, s[26:27]
	s_and_saveexec_b64 s[26:27], s[10:11]
	s_cbranch_execnz .LBB2_4958
.LBB2_4983:                             ;   in Loop: Header=BB2_4879 Depth=2
	s_or_b64 exec, exec, s[26:27]
	s_and_saveexec_b64 s[26:27], s[24:25]
	s_xor_b64 s[36:37], exec, s[26:27]
	s_cbranch_execz .LBB2_4994
.LBB2_4984:                             ;   in Loop: Header=BB2_4879 Depth=2
	v_and_b32_e32 v2, 16, v57
	v_cmp_lt_i32_e32 vcc, 0, v12
	v_cmp_ne_u32_e64 s[26:27], 0, v2
	s_and_b64 vcc, s[26:27], vcc
	s_and_saveexec_b64 s[26:27], vcc
	s_cbranch_execz .LBB2_4986
; %bb.4985:                             ;   in Loop: Header=BB2_4879 Depth=2
	s_waitcnt vmcnt(0) lgkmcnt(0)
	buffer_wbinvl1_vol
.LBB2_4986:                             ;   in Loop: Header=BB2_4879 Depth=2
	s_or_b64 exec, exec, s[26:27]
	s_andn2_saveexec_b64 s[26:27], s[36:37]
	s_cbranch_execz .LBB2_5013
	s_branch .LBB2_4995
.LBB2_4987:                             ;   in Loop: Header=BB2_4879 Depth=2
	s_or_b64 exec, exec, s[64:65]
	s_and_saveexec_b64 vcc, s[66:67]
	s_xor_b64 vcc, exec, vcc
	s_cbranch_execz .LBB2_4989
; %bb.4988:                             ;   in Loop: Header=BB2_4879 Depth=2
	v_mov_b32_e32 v2, 1
	ds_write_b32 v0, v2
	s_trap 2
.LBB2_4989:                             ;   in Loop: Header=BB2_4879 Depth=2
	s_or_b64 exec, exec, s[62:63]
	;;#ASMSTART
	s_wakeup
	;;#ASMEND
.LBB2_4990:                             ;   in Loop: Header=BB2_4879 Depth=2
	s_or_b64 exec, exec, s[60:61]
.LBB2_4991:                             ;   in Loop: Header=BB2_4879 Depth=2
	s_andn2_saveexec_b64 vcc, s[36:37]
	s_cbranch_execz .LBB2_4993
; %bb.4992:                             ;   in Loop: Header=BB2_4879 Depth=2
	s_waitcnt vmcnt(0) lgkmcnt(0)
	buffer_wbinvl1_vol
	s_barrier
.LBB2_4993:                             ;   in Loop: Header=BB2_4879 Depth=2
	s_or_b64 exec, exec, vcc
	s_or_b64 exec, exec, s[26:27]
	s_and_saveexec_b64 s[26:27], s[24:25]
	s_xor_b64 s[36:37], exec, s[26:27]
	s_cbranch_execnz .LBB2_4984
.LBB2_4994:                             ;   in Loop: Header=BB2_4879 Depth=2
	s_andn2_saveexec_b64 s[26:27], s[36:37]
	s_cbranch_execz .LBB2_5013
.LBB2_4995:                             ;   in Loop: Header=BB2_4879 Depth=2
	s_and_saveexec_b64 vcc, s[46:47]
	s_xor_b64 s[36:37], exec, vcc
	s_cbranch_execz .LBB2_5010
; %bb.4996:                             ;   in Loop: Header=BB2_4879 Depth=2
	s_and_saveexec_b64 s[60:61], s[16:17]
	s_cbranch_execz .LBB2_5009
; %bb.4997:                             ;   in Loop: Header=BB2_4879 Depth=2
	s_mov_b64 s[64:65], exec
	v_mbcnt_lo_u32_b32 v2, s64, 0
	v_mbcnt_hi_u32_b32 v2, s65, v2
	v_cmp_eq_u32_e32 vcc, 0, v2
	;;#ASMSTART
	s_waitcnt lgkmcnt(0) vmcnt(0)
	;;#ASMEND
	s_and_saveexec_b64 s[62:63], vcc
	s_cbranch_execz .LBB2_4999
; %bb.4998:                             ;   in Loop: Header=BB2_4879 Depth=2
	s_bcnt1_i32_b64 vcc_lo, s[64:65]
	v_mov_b32_e32 v60, vcc_lo
	ds_add_u64 v0, v[60:61]
	s_trap 2
.LBB2_4999:                             ;   in Loop: Header=BB2_4879 Depth=2
	s_or_b64 exec, exec, s[62:63]
	s_trap 2
	ds_read_b64 v[2:3], v0
	v_accvgpr_read_b32 v4, a14
	v_accvgpr_read_b32 v8, a22
	;; [unrolled: 1-line block ×3, first 2 shown]
	v_add_co_u32_e32 v4, vcc, v4, v8
	v_addc_co_u32_e32 v5, vcc, 0, v5, vcc
	v_accvgpr_write_b32 a15, v5
	v_accvgpr_write_b32 a14, v4
	s_waitcnt lgkmcnt(0)
	v_cmp_lt_u64_e32 vcc, v[2:3], v[4:5]
	s_and_saveexec_b64 s[62:63], vcc
	s_cbranch_execz .LBB2_5008
; %bb.5000:                             ;   in Loop: Header=BB2_4879 Depth=2
	s_mov_b32 s75, 0
	s_mov_b64 s[64:65], 0
                                        ; implicit-def: $sgpr66_sgpr67
                                        ; implicit-def: $sgpr68_sgpr69
	s_branch .LBB2_5002
.LBB2_5001:                             ;   in Loop: Header=BB2_5002 Depth=3
	s_or_b64 exec, exec, s[72:73]
	s_and_b64 vcc, exec, vcc
	s_or_b64 s[64:65], vcc, s[64:65]
	s_andn2_b64 vcc, s[66:67], exec
	s_and_b64 s[66:67], s[68:69], exec
	s_or_b64 s[66:67], vcc, s[66:67]
	s_andn2_b64 exec, exec, s[64:65]
	s_cbranch_execz .LBB2_5006
.LBB2_5002:                             ;   Parent Loop BB2_47 Depth=1
                                        ;     Parent Loop BB2_4879 Depth=2
                                        ; =>    This Inner Loop Header: Depth=3
	s_add_i32 s75, s75, 1
	s_cmpk_lg_i32 s75, 0x2710
	s_cselect_b64 s[70:71], -1, 0
	s_and_b64 vcc, exec, s[70:71]
                                        ; implicit-def: $sgpr72_sgpr73
	s_cbranch_vccnz .LBB2_5004
; %bb.5003:                             ;   in Loop: Header=BB2_5002 Depth=3
	s_trap 2
	ds_read_b64 v[2:3], v0
	s_andn2_b64 s[70:71], s[70:71], exec
	s_mov_b32 s75, 0
	s_mov_b64 s[72:73], -1
	s_waitcnt vmcnt(0) lgkmcnt(0)
	flat_load_dword v2, v[2:3] glc
	s_waitcnt vmcnt(0) lgkmcnt(0)
	buffer_invl2
	buffer_wbinvl1_vol
	v_cmp_eq_u32_e32 vcc, 0, v2
	s_and_b64 vcc, vcc, exec
	s_or_b64 s[70:71], s[70:71], vcc
.LBB2_5004:                             ;   in Loop: Header=BB2_5002 Depth=3
	s_andn2_b64 s[68:69], s[68:69], exec
	s_and_b64 s[72:73], s[72:73], exec
	s_mov_b64 vcc, -1
	s_or_b64 s[68:69], s[68:69], s[72:73]
	s_and_saveexec_b64 s[72:73], s[70:71]
	s_cbranch_execz .LBB2_5001
; %bb.5005:                             ;   in Loop: Header=BB2_5002 Depth=3
	s_sleep 1
	s_trap 2
	ds_read_b64 v[2:3], v0
	v_accvgpr_read_b32 v4, a14
	v_accvgpr_read_b32 v5, a15
	s_andn2_b64 s[68:69], s[68:69], exec
	s_waitcnt lgkmcnt(0)
	v_cmp_ge_u64_e32 vcc, v[2:3], v[4:5]
	s_orn2_b64 vcc, vcc, exec
	s_branch .LBB2_5001
.LBB2_5006:                             ;   in Loop: Header=BB2_4879 Depth=2
	s_or_b64 exec, exec, s[64:65]
	s_and_saveexec_b64 vcc, s[66:67]
	s_xor_b64 vcc, exec, vcc
	s_cbranch_execz .LBB2_5008
; %bb.5007:                             ;   in Loop: Header=BB2_4879 Depth=2
	v_mov_b32_e32 v2, 1
	ds_write_b32 v0, v2
	s_trap 2
.LBB2_5008:                             ;   in Loop: Header=BB2_4879 Depth=2
	s_or_b64 exec, exec, s[62:63]
	;;#ASMSTART
	s_wakeup
	;;#ASMEND
.LBB2_5009:                             ;   in Loop: Header=BB2_4879 Depth=2
	s_or_b64 exec, exec, s[60:61]
.LBB2_5010:                             ;   in Loop: Header=BB2_4879 Depth=2
	s_andn2_saveexec_b64 vcc, s[36:37]
	s_cbranch_execz .LBB2_5012
; %bb.5011:                             ;   in Loop: Header=BB2_4879 Depth=2
	;;#ASMSTART
	s_waitcnt lgkmcnt(0) vmcnt(0)
	;;#ASMEND
	s_barrier
.LBB2_5012:                             ;   in Loop: Header=BB2_4879 Depth=2
	s_or_b64 exec, exec, vcc
.LBB2_5013:                             ;   in Loop: Header=BB2_4879 Depth=2
	s_or_b64 exec, exec, s[26:27]
	v_and_b32_e32 v2, 32, v57
	v_cmp_ne_u32_e32 vcc, 0, v2
	s_and_saveexec_b64 s[26:27], vcc
	s_cbranch_execz .LBB2_4878
; %bb.5014:                             ;   in Loop: Header=BB2_4879 Depth=2
	v_add_co_u32_e32 v44, vcc, 2, v44
	v_addc_co_u32_e32 v45, vcc, 0, v45, vcc
	flat_store_dwordx2 v[48:49], v[44:45]
	s_branch .LBB2_4878
.LBB2_5015:                             ;   in Loop: Header=BB2_47 Depth=1
	s_or_b64 exec, exec, s[30:31]
.LBB2_5016:                             ;   in Loop: Header=BB2_47 Depth=1
	s_or_b64 exec, exec, s[28:29]
	v_cmp_gt_i32_e32 vcc, 2, v4
	s_and_saveexec_b64 s[28:29], vcc
	s_cbranch_execnz .LBB2_5017
; %bb.5131:                             ;   in Loop: Header=BB2_47 Depth=1
	s_getpc_b64 s[100:101]
.Lpost_getpc3:
	s_add_u32 s100, s100, (.LBB2_46-.Lpost_getpc3)&4294967295
	s_addc_u32 s101, s101, (.LBB2_46-.Lpost_getpc3)>>32
	s_setpc_b64 s[100:101]
.LBB2_5017:                             ;   in Loop: Header=BB2_47 Depth=1
	v_cmp_eq_u32_e64 s[26:27], 0, v4
	s_mov_b64 s[30:31], 0
	s_branch .LBB2_5019
.LBB2_5018:                             ;   in Loop: Header=BB2_5019 Depth=2
	s_or_b64 exec, exec, s[26:27]
	v_add_u32_e32 v10, v7, v10
	s_mov_b64 s[26:27], 0
	s_andn2_b64 exec, exec, s[30:31]
	s_cbranch_execnz .LBB2_5019
; %bb.5133:                             ;   in Loop: Header=BB2_47 Depth=1
	s_getpc_b64 s[100:101]
.Lpost_getpc4:
	s_add_u32 s100, s100, (.LBB2_45-.Lpost_getpc4)&4294967295
	s_addc_u32 s101, s101, (.LBB2_45-.Lpost_getpc4)>>32
	s_setpc_b64 s[100:101]
.LBB2_5019:                             ;   Parent Loop BB2_47 Depth=1
                                        ; =>  This Loop Header: Depth=2
                                        ;       Child Loop BB2_5025 Depth 3
                                        ;       Child Loop BB2_5049 Depth 3
	;; [unrolled: 1-line block ×3, first 2 shown]
	v_and_b32_e32 v1, 4, v57
	s_mov_b64 s[36:37], -1
	v_cmp_ne_u32_e32 vcc, 0, v1
	s_and_saveexec_b64 s[34:35], vcc
	s_cbranch_execz .LBB2_5031
; %bb.5020:                             ;   in Loop: Header=BB2_5019 Depth=2
	v_add_co_u32_e32 v2, vcc, 2, v44
	v_addc_co_u32_e32 v3, vcc, 0, v45, vcc
	v_cmp_lt_u64_e32 vcc, v[50:51], v[2:3]
	v_mov_b32_e32 v1, 1
	s_and_saveexec_b64 s[36:37], vcc
	s_cbranch_execz .LBB2_5030
; %bb.5021:                             ;   in Loop: Header=BB2_5019 Depth=2
	s_mov_b64 s[60:61], 0
	v_mov_b32_e32 v1, 0
                                        ; implicit-def: $sgpr62_sgpr63
	s_branch .LBB2_5025
.LBB2_5022:                             ;   in Loop: Header=BB2_5025 Depth=3
	s_or_b64 exec, exec, s[70:71]
	v_mov_b32_e32 v4, 0
	s_orn2_b64 s[68:69], s[68:69], exec
.LBB2_5023:                             ;   in Loop: Header=BB2_5025 Depth=3
	s_or_b64 exec, exec, s[66:67]
	s_andn2_b64 vcc, s[62:63], exec
	s_and_b64 s[62:63], s[68:69], exec
	s_or_b64 s[62:63], vcc, s[62:63]
	v_mov_b32_e32 v1, v4
.LBB2_5024:                             ;   in Loop: Header=BB2_5025 Depth=3
	s_or_b64 exec, exec, s[64:65]
	s_waitcnt vmcnt(0) lgkmcnt(0)
	v_cmp_ge_u64_e32 vcc, v[50:51], v[2:3]
	s_xor_b64 s[64:65], s[62:63], -1
	s_or_b64 vcc, s[64:65], vcc
	s_and_b64 vcc, exec, vcc
	s_or_b64 s[60:61], vcc, s[60:61]
	s_andn2_b64 exec, exec, s[60:61]
	s_cbranch_execz .LBB2_5029
.LBB2_5025:                             ;   Parent Loop BB2_47 Depth=1
                                        ;     Parent Loop BB2_5019 Depth=2
                                        ; =>    This Inner Loop Header: Depth=3
	s_sleep 1
	flat_load_dwordx2 v[50:51], v[48:49] glc
	v_and_b32_e32 v4, 64, v57
	v_cmp_eq_u32_e32 vcc, 0, v4
	s_andn2_b64 s[62:63], s[62:63], exec
	s_and_saveexec_b64 s[64:65], vcc
	s_cbranch_execz .LBB2_5024
; %bb.5026:                             ;   in Loop: Header=BB2_5025 Depth=3
	v_add_u32_e32 v4, 1, v1
	v_cmp_lt_i32_e32 vcc, s89, v1
	s_mov_b64 s[68:69], -1
	s_and_saveexec_b64 s[66:67], vcc
	s_cbranch_execz .LBB2_5023
; %bb.5027:                             ;   in Loop: Header=BB2_5025 Depth=3
	s_trap 2
	ds_read_b64 v[4:5], v0
	s_waitcnt vmcnt(0) lgkmcnt(0)
	flat_load_dword v1, v[4:5] glc
	s_waitcnt vmcnt(0) lgkmcnt(0)
	buffer_invl2
	buffer_wbinvl1_vol
	v_cmp_ne_u32_e32 vcc, 0, v1
	s_and_saveexec_b64 s[70:71], vcc
	s_cbranch_execz .LBB2_5022
; %bb.5028:                             ;   in Loop: Header=BB2_5025 Depth=3
	v_or_b32_e32 v57, 64, v57
	s_xor_b64 s[68:69], exec, -1
	ds_write_b32 v0, v1
	s_trap 2
	s_branch .LBB2_5022
.LBB2_5029:                             ;   in Loop: Header=BB2_5019 Depth=2
	s_or_b64 exec, exec, s[60:61]
	v_and_b32_e32 v1, 4, v57
.LBB2_5030:                             ;   in Loop: Header=BB2_5019 Depth=2
	s_or_b64 exec, exec, s[36:37]
	v_cmp_eq_u32_e32 vcc, 0, v1
	s_orn2_b64 s[36:37], vcc, exec
	;;#ASMSTART
	s_wakeup
	;;#ASMEND
.LBB2_5031:                             ;   in Loop: Header=BB2_5019 Depth=2
	s_or_b64 exec, exec, s[34:35]
	s_xor_b64 s[26:27], s[26:27], -1
	s_and_b64 s[26:27], exec, s[26:27]
	s_or_b64 s[30:31], s[26:27], s[30:31]
	s_xor_b64 s[26:27], s[36:37], -1
	s_and_saveexec_b64 s[34:35], s[26:27]
	s_cbranch_execz .LBB2_5041
; %bb.5032:                             ;   in Loop: Header=BB2_5019 Depth=2
	v_and_b32_e32 v1, 0x100, v57
	v_cmp_ne_u32_e32 vcc, 0, v1
	v_and_b32_e32 v1, 7, v44
	s_mov_b64 s[26:27], -1
                                        ; implicit-def: $vgpr2_vgpr3
	s_and_saveexec_b64 s[36:37], vcc
	s_cbranch_execz .LBB2_5036
; %bb.5033:                             ;   in Loop: Header=BB2_5019 Depth=2
	v_accvgpr_read_b32 v2, a12
	v_accvgpr_read_b32 v3, a13
	v_mad_u64_u32 v[4:5], s[26:27], v1, 24, v[2:3]
	flat_load_dword v2, v[4:5]
	s_waitcnt vmcnt(0) lgkmcnt(0)
	v_cmp_ne_u32_e32 vcc, 1, v2
	v_cmp_eq_u32_e64 s[26:27], 1, v2
                                        ; implicit-def: $vgpr2_vgpr3
	s_and_saveexec_b64 s[60:61], s[26:27]
	s_cbranch_execz .LBB2_5035
; %bb.5034:                             ;   in Loop: Header=BB2_5019 Depth=2
	flat_load_dword v2, v[4:5] offset:4 glc
	s_waitcnt vmcnt(0) lgkmcnt(0)
	v_ashrrev_i32_e32 v3, 31, v2
.LBB2_5035:                             ;   in Loop: Header=BB2_5019 Depth=2
	s_or_b64 exec, exec, s[60:61]
	s_orn2_b64 s[26:27], vcc, exec
.LBB2_5036:                             ;   in Loop: Header=BB2_5019 Depth=2
	s_or_b64 exec, exec, s[36:37]
	s_and_saveexec_b64 vcc, s[26:27]
; %bb.5037:                             ;   in Loop: Header=BB2_5019 Depth=2
	v_accvgpr_read_b32 v2, a16
	v_mad_i64_i32 v[2:3], s[26:27], v1, v2, 0
; %bb.5038:                             ;   in Loop: Header=BB2_5019 Depth=2
	s_or_b64 exec, exec, vcc
	v_accvgpr_read_b32 v4, a18
	v_accvgpr_read_b32 v5, a19
	v_add_co_u32_e32 v2, vcc, v4, v2
	v_addc_co_u32_e32 v3, vcc, v5, v3, vcc
	v_and_b32_e32 v1, 0x2000, v57
	v_cmp_ne_u32_e32 vcc, 0, v1
	ds_write_b64 v0, v[2:3] offset:720
	s_and_saveexec_b64 s[26:27], vcc
	s_cbranch_execz .LBB2_5040
; %bb.5039:                             ;   in Loop: Header=BB2_5019 Depth=2
	ds_read_b64 v[2:3], v0 offset:584
	s_waitcnt lgkmcnt(0)
	v_add_co_u32_e32 v2, vcc, 1, v2
	v_addc_co_u32_e32 v3, vcc, 0, v3, vcc
	ds_write_b64 v0, v[2:3] offset:584
.LBB2_5040:                             ;   in Loop: Header=BB2_5019 Depth=2
	s_or_b64 exec, exec, s[26:27]
	v_add_co_u32_e32 v44, vcc, 2, v44
	v_addc_co_u32_e32 v45, vcc, 0, v45, vcc
.LBB2_5041:                             ;   in Loop: Header=BB2_5019 Depth=2
	s_or_b64 exec, exec, s[34:35]
	s_and_saveexec_b64 s[26:27], s[10:11]
	s_cbranch_execz .LBB2_5060
; %bb.5042:                             ;   in Loop: Header=BB2_5019 Depth=2
	s_and_saveexec_b64 vcc, s[46:47]
	s_xor_b64 s[34:35], exec, vcc
	s_cbranch_execz .LBB2_5057
; %bb.5043:                             ;   in Loop: Header=BB2_5019 Depth=2
	s_and_saveexec_b64 s[36:37], s[16:17]
	s_cbranch_execz .LBB2_5056
; %bb.5044:                             ;   in Loop: Header=BB2_5019 Depth=2
	s_mov_b64 s[62:63], exec
	v_mbcnt_lo_u32_b32 v1, s62, 0
	v_mbcnt_hi_u32_b32 v1, s63, v1
	v_cmp_eq_u32_e32 vcc, 0, v1
	s_waitcnt vmcnt(0) lgkmcnt(0)
	buffer_wbinvl1_vol
	s_and_saveexec_b64 s[60:61], vcc
	s_cbranch_execz .LBB2_5046
; %bb.5045:                             ;   in Loop: Header=BB2_5019 Depth=2
	s_bcnt1_i32_b64 vcc_lo, s[62:63]
	v_mov_b32_e32 v60, vcc_lo
	ds_add_u64 v0, v[60:61]
	s_trap 2
.LBB2_5046:                             ;   in Loop: Header=BB2_5019 Depth=2
	s_or_b64 exec, exec, s[60:61]
	s_trap 2
	ds_read_b64 v[2:3], v0
	v_accvgpr_read_b32 v4, a14
	v_accvgpr_read_b32 v8, a22
	;; [unrolled: 1-line block ×3, first 2 shown]
	v_add_co_u32_e32 v4, vcc, v4, v8
	v_addc_co_u32_e32 v5, vcc, 0, v5, vcc
	v_accvgpr_write_b32 a15, v5
	v_accvgpr_write_b32 a14, v4
	s_waitcnt lgkmcnt(0)
	v_cmp_lt_u64_e32 vcc, v[2:3], v[4:5]
	s_and_saveexec_b64 s[60:61], vcc
	s_cbranch_execz .LBB2_5055
; %bb.5047:                             ;   in Loop: Header=BB2_5019 Depth=2
	s_mov_b32 s72, 0
	s_mov_b64 s[62:63], 0
                                        ; implicit-def: $sgpr64_sgpr65
                                        ; implicit-def: $sgpr66_sgpr67
	s_branch .LBB2_5049
.LBB2_5048:                             ;   in Loop: Header=BB2_5049 Depth=3
	s_or_b64 exec, exec, s[70:71]
	s_and_b64 vcc, exec, vcc
	s_or_b64 s[62:63], vcc, s[62:63]
	s_andn2_b64 vcc, s[64:65], exec
	s_and_b64 s[64:65], s[66:67], exec
	s_or_b64 s[64:65], vcc, s[64:65]
	s_andn2_b64 exec, exec, s[62:63]
	s_cbranch_execz .LBB2_5053
.LBB2_5049:                             ;   Parent Loop BB2_47 Depth=1
                                        ;     Parent Loop BB2_5019 Depth=2
                                        ; =>    This Inner Loop Header: Depth=3
	s_add_i32 s72, s72, 1
	s_cmpk_lg_i32 s72, 0x2710
	s_cselect_b64 s[68:69], -1, 0
	s_and_b64 vcc, exec, s[68:69]
                                        ; implicit-def: $sgpr70_sgpr71
	s_cbranch_vccnz .LBB2_5051
; %bb.5050:                             ;   in Loop: Header=BB2_5049 Depth=3
	s_trap 2
	ds_read_b64 v[2:3], v0
	s_andn2_b64 s[68:69], s[68:69], exec
	s_mov_b32 s72, 0
	s_mov_b64 s[70:71], -1
	s_waitcnt lgkmcnt(0)
	flat_load_dword v1, v[2:3] glc
	s_waitcnt vmcnt(0) lgkmcnt(0)
	buffer_invl2
	buffer_wbinvl1_vol
	v_cmp_eq_u32_e32 vcc, 0, v1
	s_and_b64 vcc, vcc, exec
	s_or_b64 s[68:69], s[68:69], vcc
.LBB2_5051:                             ;   in Loop: Header=BB2_5049 Depth=3
	s_andn2_b64 s[66:67], s[66:67], exec
	s_and_b64 s[70:71], s[70:71], exec
	s_mov_b64 vcc, -1
	s_or_b64 s[66:67], s[66:67], s[70:71]
	s_and_saveexec_b64 s[70:71], s[68:69]
	s_cbranch_execz .LBB2_5048
; %bb.5052:                             ;   in Loop: Header=BB2_5049 Depth=3
	s_sleep 1
	s_trap 2
	ds_read_b64 v[2:3], v0
	v_accvgpr_read_b32 v4, a14
	v_accvgpr_read_b32 v5, a15
	s_andn2_b64 s[66:67], s[66:67], exec
	s_waitcnt lgkmcnt(0)
	v_cmp_ge_u64_e32 vcc, v[2:3], v[4:5]
	s_orn2_b64 vcc, vcc, exec
	s_branch .LBB2_5048
.LBB2_5053:                             ;   in Loop: Header=BB2_5019 Depth=2
	s_or_b64 exec, exec, s[62:63]
	s_and_saveexec_b64 vcc, s[64:65]
	s_xor_b64 vcc, exec, vcc
	s_cbranch_execz .LBB2_5055
; %bb.5054:                             ;   in Loop: Header=BB2_5019 Depth=2
	v_mov_b32_e32 v1, 1
	ds_write_b32 v0, v1
	s_trap 2
.LBB2_5055:                             ;   in Loop: Header=BB2_5019 Depth=2
	s_or_b64 exec, exec, s[60:61]
	;;#ASMSTART
	s_wakeup
	;;#ASMEND
.LBB2_5056:                             ;   in Loop: Header=BB2_5019 Depth=2
	s_or_b64 exec, exec, s[36:37]
.LBB2_5057:                             ;   in Loop: Header=BB2_5019 Depth=2
	s_andn2_saveexec_b64 vcc, s[34:35]
	s_cbranch_execz .LBB2_5059
; %bb.5058:                             ;   in Loop: Header=BB2_5019 Depth=2
	s_waitcnt vmcnt(0) lgkmcnt(0)
	buffer_wbinvl1_vol
	s_barrier
.LBB2_5059:                             ;   in Loop: Header=BB2_5019 Depth=2
	s_or_b64 exec, exec, vcc
.LBB2_5060:                             ;   in Loop: Header=BB2_5019 Depth=2
	s_or_b64 exec, exec, s[26:27]
	v_sub_u32_e32 v1, v6, v10
	v_min_i32_e32 v7, v7, v1
	s_and_saveexec_b64 s[26:27], s[24:25]
	s_xor_b64 s[26:27], exec, s[26:27]
	s_cbranch_execz .LBB2_5064
; %bb.5061:                             ;   in Loop: Header=BB2_5019 Depth=2
	s_trap 2
	ds_read_b32 v1, v0
	v_cmp_lt_i32_e32 vcc, 0, v7
	v_and_b32_e32 v2, 16, v57
	s_waitcnt lgkmcnt(0)
	v_readfirstlane_b32 s34, v1
	s_cmp_eq_u32 s34, 0
	s_cselect_b64 s[34:35], -1, 0
	s_and_b64 s[34:35], vcc, s[34:35]
	v_cmp_ne_u32_e32 vcc, 0, v2
	s_and_b64 s[34:35], vcc, s[34:35]
	s_and_saveexec_b64 vcc, s[34:35]
	s_cbranch_execz .LBB2_5063
; %bb.5062:                             ;   in Loop: Header=BB2_5019 Depth=2
	s_waitcnt vmcnt(0)
	buffer_wbinvl1_vol
.LBB2_5063:                             ;   in Loop: Header=BB2_5019 Depth=2
	s_or_b64 exec, exec, vcc
.LBB2_5064:                             ;   in Loop: Header=BB2_5019 Depth=2
	s_andn2_saveexec_b64 s[26:27], s[26:27]
	s_cbranch_execz .LBB2_5083
; %bb.5065:                             ;   in Loop: Header=BB2_5019 Depth=2
	s_and_saveexec_b64 vcc, s[46:47]
	s_xor_b64 s[34:35], exec, vcc
	s_cbranch_execz .LBB2_5080
; %bb.5066:                             ;   in Loop: Header=BB2_5019 Depth=2
	s_and_saveexec_b64 s[36:37], s[16:17]
	s_cbranch_execz .LBB2_5079
; %bb.5067:                             ;   in Loop: Header=BB2_5019 Depth=2
	s_mov_b64 s[62:63], exec
	v_mbcnt_lo_u32_b32 v1, s62, 0
	v_mbcnt_hi_u32_b32 v1, s63, v1
	v_cmp_eq_u32_e32 vcc, 0, v1
	;;#ASMSTART
	s_waitcnt lgkmcnt(0) vmcnt(0)
	;;#ASMEND
	s_and_saveexec_b64 s[60:61], vcc
	s_cbranch_execz .LBB2_5069
; %bb.5068:                             ;   in Loop: Header=BB2_5019 Depth=2
	s_bcnt1_i32_b64 vcc_lo, s[62:63]
	v_mov_b32_e32 v60, vcc_lo
	ds_add_u64 v0, v[60:61]
	s_trap 2
.LBB2_5069:                             ;   in Loop: Header=BB2_5019 Depth=2
	s_or_b64 exec, exec, s[60:61]
	s_trap 2
	ds_read_b64 v[2:3], v0
	v_accvgpr_read_b32 v4, a14
	v_accvgpr_read_b32 v8, a22
	;; [unrolled: 1-line block ×3, first 2 shown]
	v_add_co_u32_e32 v4, vcc, v4, v8
	v_addc_co_u32_e32 v5, vcc, 0, v5, vcc
	v_accvgpr_write_b32 a15, v5
	v_accvgpr_write_b32 a14, v4
	s_waitcnt lgkmcnt(0)
	v_cmp_lt_u64_e32 vcc, v[2:3], v[4:5]
	s_and_saveexec_b64 s[60:61], vcc
	s_cbranch_execz .LBB2_5078
; %bb.5070:                             ;   in Loop: Header=BB2_5019 Depth=2
	s_mov_b32 s72, 0
	s_mov_b64 s[62:63], 0
                                        ; implicit-def: $sgpr64_sgpr65
                                        ; implicit-def: $sgpr66_sgpr67
	s_branch .LBB2_5072
.LBB2_5071:                             ;   in Loop: Header=BB2_5072 Depth=3
	s_or_b64 exec, exec, s[70:71]
	s_and_b64 vcc, exec, vcc
	s_or_b64 s[62:63], vcc, s[62:63]
	s_andn2_b64 vcc, s[64:65], exec
	s_and_b64 s[64:65], s[66:67], exec
	s_or_b64 s[64:65], vcc, s[64:65]
	s_andn2_b64 exec, exec, s[62:63]
	s_cbranch_execz .LBB2_5076
.LBB2_5072:                             ;   Parent Loop BB2_47 Depth=1
                                        ;     Parent Loop BB2_5019 Depth=2
                                        ; =>    This Inner Loop Header: Depth=3
	s_add_i32 s72, s72, 1
	s_cmpk_lg_i32 s72, 0x2710
	s_cselect_b64 s[68:69], -1, 0
	s_and_b64 vcc, exec, s[68:69]
                                        ; implicit-def: $sgpr70_sgpr71
	s_cbranch_vccnz .LBB2_5074
; %bb.5073:                             ;   in Loop: Header=BB2_5072 Depth=3
	s_trap 2
	ds_read_b64 v[2:3], v0
	s_andn2_b64 s[68:69], s[68:69], exec
	s_mov_b32 s72, 0
	s_mov_b64 s[70:71], -1
	s_waitcnt vmcnt(0) lgkmcnt(0)
	flat_load_dword v1, v[2:3] glc
	s_waitcnt vmcnt(0) lgkmcnt(0)
	buffer_invl2
	buffer_wbinvl1_vol
	v_cmp_eq_u32_e32 vcc, 0, v1
	s_and_b64 vcc, vcc, exec
	s_or_b64 s[68:69], s[68:69], vcc
.LBB2_5074:                             ;   in Loop: Header=BB2_5072 Depth=3
	s_andn2_b64 s[66:67], s[66:67], exec
	s_and_b64 s[70:71], s[70:71], exec
	s_mov_b64 vcc, -1
	s_or_b64 s[66:67], s[66:67], s[70:71]
	s_and_saveexec_b64 s[70:71], s[68:69]
	s_cbranch_execz .LBB2_5071
; %bb.5075:                             ;   in Loop: Header=BB2_5072 Depth=3
	s_sleep 1
	s_trap 2
	ds_read_b64 v[2:3], v0
	v_accvgpr_read_b32 v4, a14
	v_accvgpr_read_b32 v5, a15
	s_andn2_b64 s[66:67], s[66:67], exec
	s_waitcnt lgkmcnt(0)
	v_cmp_ge_u64_e32 vcc, v[2:3], v[4:5]
	s_orn2_b64 vcc, vcc, exec
	s_branch .LBB2_5071
.LBB2_5076:                             ;   in Loop: Header=BB2_5019 Depth=2
	s_or_b64 exec, exec, s[62:63]
	s_and_saveexec_b64 vcc, s[64:65]
	s_xor_b64 vcc, exec, vcc
	s_cbranch_execz .LBB2_5078
; %bb.5077:                             ;   in Loop: Header=BB2_5019 Depth=2
	v_mov_b32_e32 v1, 1
	ds_write_b32 v0, v1
	s_trap 2
.LBB2_5078:                             ;   in Loop: Header=BB2_5019 Depth=2
	s_or_b64 exec, exec, s[60:61]
	;;#ASMSTART
	s_wakeup
	;;#ASMEND
.LBB2_5079:                             ;   in Loop: Header=BB2_5019 Depth=2
	s_or_b64 exec, exec, s[36:37]
.LBB2_5080:                             ;   in Loop: Header=BB2_5019 Depth=2
	s_andn2_saveexec_b64 vcc, s[34:35]
	s_cbranch_execz .LBB2_5082
; %bb.5081:                             ;   in Loop: Header=BB2_5019 Depth=2
	;;#ASMSTART
	s_waitcnt lgkmcnt(0) vmcnt(0)
	;;#ASMEND
	s_barrier
.LBB2_5082:                             ;   in Loop: Header=BB2_5019 Depth=2
	s_or_b64 exec, exec, vcc
.LBB2_5083:                             ;   in Loop: Header=BB2_5019 Depth=2
	s_or_b64 exec, exec, s[26:27]
	v_and_b32_e32 v1, 32, v57
	v_cmp_ne_u32_e32 vcc, 0, v1
	s_and_saveexec_b64 s[26:27], vcc
	s_cbranch_execz .LBB2_5018
; %bb.5084:                             ;   in Loop: Header=BB2_5019 Depth=2
	v_add_co_u32_e32 v44, vcc, 2, v44
	v_addc_co_u32_e32 v45, vcc, 0, v45, vcc
	flat_store_dwordx2 v[48:49], v[44:45]
	s_branch .LBB2_5018
.LBB2_5085:
	s_or_b64 exec, exec, s[42:43]
	v_accvgpr_read_b32 v21, a11
	v_accvgpr_read_b32 v18, a0
	;; [unrolled: 1-line block ×4, first 2 shown]
.LBB2_5086:
	s_or_b64 exec, exec, s[40:41]
	v_and_b32_e32 v0, 0x800, v57
	v_cmp_eq_u32_e32 vcc, 0, v0
	s_and_saveexec_b64 s[4:5], vcc
	s_cbranch_execz .LBB2_5121
; %bb.5087:
	v_and_b32_e32 v0, 48, v57
	v_cmp_ne_u32_e32 vcc, 0, v0
	s_and_saveexec_b64 s[6:7], vcc
	s_cbranch_execz .LBB2_5089
; %bb.5088:
	flat_store_dwordx2 v[20:21], v[44:45] offset:104
.LBB2_5089:
	s_or_b64 exec, exec, s[6:7]
	s_movk_i32 s6, 0x88
	v_and_b32_e32 v0, 0x88, v57
	v_cmp_eq_u32_e32 vcc, s6, v0
	s_and_saveexec_b64 s[6:7], vcc
	s_cbranch_execz .LBB2_5101
; %bb.5090:
	v_add_u32_e32 v0, 6, v44
	v_accvgpr_read_b32 v2, a12
	v_and_b32_e32 v0, 7, v0
	v_accvgpr_read_b32 v3, a13
	v_mad_u64_u32 v[0:1], s[10:11], v0, 24, v[2:3]
	v_add_co_u32_e32 v2, vcc, 8, v0
	v_addc_co_u32_e32 v3, vcc, 0, v1, vcc
	s_mov_b64 s[10:11], 0
	v_mov_b32_e32 v0, 0
	s_movk_i32 s24, 0x270e
                                        ; implicit-def: $sgpr12_sgpr13
	s_branch .LBB2_5095
.LBB2_5091:                             ;   in Loop: Header=BB2_5095 Depth=1
	s_or_b64 exec, exec, s[22:23]
	v_mov_b32_e32 v1, 0
	s_orn2_b64 s[20:21], s[20:21], exec
.LBB2_5092:                             ;   in Loop: Header=BB2_5095 Depth=1
	s_or_b64 exec, exec, s[18:19]
	s_and_b64 s[18:19], s[20:21], exec
	v_mov_b32_e32 v0, v1
.LBB2_5093:                             ;   in Loop: Header=BB2_5095 Depth=1
	s_or_b64 exec, exec, s[16:17]
	s_xor_b64 s[16:17], s[18:19], -1
	s_andn2_b64 s[12:13], s[12:13], exec
	s_and_b64 s[16:17], s[16:17], exec
	s_or_b64 s[12:13], s[12:13], s[16:17]
.LBB2_5094:                             ;   in Loop: Header=BB2_5095 Depth=1
	s_or_b64 exec, exec, s[14:15]
	s_and_b64 s[14:15], exec, s[12:13]
	s_or_b64 s[10:11], s[14:15], s[10:11]
	s_andn2_b64 exec, exec, s[10:11]
	s_cbranch_execz .LBB2_5100
.LBB2_5095:                             ; =>This Inner Loop Header: Depth=1
	flat_load_dwordx2 v[4:5], v[2:3] glc
	s_waitcnt vmcnt(0)
	s_or_b64 s[12:13], s[12:13], exec
	s_waitcnt lgkmcnt(0)
	v_cmp_ne_u64_e32 vcc, -1, v[4:5]
	s_and_saveexec_b64 s[14:15], vcc
	s_cbranch_execz .LBB2_5094
; %bb.5096:                             ;   in Loop: Header=BB2_5095 Depth=1
	v_and_b32_e32 v1, 64, v57
	v_cmp_eq_u32_e32 vcc, 0, v1
	s_mov_b64 s[18:19], 0
	s_and_saveexec_b64 s[16:17], vcc
	s_cbranch_execz .LBB2_5093
; %bb.5097:                             ;   in Loop: Header=BB2_5095 Depth=1
	v_add_u32_e32 v1, 1, v0
	v_cmp_lt_i32_e32 vcc, s24, v0
	s_mov_b64 s[20:21], -1
	s_and_saveexec_b64 s[18:19], vcc
	s_cbranch_execz .LBB2_5092
; %bb.5098:                             ;   in Loop: Header=BB2_5095 Depth=1
	s_trap 2
	ds_read_b64 v[0:1], v0
	s_waitcnt lgkmcnt(0)
	flat_load_dword v0, v[0:1] glc
	s_waitcnt vmcnt(0) lgkmcnt(0)
	buffer_invl2
	buffer_wbinvl1_vol
	v_cmp_ne_u32_e32 vcc, 0, v0
	s_and_saveexec_b64 s[22:23], vcc
	s_cbranch_execz .LBB2_5091
; %bb.5099:                             ;   in Loop: Header=BB2_5095 Depth=1
	v_or_b32_e32 v57, 64, v57
	s_xor_b64 s[20:21], exec, -1
	ds_write_b32 v0, v0
	s_trap 2
	s_branch .LBB2_5091
.LBB2_5100:
	s_or_b64 exec, exec, s[10:11]
.LBB2_5101:
	s_or_b64 exec, exec, s[6:7]
	v_and_b32_e32 v0, 0x2000, v57
	v_cmp_ne_u32_e32 vcc, 0, v0
	s_and_saveexec_b64 s[6:7], vcc
	s_cbranch_execz .LBB2_5103
; %bb.5102:
	s_trap 2
	ds_read_b64 v[0:1], v0
	v_accvgpr_read_b32 v2, a8
	v_accvgpr_read_b32 v3, a9
	s_waitcnt lgkmcnt(0)
	flat_store_dwordx2 v[2:3], v[0:1] offset:16
.LBB2_5103:
	s_or_b64 exec, exec, s[6:7]
	v_cmp_ne_u32_e32 vcc, 64, v18
	s_and_b64 exec, exec, vcc
	s_cbranch_execz .LBB2_5121
; %bb.5104:
	v_accvgpr_read_b32 v0, a2
	v_cmp_ne_u32_sdwa s[6:7], v0, v18 src0_sel:WORD_0 src1_sel:DWORD
	s_and_saveexec_b64 s[10:11], s[6:7]
	s_xor_b64 s[6:7], exec, s[10:11]
	s_cbranch_execz .LBB2_5119
; %bb.5105:
	v_and_b32_e32 v0, 63, v31
	v_cmp_eq_u32_e32 vcc, 0, v0
	s_and_saveexec_b64 s[10:11], vcc
	s_cbranch_execz .LBB2_5118
; %bb.5106:
	s_mov_b64 s[14:15], exec
	v_mbcnt_lo_u32_b32 v0, s14, 0
	v_mbcnt_hi_u32_b32 v0, s15, v0
	v_cmp_eq_u32_e32 vcc, 0, v0
	s_waitcnt vmcnt(0) lgkmcnt(0)
	buffer_wbinvl1_vol
	s_and_saveexec_b64 s[12:13], vcc
	s_cbranch_execz .LBB2_5108
; %bb.5107:
	s_bcnt1_i32_b64 s14, s[14:15]
	v_mov_b32_e32 v0, s14
	v_mov_b32_e32 v1, 0
	ds_add_u64 v0, v[0:1]
	s_trap 2
.LBB2_5108:
	s_or_b64 exec, exec, s[12:13]
	v_ashrrev_i32_e32 v0, 31, v18
	v_lshrrev_b32_e32 v0, 26, v0
	v_add_u32_e32 v0, v18, v0
	v_ashrrev_i32_e32 v0, 6, v0
	s_trap 2
	ds_read_b64 v[2:3], v0
	v_accvgpr_read_b32 v4, a14
	v_ashrrev_i32_e32 v1, 31, v0
	v_accvgpr_read_b32 v5, a15
	v_add_co_u32_e32 v0, vcc, v4, v0
	v_addc_co_u32_e32 v1, vcc, v5, v1, vcc
	s_waitcnt lgkmcnt(0)
	v_cmp_lt_u64_e32 vcc, v[2:3], v[0:1]
	s_and_saveexec_b64 s[12:13], vcc
	s_cbranch_execz .LBB2_5117
; %bb.5109:
	s_mov_b32 s26, 0
	s_mov_b64 s[14:15], 0
                                        ; implicit-def: $sgpr16_sgpr17
                                        ; implicit-def: $sgpr18_sgpr19
	s_branch .LBB2_5111
.LBB2_5110:                             ;   in Loop: Header=BB2_5111 Depth=1
	s_or_b64 exec, exec, s[24:25]
	s_and_b64 s[20:21], exec, s[22:23]
	s_or_b64 s[14:15], s[20:21], s[14:15]
	s_andn2_b64 s[16:17], s[16:17], exec
	s_and_b64 s[20:21], s[18:19], exec
	s_or_b64 s[16:17], s[16:17], s[20:21]
	s_andn2_b64 exec, exec, s[14:15]
	s_cbranch_execz .LBB2_5115
.LBB2_5111:                             ; =>This Inner Loop Header: Depth=1
	s_add_i32 s26, s26, 1
	s_cmpk_lg_i32 s26, 0x2710
	s_cselect_b64 s[20:21], -1, 0
	s_and_b64 vcc, exec, s[20:21]
                                        ; implicit-def: $sgpr24_sgpr25
	s_cbranch_vccnz .LBB2_5113
; %bb.5112:                             ;   in Loop: Header=BB2_5111 Depth=1
	s_trap 2
	ds_read_b64 v[2:3], v0
	s_andn2_b64 s[20:21], s[20:21], exec
	s_mov_b32 s26, 0
	s_mov_b64 s[24:25], -1
	s_waitcnt lgkmcnt(0)
	flat_load_dword v2, v[2:3] glc
	s_waitcnt vmcnt(0) lgkmcnt(0)
	buffer_invl2
	buffer_wbinvl1_vol
	v_cmp_eq_u32_e32 vcc, 0, v2
	s_and_b64 s[22:23], vcc, exec
	s_or_b64 s[20:21], s[20:21], s[22:23]
.LBB2_5113:                             ;   in Loop: Header=BB2_5111 Depth=1
	s_andn2_b64 s[18:19], s[18:19], exec
	s_and_b64 s[24:25], s[24:25], exec
	s_mov_b64 s[22:23], -1
	s_or_b64 s[18:19], s[18:19], s[24:25]
	s_and_saveexec_b64 s[24:25], s[20:21]
	s_cbranch_execz .LBB2_5110
; %bb.5114:                             ;   in Loop: Header=BB2_5111 Depth=1
	s_sleep 1
	s_trap 2
	ds_read_b64 v[2:3], v0
	s_andn2_b64 s[18:19], s[18:19], exec
	s_waitcnt lgkmcnt(0)
	v_cmp_ge_u64_e32 vcc, v[2:3], v[0:1]
	s_orn2_b64 s[22:23], vcc, exec
	s_branch .LBB2_5110
.LBB2_5115:
	s_or_b64 exec, exec, s[14:15]
	s_and_saveexec_b64 s[14:15], s[16:17]
	s_xor_b64 s[14:15], exec, s[14:15]
	s_cbranch_execz .LBB2_5117
; %bb.5116:
	v_mov_b32_e32 v0, 1
	ds_write_b32 v0, v0
	s_trap 2
.LBB2_5117:
	s_or_b64 exec, exec, s[12:13]
	;;#ASMSTART
	s_wakeup
	;;#ASMEND
.LBB2_5118:
	s_or_b64 exec, exec, s[10:11]
.LBB2_5119:
	s_andn2_saveexec_b64 s[6:7], s[6:7]
	s_cbranch_execz .LBB2_5121
; %bb.5120:
	s_waitcnt vmcnt(0) lgkmcnt(0)
	buffer_wbinvl1_vol
	s_barrier
.LBB2_5121:
	s_or_b64 exec, exec, s[4:5]
.LBB2_5122:
	s_andn2_saveexec_b64 s[26:27], s[38:39]
	s_cbranch_execz .LBB2_5124
; %bb.5123:
	s_getpc_b64 s[4:5]
	s_add_u32 s4, s4, __PRETTY_FUNCTION__._ZN10PrimitivesI14__hip_fp8_e4m37FuncSumIS0_E12FanSymmetricILi1EELi0E11ProtoSimpleILi2ELi2ELi0ELi1ELi0ELi0EELi0ELb0ELi0ELi0ELi0EEC2EiiPKiS9_PKvPvmhhhP15ncclDevWorkCollP14ncclDevWorkP2pii@rel32@lo+4
	s_addc_u32 s5, s5, __PRETTY_FUNCTION__._ZN10PrimitivesI14__hip_fp8_e4m37FuncSumIS0_E12FanSymmetricILi1EELi0E11ProtoSimpleILi2ELi2ELi0ELi1ELi0ELi0EELi0ELb0ELi0ELi0ELi0EEC2EiiPKiS9_PKvPvmhhhP15ncclDevWorkCollP14ncclDevWorkP2pii@rel32@hi+12
	v_mov_b32_e32 v0, s4
	v_mov_b32_e32 v1, s5
	s_getpc_b64 s[6:7]
	s_add_u32 s6, s6, __assert_fail@rel32@lo+4
	s_addc_u32 s7, s7, __assert_fail@rel32@hi+12
	s_swappc_b64 s[30:31], s[6:7]
	; divergent unreachable
.LBB2_5124:
	s_or_b64 exec, exec, s[26:27]
	buffer_load_dword a61, off, s[0:3], s33 ; 4-byte Folded Reload
	buffer_load_dword a60, off, s[0:3], s33 offset:4 ; 4-byte Folded Reload
	buffer_load_dword a59, off, s[0:3], s33 offset:8 ; 4-byte Folded Reload
	;; [unrolled: 1-line block ×43, first 2 shown]
	v_readlane_b32 s30, v62, 0
	v_readlane_b32 s31, v62, 1
	;; [unrolled: 1-line block ×67, first 2 shown]
	s_or_saveexec_b64 s[6:7], -1
	buffer_load_dword v63, off, s[0:3], s33 offset:188 ; 4-byte Folded Reload
	buffer_load_dword v62, off, s[0:3], s33 offset:192 ; 4-byte Folded Reload
	s_mov_b64 exec, s[6:7]
	s_addk_i32 s32, 0xcc00
	s_mov_b32 s33, s4
	s_waitcnt vmcnt(0) lgkmcnt(0)
	s_setpc_b64 s[30:31]
.Lfunc_end2:
	.size	_ZN12_GLOBAL__N_17runRingI14__hip_fp8_e4m37FuncSumIS1_E11ProtoSimpleILi2ELi2ELi0ELi1ELi0ELi0EELi0ELi0ELi1ELi0EEEviiP15ncclDevWorkColl, .Lfunc_end2-_ZN12_GLOBAL__N_17runRingI14__hip_fp8_e4m37FuncSumIS1_E11ProtoSimpleILi2ELi2ELi0ELi1ELi0ELi0EELi0ELi0ELi1ELi0EEEviiP15ncclDevWorkColl
                                        ; -- End function
	.section	.AMDGPU.csdata,"",@progbits
; Function info:
; codeLenInByte = 166956
; NumSgprs: 106
; NumVgprs: 64
; NumAgprs: 62
; TotalNumVgprs: 126
; ScratchSize: 272
; MemoryBound: 1
	.text
	.p2align	2                               ; -- Begin function _Z50ncclDevFunc_AllReduce_RING_SIMPLE_Sum_f8e4m3_0_0_1v
	.type	_Z50ncclDevFunc_AllReduce_RING_SIMPLE_Sum_f8e4m3_0_0_1v,@function
_Z50ncclDevFunc_AllReduce_RING_SIMPLE_Sum_f8e4m3_0_0_1v: ; @_Z50ncclDevFunc_AllReduce_RING_SIMPLE_Sum_f8e4m3_0_0_1v
; %bb.0:
	s_waitcnt vmcnt(0) expcnt(0) lgkmcnt(0)
	s_mov_b32 s4, s33
	s_mov_b32 s33, s32
	s_or_saveexec_b64 s[6:7], -1
	buffer_store_dword a32, off, s[0:3], s33 offset:16 ; 4-byte Folded Spill
	buffer_store_dword v63, off, s[0:3], s33 offset:20 ; 4-byte Folded Spill
	;; [unrolled: 1-line block ×5, first 2 shown]
	s_mov_b64 exec, s[6:7]
	v_writelane_b32 v45, s4, 8
	v_writelane_b32 v45, s100, 6
	;; [unrolled: 1-line block ×3, first 2 shown]
	s_addk_i32 s32, 0xc00
	buffer_store_dword v40, off, s[0:3], s33 offset:12 ; 4-byte Folded Spill
	buffer_store_dword v41, off, s[0:3], s33 offset:8 ; 4-byte Folded Spill
	;; [unrolled: 1-line block ×3, first 2 shown]
	buffer_store_dword v62, off, s[0:3], s33 ; 4-byte Folded Spill
	v_writelane_b32 v44, s34, 0
	v_writelane_b32 v44, s35, 1
	;; [unrolled: 1-line block ×70, first 2 shown]
	s_trap 2
	ds_read_b32 v0, v0
                                        ; implicit-def: $vgpr43 : SGPR spill to VGPR lane
	v_mov_b32_e32 v40, v31
	s_mov_b32 s99, s12
	v_writelane_b32 v43, s8, 0
	v_writelane_b32 v43, s9, 1
	s_waitcnt lgkmcnt(0)
	v_cmp_gt_i32_e32 vcc, 1, v0
	s_cbranch_vccnz .LBB3_8
; %bb.1:
	s_mov_b32 s98, 0
	v_and_b32_e32 v41, 0x3ff, v40
	v_mov_b32_e32 v42, 6
	s_branch .LBB3_3
.LBB3_2:                                ;   in Loop: Header=BB3_3 Depth=1
	s_or_b64 exec, exec, s[6:7]
	s_trap 2
	ds_read_b32 v0, v0
	s_add_i32 s98, s98, 1
	s_waitcnt lgkmcnt(0)
	v_cmp_lt_i32_e32 vcc, s98, v0
	s_cbranch_vccz .LBB3_8
.LBB3_3:                                ; =>This Inner Loop Header: Depth=1
	s_trap 2
	ds_read_b32 v0, v0
	s_cmp_eq_u32 s98, 0
	s_cbranch_scc1 .LBB3_6
; %bb.4:                                ;   in Loop: Header=BB3_3 Depth=1
	s_trap 2
	s_waitcnt lgkmcnt(0)
	ds_read_b32 v1, v0
	s_waitcnt lgkmcnt(0)
	v_xor_b32_e32 v1, v1, v0
	v_and_b32_e32 v1, 0xff0000, v1
	v_cmp_eq_u32_e32 vcc, 0, v1
	s_cbranch_vccnz .LBB3_6
; %bb.5:                                ;   in Loop: Header=BB3_3 Depth=1
	s_barrier
	ds_read_b32 v0, v0
.LBB3_6:                                ;   in Loop: Header=BB3_3 Depth=1
	s_waitcnt lgkmcnt(0)
	v_lshlrev_b32_sdwa v1, v42, v0 dst_sel:DWORD dst_unused:UNUSED_PAD src0_sel:DWORD src1_sel:BYTE_2
	v_cmp_lt_u32_e32 vcc, v41, v1
	s_and_saveexec_b64 s[6:7], vcc
	s_cbranch_execz .LBB3_2
; %bb.7:                                ;   in Loop: Header=BB3_3 Depth=1
	v_readlane_b32 s8, v43, 0
	v_readlane_b32 s9, v43, 1
	v_writelane_b32 v43, s6, 2
	v_writelane_b32 v43, s7, 3
	s_mov_b64 s[6:7], src_shared_base
	s_getpc_b64 s[4:5]
	s_add_u32 s4, s4, _ZN12_GLOBAL__N_17runRingI14__hip_fp8_e4m37FuncSumIS1_E11ProtoSimpleILi2ELi2ELi0ELi1ELi0ELi0EELi0ELi0ELi1ELi0EEEviiP15ncclDevWorkColl@rel32@lo+4
	s_addc_u32 s5, s5, _ZN12_GLOBAL__N_17runRingI14__hip_fp8_e4m37FuncSumIS1_E11ProtoSimpleILi2ELi2ELi0ELi1ELi0ELi0EELi0ELi0ELi1ELi0EEEviiP15ncclDevWorkColl@rel32@hi+12
	s_mov_b32 s12, s99
	v_mov_b32_e32 v31, v40
	v_mov_b32_e32 v0, v41
	;; [unrolled: 1-line block ×3, first 2 shown]
	s_or_saveexec_b64 s[100:101], -1
	v_accvgpr_write_b32 a32, v43
	s_mov_b64 exec, s[100:101]
	s_swappc_b64 s[30:31], s[4:5]
	s_or_saveexec_b64 s[100:101], -1
	v_accvgpr_read_b32 v43, a32
	s_mov_b64 exec, s[100:101]
	v_readlane_b32 s6, v43, 2
	v_readlane_b32 s7, v43, 3
	s_branch .LBB3_2
.LBB3_8:
	buffer_load_dword v62, off, s[0:3], s33 ; 4-byte Folded Reload
	buffer_load_dword v42, off, s[0:3], s33 offset:4 ; 4-byte Folded Reload
	buffer_load_dword v41, off, s[0:3], s33 offset:8 ; 4-byte Folded Reload
	;; [unrolled: 1-line block ×3, first 2 shown]
	v_readlane_b32 s30, v45, 4
	v_readlane_b32 s101, v45, 3
	;; [unrolled: 1-line block ×73, first 2 shown]
	s_or_saveexec_b64 s[6:7], -1
	buffer_load_dword a32, off, s[0:3], s33 offset:16 ; 4-byte Folded Reload
	buffer_load_dword v63, off, s[0:3], s33 offset:20 ; 4-byte Folded Reload
	;; [unrolled: 1-line block ×5, first 2 shown]
	s_mov_b64 exec, s[6:7]
	s_addk_i32 s32, 0xf400
	s_mov_b32 s33, s4
	s_waitcnt vmcnt(0)
	s_setpc_b64 s[30:31]
.Lfunc_end3:
	.size	_Z50ncclDevFunc_AllReduce_RING_SIMPLE_Sum_f8e4m3_0_0_1v, .Lfunc_end3-_Z50ncclDevFunc_AllReduce_RING_SIMPLE_Sum_f8e4m3_0_0_1v
                                        ; -- End function
	.section	.AMDGPU.csdata,"",@progbits
; Function info:
; codeLenInByte = 1684
; NumSgprs: 106
; NumVgprs: 64
; NumAgprs: 62
; TotalNumVgprs: 126
; ScratchSize: 320
; MemoryBound: 0
	.text
	.p2align	2                               ; -- Begin function _ZN12_GLOBAL__N_17runRingI14__hip_fp8_e4m37FuncSumIS1_E11ProtoSimpleILi2ELi2ELi0ELi2ELi0ELi0EELi0ELi0ELi2ELi0EEEviiP15ncclDevWorkColl
	.type	_ZN12_GLOBAL__N_17runRingI14__hip_fp8_e4m37FuncSumIS1_E11ProtoSimpleILi2ELi2ELi0ELi2ELi0ELi0EELi0ELi0ELi2ELi0EEEviiP15ncclDevWorkColl,@function
_ZN12_GLOBAL__N_17runRingI14__hip_fp8_e4m37FuncSumIS1_E11ProtoSimpleILi2ELi2ELi0ELi2ELi0ELi0EELi0ELi0ELi2ELi0EEEviiP15ncclDevWorkColl: ; @_ZN12_GLOBAL__N_17runRingI14__hip_fp8_e4m37FuncSumIS1_E11ProtoSimpleILi2ELi2ELi0ELi2ELi0ELi0EELi0ELi0ELi2ELi0EEEviiP15ncclDevWorkColl
; %bb.0:
	s_waitcnt vmcnt(0) expcnt(0) lgkmcnt(0)
	s_mov_b32 s4, s33
	s_mov_b32 s33, s32
	s_or_saveexec_b64 s[6:7], -1
	buffer_store_dword v63, off, s[0:3], s33 offset:172 ; 4-byte Folded Spill
	buffer_store_dword v62, off, s[0:3], s33 offset:176 ; 4-byte Folded Spill
	buffer_store_dword v61, off, s[0:3], s33 offset:180 ; 4-byte Folded Spill
	s_mov_b64 exec, s[6:7]
	v_writelane_b32 v62, s4, 2
	s_addk_i32 s32, 0x3000
	buffer_store_dword v40, off, s[0:3], s33 offset:148 ; 4-byte Folded Spill
	buffer_store_dword v41, off, s[0:3], s33 offset:144 ; 4-byte Folded Spill
	;; [unrolled: 1-line block ×37, first 2 shown]
	buffer_store_dword a56, off, s[0:3], s33 ; 4-byte Folded Spill
	v_writelane_b32 v63, s34, 0
	v_writelane_b32 v63, s35, 1
	;; [unrolled: 1-line block ×66, first 2 shown]
	v_mov_b32_e32 v18, v1
	s_trap 2
	flat_load_dword v1, v[2:3]
	ds_read_b32 v6, v0
	v_mov_b32_e32 v40, v0
	s_mov_b64 s[28:29], s[8:9]
                                        ; implicit-def: $vgpr4_vgpr5
                                        ; implicit-def: $agpr4_agpr5
                                        ; implicit-def: $agpr6_agpr7
	s_waitcnt lgkmcnt(0)
	v_readfirstlane_b32 s76, v6
	s_waitcnt vmcnt(0)
	v_cmp_ne_u32_sdwa s[4:5], v1, v6 src0_sel:BYTE_0 src1_sel:DWORD
	s_and_saveexec_b64 s[6:7], s[4:5]
	s_xor_b64 s[4:5], exec, s[6:7]
	s_cbranch_execz .LBB4_6
; %bb.1:
	v_not_b32_sdwa v0, v1 dst_sel:DWORD dst_unused:UNUSED_PAD src0_sel:BYTE_0
	v_cmp_ne_u32_sdwa s[6:7], v1, v6 src0_sel:BYTE_1 src1_sel:DWORD
                                        ; implicit-def: $vgpr4_vgpr5
                                        ; implicit-def: $agpr4_agpr5
                                        ; implicit-def: $agpr6_agpr7
	s_and_saveexec_b64 s[8:9], s[6:7]
	s_xor_b64 s[6:7], exec, s[8:9]
	s_cbranch_execz .LBB4_3
; %bb.2:
	flat_load_dwordx4 v[8:11], v[2:3] offset:72
	flat_load_dwordx2 v[4:5], v[2:3] offset:96
	v_add_u32_e32 v0, v6, v0
	v_ashrrev_i32_e32 v1, 31, v0
	s_waitcnt vmcnt(0) lgkmcnt(0)
	v_mul_lo_u32 v1, v10, v1
	v_mad_u64_u32 v[6:7], s[8:9], v10, v0, v[8:9]
	v_mul_lo_u32 v0, v11, v0
	v_add3_u32 v7, v0, v7, v1
	v_accvgpr_write_b32 a4, v6
	v_accvgpr_write_b32 a6, v10
	v_lshrrev_b64 v[4:5], 12, v[4:5]
	v_accvgpr_write_b32 a5, v7
	v_accvgpr_write_b32 a7, v11
                                        ; implicit-def: $vgpr1
                                        ; implicit-def: $vgpr0
.LBB4_3:
	s_andn2_saveexec_b64 s[6:7], s[6:7]
	s_cbranch_execz .LBB4_5
; %bb.4:
	flat_load_dwordx4 v[4:7], v[2:3] offset:72
	flat_load_dwordx4 v[8:11], v[2:3] offset:88
	v_add_u32_sdwa v0, v1, v0 dst_sel:DWORD dst_unused:UNUSED_PAD src0_sel:BYTE_1 src1_sel:DWORD
	v_ashrrev_i32_e32 v1, 31, v0
	s_waitcnt vmcnt(0) lgkmcnt(0)
	v_mul_lo_u32 v1, v6, v1
	v_mad_u64_u32 v[4:5], s[8:9], v6, v0, v[4:5]
	v_mul_lo_u32 v0, v7, v0
	v_add3_u32 v5, v0, v5, v1
	v_accvgpr_write_b32 a4, v4
	v_accvgpr_write_b32 a6, v8
	;; [unrolled: 1-line block ×4, first 2 shown]
	v_lshrrev_b32_e32 v4, 1, v11
.LBB4_5:
	s_or_b64 exec, exec, s[6:7]
.LBB4_6:
	s_andn2_saveexec_b64 s[4:5], s[4:5]
	s_cbranch_execz .LBB4_8
; %bb.7:
	flat_load_dwordx2 v[0:1], v[2:3] offset:96
	flat_load_dwordx2 a[6:7], v[2:3] offset:72
	s_waitcnt vmcnt(0) lgkmcnt(0)
	v_lshlrev_b64 v[4:5], 9, v[0:1]
	v_pk_mov_b32 v[0:1], 0, 0
	v_accvgpr_write_b32 a5, v1
	v_accvgpr_write_b32 a4, v0
.LBB4_8:
	s_or_b64 exec, exec, s[4:5]
	s_trap 2
	ds_read_b64 v[0:1], v0
	s_waitcnt lgkmcnt(0)
	v_cmp_ne_u32_e32 vcc, -1, v0
	v_cndmask_b32_e64 v0, 0, 1, vcc
	v_cmp_ne_u32_e32 vcc, -1, v1
	v_addc_co_u32_e64 v1, s[4:5], 0, v0, vcc
	v_lshlrev_b32_e32 v5, 1, v1
	v_cmp_le_i32_e64 s[4:5], v5, v18
	s_and_saveexec_b64 s[6:7], s[4:5]
	s_xor_b64 s[6:7], exec, s[6:7]
                                        ; implicit-def: $vgpr61 : SGPR spill to VGPR lane
	v_writelane_b32 v61, s6, 0
	v_writelane_b32 v61, s7, 1
	s_cbranch_execnz .LBB4_9
; %bb.5459:
	s_getpc_b64 s[98:99]
.Lpost_getpc5:
	s_add_u32 s98, s98, (.LBB4_5456-.Lpost_getpc5)&4294967295
	s_addc_u32 s99, s99, (.LBB4_5456-.Lpost_getpc5)>>32
	s_setpc_b64 s[98:99]
.LBB4_9:
	flat_load_dwordx2 v[14:15], v[2:3] offset:104
	flat_load_dwordx4 v[10:13], v[2:3] offset:16
	flat_load_ushort v7, v[2:3] offset:8
	flat_load_dword v6, v[2:3] offset:4
	s_trap 2
	s_load_dword s4, s[28:29], 0x0
	v_mov_b32_e32 v5, 0
	v_mov_b32_e32 v60, 4
	s_waitcnt lgkmcnt(0)
	s_cmp_lt_u32 s12, s4
	s_cselect_b32 s4, 12, 18
	s_add_u32 s4, s28, s4
	s_addc_u32 s5, s29, 0
	global_load_ushort a2, v5, s[4:5]
	ds_read_b32 v5, v0
	v_cmp_ge_i32_e64 s[4:5], v40, v0
	s_waitcnt lgkmcnt(0)
	v_readfirstlane_b32 s9, v5
	s_and_saveexec_b64 s[6:7], s[4:5]
	s_cbranch_execz .LBB4_19
; %bb.10:
	v_cmp_le_u32_e64 s[4:5], v1, v40
                                        ; implicit-def: $vgpr60
	s_and_saveexec_b64 s[10:11], s[4:5]
	s_xor_b64 s[4:5], exec, s[10:11]
	s_cbranch_execz .LBB4_16
; %bb.11:
	v_cndmask_b32_e64 v5, 0, 1, vcc
	v_sub_u32_e32 v5, v18, v5
	v_cmp_ge_u32_e32 vcc, v40, v5
                                        ; implicit-def: $sgpr8
	s_and_saveexec_b64 s[10:11], vcc
	s_xor_b64 s[10:11], exec, s[10:11]
; %bb.12:
	s_mov_b32 s8, 16
                                        ; implicit-def: $vgpr1
; %bb.13:
	s_or_saveexec_b64 s[10:11], s[10:11]
	v_mov_b32_e32 v60, s8
	s_xor_b64 exec, exec, s[10:11]
; %bb.14:
	v_sub_u32_e32 v1, v18, v1
	v_cmp_ge_i32_e32 vcc, v40, v1
	v_cndmask_b32_e64 v1, 0, 1, vcc
	v_lshlrev_b32_e32 v60, 5, v1
; %bb.15:
	s_or_b64 exec, exec, s[10:11]
.LBB4_16:
	s_andn2_saveexec_b64 s[4:5], s[4:5]
; %bb.17:
	v_mov_b32_e32 v60, 8
; %bb.18:
	s_or_b64 exec, exec, s[4:5]
.LBB4_19:
	s_or_b64 exec, exec, s[6:7]
	v_and_b32_e32 v1, 36, v60
	v_cmp_ne_u32_e32 vcc, 0, v1
	v_mov_b32_e32 v8, -1
	s_and_saveexec_b64 s[4:5], vcc
	s_cbranch_execz .LBB4_21
; %bb.20:
	s_trap 2
	ds_read_b32 v8, v0
.LBB4_21:
	s_or_b64 exec, exec, s[4:5]
	v_and_b32_e32 v1, 24, v60
	v_cmp_ne_u32_e64 s[4:5], 0, v1
	s_and_saveexec_b64 s[6:7], s[4:5]
	s_cbranch_execz .LBB4_23
; %bb.22:
	s_trap 2
	s_waitcnt lgkmcnt(0)
	ds_read_b32 v8, v0
.LBB4_23:
	s_or_b64 exec, exec, s[6:7]
	s_waitcnt vmcnt(0)
	v_lshrrev_b64 v[6:7], 31, v[6:7]
	v_and_b32_e32 v1, 3, v6
	v_pk_mov_b32 v[6:7], 0, 0
	v_accvgpr_write_b32 a11, v7
	v_accvgpr_write_b32 a13, v7
	;; [unrolled: 1-line block ×4, first 2 shown]
                                        ; implicit-def: $agpr8_agpr9
                                        ; implicit-def: $agpr16
                                        ; implicit-def: $vgpr44_vgpr45
                                        ; implicit-def: $agpr18_agpr19
                                        ; implicit-def: $vgpr50_vgpr51
                                        ; implicit-def: $vgpr48_vgpr49
	s_and_saveexec_b64 s[4:5], vcc
	s_cbranch_execz .LBB4_33
; %bb.24:
	s_trap 2
	ds_read_b64 v[6:7], v0
	s_waitcnt lgkmcnt(1)
	v_ashrrev_i32_e32 v9, 31, v8
	v_lshlrev_b64 v[16:17], 3, v[8:9]
	v_and_b32_e32 v5, 0xffff, v1
	s_movk_i32 s6, 0xa8
	s_waitcnt lgkmcnt(0)
	v_add_co_u32_e32 v6, vcc, v6, v16
	v_addc_co_u32_e32 v7, vcc, v7, v17, vcc
	flat_load_dwordx2 v[6:7], v[6:7]
                                        ; implicit-def: $agpr8_agpr9
	s_waitcnt vmcnt(0) lgkmcnt(0)
	v_mad_u64_u32 v[6:7], s[6:7], v5, s6, v[6:7]
	flat_load_dword v5, v[6:7] offset:640
	v_add_co_u32_e32 v20, vcc, 0x1f8, v6
	v_addc_co_u32_e32 v21, vcc, 0, v7, vcc
	s_waitcnt vmcnt(0) lgkmcnt(0)
	v_cmp_eq_u32_e32 vcc, 1, v5
	s_and_saveexec_b64 s[6:7], vcc
	s_cbranch_execz .LBB4_26
; %bb.25:
	flat_load_dwordx2 v[16:17], v[20:21] offset:144
	v_or_b32_e32 v60, 0x2000, v60
	s_waitcnt vmcnt(0) lgkmcnt(0)
	flat_load_dwordx2 v[6:7], v[16:17]
	s_trap 2
	v_accvgpr_write_b32 a8, v16
	v_accvgpr_write_b32 a9, v17
	s_waitcnt vmcnt(0) lgkmcnt(0)
	ds_write_b64 v0, v[6:7]
	flat_load_dwordx2 v[6:7], v[16:17] offset:8
	s_waitcnt vmcnt(0) lgkmcnt(0)
	ds_write_b64 v0, v[6:7]
	flat_load_dwordx2 v[6:7], v[16:17] offset:16
	s_waitcnt vmcnt(0) lgkmcnt(0)
	ds_write_b64 v0, v[6:7]
.LBB4_26:
	s_or_b64 exec, exec, s[6:7]
	flat_load_dwordx2 v[6:7], v[20:21] offset:104
	v_accvgpr_write_b32 a10, v20
	v_and_b32_e32 v5, 32, v60
	v_accvgpr_write_b32 a11, v21
                                        ; implicit-def: $vgpr48_vgpr49
	s_waitcnt vmcnt(0) lgkmcnt(0)
	v_add_co_u32_e32 v6, vcc, 3, v6
	v_addc_co_u32_e32 v45, vcc, 0, v7, vcc
	v_and_b32_e32 v44, -4, v6
	v_cmp_ne_u32_e32 vcc, 0, v5
	s_and_saveexec_b64 s[6:7], vcc
	s_cbranch_execz .LBB4_28
; %bb.27:
	v_accvgpr_read_b32 v6, a10
	v_accvgpr_read_b32 v7, a11
	flat_load_dwordx2 v[48:49], v[6:7] offset:56
	s_waitcnt vmcnt(0) lgkmcnt(0)
	flat_store_dwordx2 v[48:49], v[44:45]
.LBB4_28:
	s_or_b64 exec, exec, s[6:7]
	v_pk_mov_b32 v[6:7], 0, 0
	v_and_b32_e32 v5, 4, v60
	v_accvgpr_write_b32 a13, v7
	v_cmp_ne_u32_e32 vcc, 0, v5
	v_accvgpr_write_b32 a12, v6
                                        ; implicit-def: $agpr16
                                        ; implicit-def: $agpr18_agpr19
                                        ; implicit-def: $vgpr50_vgpr51
	s_and_saveexec_b64 s[6:7], vcc
	s_cbranch_execz .LBB4_32
; %bb.29:
	v_and_b32_e32 v5, 0x800, v60
	v_cmp_eq_u32_e32 vcc, 0, v5
	s_and_saveexec_b64 s[10:11], vcc
	s_cbranch_execz .LBB4_31
; %bb.30:
	s_trap 2
	ds_write_b64 v0, a[10:11]
.LBB4_31:
	s_or_b64 exec, exec, s[10:11]
	v_accvgpr_read_b32 v6, a10
	v_accvgpr_read_b32 v7, a11
	flat_load_dwordx2 v[48:49], v[6:7] offset:48
	v_or_b32_e32 v5, 0x100, v60
	s_waitcnt vmcnt(0) lgkmcnt(0)
	flat_load_dwordx2 v[50:51], v[48:49] glc
	flat_load_dwordx2 v[16:17], v[6:7] offset:96
	flat_load_dword a16, v[6:7] offset:72
	flat_load_dwordx2 a[18:19], v[6:7] offset:16
	s_waitcnt vmcnt(0) lgkmcnt(0)
	v_accvgpr_write_b32 a12, v16
	v_cmp_eq_u64_e32 vcc, 0, v[16:17]
	v_accvgpr_write_b32 a13, v17
	v_cndmask_b32_e32 v60, v5, v60, vcc
.LBB4_32:
	s_or_b64 exec, exec, s[6:7]
.LBB4_33:
	s_or_b64 exec, exec, s[4:5]
	v_and_b32_e32 v5, 24, v60
	v_cmp_ne_u32_e32 vcc, 0, v5
                                        ; implicit-def: $agpr20_agpr21
	s_and_saveexec_b64 s[4:5], vcc
	s_cbranch_execz .LBB4_41
; %bb.34:
	s_trap 2
	ds_read_b64 v[6:7], v0
	s_waitcnt lgkmcnt(0)
	v_ashrrev_i32_e32 v9, 31, v8
	v_lshlrev_b64 v[8:9], 3, v[8:9]
	v_and_b32_e32 v1, 0xffff, v1
	s_movk_i32 s6, 0xa8
	v_add_co_u32_e32 v6, vcc, v6, v8
	v_addc_co_u32_e32 v7, vcc, v7, v9, vcc
	flat_load_dwordx2 v[6:7], v[6:7]
                                        ; implicit-def: $agpr20_agpr21
	s_waitcnt vmcnt(0) lgkmcnt(0)
	v_mad_u64_u32 v[6:7], s[6:7], v1, s6, v[6:7]
	v_accvgpr_write_b32 a11, v7
	v_accvgpr_write_b32 a10, v6
	flat_load_dwordx4 v[6:9], v[6:7] offset:96
	v_or_b32_e32 v1, 0x100, v60
	s_waitcnt vmcnt(0) lgkmcnt(0)
	v_cmp_eq_u64_e32 vcc, 0, v[6:7]
	v_cndmask_b32_e32 v60, v1, v60, vcc
	v_accvgpr_write_b32 a15, v9
	v_and_b32_e32 v1, 16, v60
	v_accvgpr_write_b32 a14, v8
	v_accvgpr_write_b32 a13, v7
	;; [unrolled: 1-line block ×3, first 2 shown]
	v_cmp_ne_u32_e32 vcc, 0, v1
	s_and_saveexec_b64 s[6:7], vcc
	s_cbranch_execz .LBB4_36
; %bb.35:
	v_accvgpr_read_b32 v6, a10
	v_accvgpr_read_b32 v7, a11
	flat_load_dwordx2 a[20:21], v[6:7] offset:120
	flat_load_dwordx2 v[48:49], v[6:7] offset:48
	;; [unrolled: 1-line block ×3, first 2 shown]
.LBB4_36:
	s_or_b64 exec, exec, s[6:7]
	v_accvgpr_read_b32 v6, a12
	v_accvgpr_read_b32 v8, a14
	;; [unrolled: 1-line block ×3, first 2 shown]
	v_add_co_u32_e32 v1, vcc, 3, v8
	v_addc_co_u32_e32 v45, vcc, 0, v9, vcc
	v_and_b32_e32 v44, -4, v1
	v_and_b32_e32 v1, 8, v60
	v_cmp_ne_u32_e32 vcc, 0, v1
	v_accvgpr_read_b32 v7, a13
	s_and_saveexec_b64 s[6:7], vcc
	s_cbranch_execz .LBB4_40
; %bb.37:
	v_and_b32_e32 v1, 0x800, v60
	v_cmp_eq_u32_e32 vcc, 0, v1
	s_and_saveexec_b64 s[10:11], vcc
	s_cbranch_execz .LBB4_39
; %bb.38:
	s_trap 2
	ds_write_b64 v0, a[10:11]
.LBB4_39:
	s_or_b64 exec, exec, s[10:11]
	v_accvgpr_read_b32 v6, a10
	v_accvgpr_read_b32 v7, a11
	s_waitcnt vmcnt(0) lgkmcnt(0)
	flat_load_dwordx2 v[48:49], v[6:7] offset:56
	s_waitcnt vmcnt(0) lgkmcnt(0)
	flat_load_dwordx2 v[50:51], v[48:49] glc
	flat_load_dword a16, v[6:7] offset:72
	flat_load_dwordx2 a[18:19], v[6:7] offset:16
.LBB4_40:
	s_or_b64 exec, exec, s[6:7]
.LBB4_41:
	s_or_b64 exec, exec, s[4:5]
	v_cmp_eq_u32_e64 s[4:5], 0, v40
	s_and_saveexec_b64 s[6:7], s[4:5]
	s_cbranch_execz .LBB4_43
; %bb.42:
	flat_load_dwordx2 v[6:7], v[2:3] offset:32
	s_waitcnt lgkmcnt(0)
	v_mov_b32_e32 v8, v12
	v_mov_b32_e32 v9, v13
	ds_write2_b64 v0, v[8:9], v[10:11] offset1:1
	s_trap 2
	s_waitcnt vmcnt(0)
	ds_write_b64 v0, v[6:7]
	ds_write_b64 v0, v[14:15]
.LBB4_43:
	s_or_b64 exec, exec, s[6:7]
	v_accvgpr_read_b32 v6, a6
	v_accvgpr_read_b32 v7, a7
	v_cmp_lt_i64_e32 vcc, 0, v[6:7]
	v_pk_mov_b32 v[6:7], 0, 0
	v_accvgpr_write_b32 a15, v7
	s_mov_b64 s[42:43], 0
	v_accvgpr_write_b32 a14, v6
	s_mov_b64 s[6:7], exec
	v_writelane_b32 v61, s6, 2
	v_writelane_b32 v61, s7, 3
	s_and_b64 s[6:7], s[6:7], vcc
	s_mov_b64 exec, s[6:7]
	s_cbranch_execnz .LBB4_44
; %bb.5461:
	s_getpc_b64 s[98:99]
.Lpost_getpc6:
	s_add_u32 s98, s98, (.LBB4_5420-.Lpost_getpc6)&4294967295
	s_addc_u32 s99, s99, (.LBB4_5420-.Lpost_getpc6)>>32
	s_setpc_b64 s[98:99]
.LBB4_44:
	flat_load_dword v2, v[2:3] offset:4
	v_and_b32_e32 v58, 0x3ffffe00, v4
	s_waitcnt vmcnt(0) lgkmcnt(0)
	v_accvgpr_read_b32 v4, a16
	v_ashrrev_i32_e32 v3, 31, v4
	v_accvgpr_write_b32 a17, v3
	v_accvgpr_read_b32 v3, a2
	v_and_b32_e32 v1, 63, v31
	v_cmp_ne_u32_sdwa s[46:47], v3, v18 src0_sel:WORD_0 src1_sel:DWORD
	v_lshrrev_b32_e32 v24, 6, v18
	v_ashrrev_i32_e32 v3, 31, v40
	v_mov_b32_e32 v4, 0xfffff800
	v_mad_i64_i32 v[8:9], s[16:17], v58, s76, 0
	s_movk_i32 s18, 0x800
	v_mov_b32_e32 v5, 0xfffffe00
	v_cmp_eq_u32_e64 s[16:17], 0, v1
	v_lshrrev_b32_e32 v1, 26, v3
	v_lshl_add_u32 v3, v24, 11, v4
	s_ashr_i32 s77, s76, 31
	v_and_b32_e32 v41, 0xffffffc0, v18
	v_accvgpr_read_b32 v6, a20
	v_lshl_add_u32 v4, v24, 9, v5
	v_ashrrev_i32_e32 v5, 31, v3
	v_add_co_u32_e64 v3, s[18:19], s18, v3
	v_accvgpr_read_b32 v7, a21
	s_add_u32 s8, s76, -1
	v_subrev_u32_e32 v10, 64, v41
	v_accvgpr_write_b32 a31, v3
	v_addc_co_u32_e64 v3, s[18:19], 0, v5, s[18:19]
	v_cmp_eq_u64_e64 s[12:13], 0, v[6:7]
	v_cmp_ne_u64_e64 s[14:15], 0, v[6:7]
	s_addc_u32 s81, s77, -1
	s_add_i32 s82, s76, s76
	s_not_b32 s22, s76
	v_ashrrev_i32_e32 v7, 31, v10
	v_add_co_u32_e64 v5, s[18:19], 64, v10
	s_movk_i32 s21, 0x200
	v_lshlrev_b32_e32 v6, 10, v24
	s_cmp_gt_i32 s76, 0
	v_accvgpr_write_b32 a34, v5
	v_addc_co_u32_e64 v5, s[18:19], 0, v7, s[18:19]
	v_add_u32_e32 v1, v40, v1
	v_accvgpr_write_b32 a26, v6
	v_add_u32_e32 v12, 0xfffffc00, v6
	v_ashrrev_i32_e32 v6, 31, v4
	v_add_co_u32_e64 v4, s[18:19], s21, v4
	s_cselect_b32 s21, s22, -1
	s_ashr_i32 s22, s9, 31
	v_ashrrev_i32_e32 v11, 6, v1
	v_and_b32_e32 v1, 0xffffffc0, v1
	s_lshr_b32 s24, s22, 25
	s_movk_i32 s20, 0x400
	v_accvgpr_write_b32 a36, v4
	v_addc_co_u32_e64 v4, s[18:19], 0, v6, s[18:19]
	v_sub_u32_e32 v6, v40, v1
	s_add_i32 s83, s21, s82
	s_add_i32 s9, s9, s24
	v_accvgpr_write_b32 a27, v7
	v_add_co_u32_e64 v7, s[18:19], s20, v12
	v_cmp_lt_i32_e64 s[20:21], v6, v0
	v_cmp_le_i32_e64 s[22:23], v6, v0
	s_ashr_i32 s84, s83, 31
	s_ashr_i32 s85, s9, 7
	s_cmp_gt_i32 s76, 2
	v_accvgpr_write_b32 a32, v3
	v_ashrrev_i32_e32 v3, 31, v12
	v_lshlrev_b32_e32 v1, 11, v11
	s_cselect_b64 s[48:49], -1, 0
	s_add_i32 s9, s76, 1
	v_accvgpr_write_b32 a35, v5
	v_accvgpr_write_b32 a37, v4
	v_pk_mov_b32 v[4:5], v[8:9], v[8:9] op_sel:[0,1]
	v_accvgpr_write_b32 a33, v3
	v_and_b32_e32 v0, 1, v2
	v_cmp_eq_u32_e64 s[24:25], 1, v0
	s_xor_b64 s[50:51], s[24:25], -1
	v_addc_co_u32_e64 v3, s[18:19], 0, v3, s[18:19]
	v_lshl_add_u32 v8, v6, 4, v1
	s_cmp_le_i32 s76, s9
	v_accvgpr_write_b32 a39, v7
	v_cmp_gt_i32_e64 s[18:19], 1, v6
	v_accvgpr_write_b32 a38, v6
	v_ashrrev_i32_e32 v9, 31, v8
	s_cselect_b32 s26, s76, 0
	v_pk_mov_b32 v[6:7], 0, 0
	v_writelane_b32 v61, s28, 4
	v_mov_b32_e32 v59, 0
	s_mov_b32 s44, -1
	v_cmp_ge_i32_e32 vcc, v40, v18
	v_accvgpr_write_b32 a43, v9
	s_sub_i32 s87, s9, s26
	v_accvgpr_write_b32 a46, v58
	v_accvgpr_write_b32 a15, v7
	v_accvgpr_read_b32 v0, a6
	v_accvgpr_write_b32 a25, v5
	v_writelane_b32 v61, s29, 5
	s_mov_b32 s45, 0xffffff
	v_accvgpr_write_b32 a1, v31
	v_cmp_eq_u32_e64 s[6:7], 64, v18
	v_cmp_ne_u32_e64 s[10:11], 64, v18
	s_movk_i32 s78, 0xffc0
	v_accvgpr_write_b32 a0, v18
	s_movk_i32 s79, 0xfe00
	v_accvgpr_write_b32 a28, v10
	v_accvgpr_write_b32 a29, v11
	;; [unrolled: 1-line block ×5, first 2 shown]
	s_add_i32 s86, s76, -2
	s_ashr_i32 s88, s87, 31
	s_xor_b64 s[52:53], vcc, -1
	s_movk_i32 s89, 0x270e
	s_movk_i32 s90, 0x108
	;; [unrolled: 1-line block ×4, first 2 shown]
	s_mov_b64 s[54:55], 0x7f800000
	s_mov_b64 s[56:57], 0x43e00001
	s_movk_i32 s93, 0x7a
	s_mov_b64 s[58:59], 0xffffff
	s_mov_b32 s94, 0xc0c0500
	s_movk_i32 s95, 0xfe40
	s_movk_i32 s96, 0xfe80
	;; [unrolled: 1-line block ×6, first 2 shown]
	v_accvgpr_write_b32 a47, v59
	v_accvgpr_write_b32 a14, v6
	;; [unrolled: 1-line block ×3, first 2 shown]
	v_accvgpr_read_b32 v1, a7
	v_accvgpr_write_b32 a22, v24
	v_accvgpr_write_b32 a23, v41
	;; [unrolled: 1-line block ×3, first 2 shown]
	s_trap 2
	s_branch .LBB4_47
.LBB4_45:                               ;   in Loop: Header=BB4_47 Depth=1
	s_or_b64 exec, exec, s[30:31]
.LBB4_46:                               ;   in Loop: Header=BB4_47 Depth=1
	s_or_b64 exec, exec, s[28:29]
	v_accvgpr_read_b32 v4, a24
	v_accvgpr_read_b32 v6, a44
	;; [unrolled: 1-line block ×4, first 2 shown]
	v_add_co_u32_e32 v6, vcc, v6, v4
	v_accvgpr_read_b32 v0, a6
	v_addc_co_u32_e32 v7, vcc, v7, v5, vcc
	v_accvgpr_read_b32 v1, a7
	v_cmp_ge_i64_e32 vcc, v[6:7], v[0:1]
	s_or_b64 s[42:43], vcc, s[42:43]
	s_andn2_b64 exec, exec, s[42:43]
	s_cbranch_execnz .LBB4_47
; %bb.5463:
	s_getpc_b64 s[98:99]
.Lpost_getpc7:
	s_add_u32 s98, s98, (.LBB4_5419-.Lpost_getpc7)&4294967295
	s_addc_u32 s99, s99, (.LBB4_5419-.Lpost_getpc7)>>32
	s_setpc_b64 s[98:99]
.LBB4_47:                               ; =>This Loop Header: Depth=1
                                        ;     Child Loop BB4_57 Depth 2
                                        ;       Child Loop BB4_65 Depth 3
                                        ;       Child Loop BB4_89 Depth 3
	;; [unrolled: 1-line block ×9, first 2 shown]
                                        ;     Child Loop BB4_199 Depth 2
                                        ;       Child Loop BB4_205 Depth 3
                                        ;       Child Loop BB4_234 Depth 3
	;; [unrolled: 1-line block ×3, first 2 shown]
                                        ;     Child Loop BB4_271 Depth 2
                                        ;       Child Loop BB4_274 Depth 3
                                        ;         Child Loop BB4_282 Depth 4
                                        ;         Child Loop BB4_308 Depth 4
	;; [unrolled: 1-line block ×9, first 2 shown]
                                        ;       Child Loop BB4_1822 Depth 3
                                        ;         Child Loop BB4_1828 Depth 4
                                        ;         Child Loop BB4_1866 Depth 4
	;; [unrolled: 1-line block ×3, first 2 shown]
                                        ;     Child Loop BB4_1895 Depth 2
                                        ;       Child Loop BB4_1903 Depth 3
                                        ;       Child Loop BB4_1929 Depth 3
	;; [unrolled: 1-line block ×9, first 2 shown]
                                        ;         Child Loop BB4_3175 Depth 4
                                        ;       Child Loop BB4_3185 Depth 3
                                        ;       Child Loop BB4_3413 Depth 3
                                        ;         Child Loop BB4_3442 Depth 4
                                        ;       Child Loop BB4_1976 Depth 3
                                        ;       Child Loop BB4_2771 Depth 3
                                        ;     Child Loop BB4_4881 Depth 2
                                        ;       Child Loop BB4_4887 Depth 3
                                        ;       Child Loop BB4_4917 Depth 3
	;; [unrolled: 1-line block ×3, first 2 shown]
                                        ;     Child Loop BB4_4955 Depth 2
                                        ;       Child Loop BB4_4958 Depth 3
                                        ;         Child Loop BB4_4966 Depth 4
                                        ;         Child Loop BB4_4992 Depth 4
	;; [unrolled: 1-line block ×9, first 2 shown]
                                        ;           Child Loop BB4_5052 Depth 5
                                        ;         Child Loop BB4_5061 Depth 4
                                        ;         Child Loop BB4_5066 Depth 4
                                        ;           Child Loop BB4_5067 Depth 5
                                        ;         Child Loop BB4_5039 Depth 4
                                        ;         Child Loop BB4_5118 Depth 4
                                        ;       Child Loop BB4_5136 Depth 3
                                        ;         Child Loop BB4_5142 Depth 4
                                        ;         Child Loop BB4_5172 Depth 4
                                        ;         Child Loop BB4_5191 Depth 4
                                        ;     Child Loop BB4_5213 Depth 2
                                        ;       Child Loop BB4_5221 Depth 3
                                        ;       Child Loop BB4_5245 Depth 3
	;; [unrolled: 1-line block ×9, first 2 shown]
                                        ;     Child Loop BB4_5353 Depth 2
                                        ;       Child Loop BB4_5359 Depth 3
                                        ;       Child Loop BB4_5383 Depth 3
	;; [unrolled: 1-line block ×3, first 2 shown]
	v_sub_co_u32_e32 v0, vcc, v0, v6
	v_subb_co_u32_e32 v1, vcc, v1, v7, vcc
	v_accvgpr_write_b32 a49, v1
	v_accvgpr_write_b32 a48, v0
	v_cmp_lt_i64_e32 vcc, v[0:1], v[4:5]
	s_and_saveexec_b64 s[28:29], vcc
	s_cbranch_execz .LBB4_53
; %bb.48:                               ;   in Loop: Header=BB4_47 Depth=1
	v_accvgpr_read_b32 v2, a48
	v_mov_b32_e32 v1, s81
	v_accvgpr_read_b32 v3, a49
	v_add_co_u32_e32 v0, vcc, s8, v2
	v_addc_co_u32_e32 v4, vcc, v1, v3, vcc
	v_or_b32_e32 v3, s77, v4
	v_mov_b32_e32 v2, v59
	v_cmp_ne_u64_e32 vcc, 0, v[2:3]
                                        ; implicit-def: $vgpr2_vgpr3
	s_and_saveexec_b64 s[26:27], vcc
	s_xor_b64 s[30:31], exec, s[26:27]
	s_cbranch_execz .LBB4_50
; %bb.49:                               ;   in Loop: Header=BB4_47 Depth=1
	s_add_u32 s26, s76, s77
	s_mov_b32 s34, s77
	s_mov_b32 s35, s77
	s_addc_u32 s27, s77, s77
	s_xor_b64 s[36:37], s[26:27], s[34:35]
	v_cvt_f32_u32_e32 v1, s36
	v_cvt_f32_u32_e32 v2, s37
	s_sub_u32 s9, 0, s36
	s_subb_u32 s26, 0, s37
	v_pk_mov_b32 v[12:13], v[6:7], v[6:7] op_sel:[0,1]
	v_mac_f32_e32 v1, 0x4f800000, v2
	v_rcp_f32_e32 v1, v1
	v_mul_f32_e32 v1, 0x5f7ffffc, v1
	v_mul_f32_e32 v2, 0x2f800000, v1
	v_trunc_f32_e32 v2, v2
	v_mac_f32_e32 v1, 0xcf800000, v2
	v_cvt_u32_f32_e32 v2, v2
	v_cvt_u32_f32_e32 v1, v1
	v_mul_lo_u32 v3, s9, v2
	v_mul_hi_u32 v6, s9, v1
	v_mul_lo_u32 v5, s26, v1
	v_add_u32_e32 v3, v6, v3
	v_mul_lo_u32 v7, s9, v1
	v_add_u32_e32 v3, v3, v5
	v_mul_lo_u32 v6, v1, v3
	v_mul_hi_u32 v8, v1, v7
	v_mul_hi_u32 v5, v1, v3
	v_add_co_u32_e32 v6, vcc, v8, v6
	v_addc_co_u32_e32 v5, vcc, 0, v5, vcc
	v_mul_hi_u32 v9, v2, v7
	v_mul_lo_u32 v7, v2, v7
	v_add_co_u32_e32 v6, vcc, v6, v7
	v_mul_hi_u32 v8, v2, v3
	v_addc_co_u32_e32 v5, vcc, v5, v9, vcc
	v_addc_co_u32_e32 v6, vcc, 0, v8, vcc
	v_mul_lo_u32 v3, v2, v3
	v_add_co_u32_e32 v3, vcc, v5, v3
	v_addc_co_u32_e32 v5, vcc, 0, v6, vcc
	v_add_co_u32_e32 v1, vcc, v1, v3
	v_addc_co_u32_e32 v2, vcc, v2, v5, vcc
	v_mul_lo_u32 v3, s9, v2
	v_mul_hi_u32 v5, s9, v1
	v_add_u32_e32 v3, v5, v3
	v_mul_lo_u32 v5, s26, v1
	v_add_u32_e32 v3, v3, v5
	v_mul_lo_u32 v6, s9, v1
	v_mul_hi_u32 v7, v2, v6
	v_mul_lo_u32 v8, v2, v6
	v_mul_lo_u32 v10, v1, v3
	v_mul_hi_u32 v6, v1, v6
	v_mul_hi_u32 v9, v1, v3
	v_add_co_u32_e32 v6, vcc, v6, v10
	v_addc_co_u32_e32 v9, vcc, 0, v9, vcc
	v_add_co_u32_e32 v6, vcc, v6, v8
	v_mul_hi_u32 v5, v2, v3
	v_addc_co_u32_e32 v6, vcc, v9, v7, vcc
	v_addc_co_u32_e32 v5, vcc, 0, v5, vcc
	v_mul_lo_u32 v3, v2, v3
	v_add_co_u32_e32 v3, vcc, v6, v3
	v_addc_co_u32_e32 v5, vcc, 0, v5, vcc
	v_add_co_u32_e32 v3, vcc, v1, v3
	v_addc_co_u32_e32 v2, vcc, v2, v5, vcc
	v_ashrrev_i32_e32 v5, 31, v4
	v_add_co_u32_e32 v0, vcc, v0, v5
	v_addc_co_u32_e32 v1, vcc, v4, v5, vcc
	v_xor_b32_e32 v6, v0, v5
	v_xor_b32_e32 v4, v1, v5
	v_mad_u64_u32 v[0:1], s[26:27], v6, v2, 0
	v_mul_hi_u32 v7, v6, v3
	v_add_co_u32_e32 v7, vcc, v7, v0
	v_addc_co_u32_e32 v8, vcc, 0, v1, vcc
	v_mad_u64_u32 v[0:1], s[26:27], v4, v2, 0
	v_mad_u64_u32 v[2:3], s[26:27], v4, v3, 0
	v_add_co_u32_e32 v2, vcc, v7, v2
	v_addc_co_u32_e32 v2, vcc, v8, v3, vcc
	v_addc_co_u32_e32 v1, vcc, 0, v1, vcc
	v_add_co_u32_e32 v2, vcc, v2, v0
	v_addc_co_u32_e32 v3, vcc, 0, v1, vcc
	v_mul_lo_u32 v7, s37, v2
	v_mul_lo_u32 v8, s36, v3
	v_mad_u64_u32 v[0:1], s[26:27], s36, v2, 0
	v_add3_u32 v1, v1, v8, v7
	v_sub_u32_e32 v7, v4, v1
	v_mov_b32_e32 v8, s37
	v_sub_co_u32_e32 v0, vcc, v6, v0
	v_subb_co_u32_e64 v6, s[26:27], v7, v8, vcc
	v_subrev_co_u32_e64 v7, s[26:27], s36, v0
	v_subbrev_co_u32_e64 v6, s[26:27], 0, v6, s[26:27]
	v_cmp_le_u32_e64 s[26:27], s37, v6
	v_cndmask_b32_e64 v8, 0, -1, s[26:27]
	v_cmp_le_u32_e64 s[26:27], s36, v7
	v_cndmask_b32_e64 v7, 0, -1, s[26:27]
	v_cmp_eq_u32_e64 s[26:27], s37, v6
	v_cndmask_b32_e64 v6, v8, v7, s[26:27]
	v_add_co_u32_e64 v7, s[26:27], 2, v2
	v_subb_co_u32_e32 v1, vcc, v4, v1, vcc
	v_addc_co_u32_e64 v8, s[26:27], 0, v3, s[26:27]
	v_cmp_le_u32_e32 vcc, s37, v1
	v_add_co_u32_e64 v9, s[26:27], 1, v2
	v_cndmask_b32_e64 v4, 0, -1, vcc
	v_cmp_le_u32_e32 vcc, s36, v0
	v_addc_co_u32_e64 v10, s[26:27], 0, v3, s[26:27]
	v_cndmask_b32_e64 v0, 0, -1, vcc
	v_cmp_eq_u32_e32 vcc, s37, v1
	v_cmp_ne_u32_e64 s[26:27], 0, v6
	v_cndmask_b32_e32 v0, v4, v0, vcc
	v_cmp_ne_u32_e32 vcc, 0, v0
	v_cndmask_b32_e64 v1, v9, v7, s[26:27]
	v_cndmask_b32_e64 v6, v10, v8, s[26:27]
	v_cndmask_b32_e32 v1, v2, v1, vcc
	v_xor_b32_e32 v2, s34, v5
	v_cndmask_b32_e32 v0, v3, v6, vcc
	v_xor_b32_e32 v3, s35, v5
	v_xor_b32_e32 v1, v1, v2
	;; [unrolled: 1-line block ×3, first 2 shown]
	v_sub_co_u32_e32 v2, vcc, v1, v2
	v_pk_mov_b32 v[6:7], v[12:13], v[12:13] op_sel:[0,1]
	v_subb_co_u32_e32 v3, vcc, v0, v3, vcc
                                        ; implicit-def: $vgpr0
.LBB4_50:                               ;   in Loop: Header=BB4_47 Depth=1
	s_andn2_saveexec_b64 s[26:27], s[30:31]
	s_cbranch_execz .LBB4_52
; %bb.51:                               ;   in Loop: Header=BB4_47 Depth=1
	v_cvt_f32_u32_e32 v1, s76
	s_sub_i32 s9, 0, s76
	v_rcp_iflag_f32_e32 v1, v1
	v_mul_f32_e32 v1, 0x4f7ffffe, v1
	v_cvt_u32_f32_e32 v1, v1
	v_mul_lo_u32 v2, s9, v1
	v_mul_hi_u32 v2, v1, v2
	v_add_u32_e32 v1, v1, v2
	v_mul_hi_u32 v1, v0, v1
	v_mul_lo_u32 v2, v1, s76
	v_sub_u32_e32 v0, v0, v2
	v_add_u32_e32 v3, 1, v1
	v_subrev_u32_e32 v2, s76, v0
	v_cmp_le_u32_e32 vcc, s76, v0
	v_cndmask_b32_e32 v0, v0, v2, vcc
	v_cndmask_b32_e32 v1, v1, v3, vcc
	v_add_u32_e32 v2, 1, v1
	v_cmp_le_u32_e32 vcc, s76, v0
	v_cndmask_b32_e32 v58, v1, v2, vcc
	v_pk_mov_b32 v[2:3], v[58:59], v[58:59] op_sel:[0,1]
.LBB4_52:                               ;   in Loop: Header=BB4_47 Depth=1
	s_or_b64 exec, exec, s[26:27]
	v_add_co_u32_e32 v0, vcc, 15, v2
	v_addc_co_u32_e32 v1, vcc, 0, v3, vcc
	v_and_b32_e32 v0, -16, v0
	v_accvgpr_write_b32 a47, v1
	v_accvgpr_write_b32 a46, v0
.LBB4_53:                               ;   in Loop: Header=BB4_47 Depth=1
	s_or_b64 exec, exec, s[28:29]
	v_accvgpr_read_b32 v2, a46
	v_accvgpr_read_b32 v3, a47
	v_mul_lo_u32 v0, v3, s83
	v_mul_lo_u32 v1, v2, s84
	v_mad_u64_u32 v[4:5], s[26:27], v2, s83, 0
	v_add3_u32 v5, v5, v1, v0
	v_accvgpr_read_b32 v0, a4
	v_accvgpr_read_b32 v1, a5
	v_add_co_u32_e32 v0, vcc, v6, v0
	v_accvgpr_write_b32 a41, v0
	v_addc_co_u32_e32 v0, vcc, v7, v1, vcc
	v_accvgpr_write_b32 a50, v0
	v_accvgpr_read_b32 v0, a48
	v_accvgpr_read_b32 v1, a49
	v_sub_co_u32_e32 v0, vcc, v0, v4
	v_subb_co_u32_e32 v1, vcc, v1, v5, vcc
	v_cmp_lt_i64_e32 vcc, v[2:3], v[0:1]
	v_cndmask_b32_e32 v1, v0, v2, vcc
	v_max_i32_e32 v0, 0, v1
	v_add_u32_e32 v2, 31, v0
	v_lshrrev_b32_e32 v2, 1, v2
	v_accvgpr_write_b32 a45, v7
	v_and_b32_e32 v2, 0x3ffffff0, v2
	v_cmp_lt_i32_e32 vcc, 0, v1
	v_accvgpr_write_b32 a44, v6
	v_max_i32_e32 v2, s85, v2
	s_and_b64 s[26:27], s[52:53], vcc
	v_mov_b32_e32 v3, 0
	v_mov_b32_e32 v6, 0
	s_and_saveexec_b64 s[28:29], s[26:27]
	s_cbranch_execz .LBB4_195
; %bb.54:                               ;   in Loop: Header=BB4_47 Depth=1
	s_mov_b32 s9, 1
	s_mov_b64 s[34:35], -1
	s_mov_b64 s[30:31], 0
	v_mov_b32_e32 v6, 0
	s_branch .LBB4_57
.LBB4_55:                               ;   in Loop: Header=BB4_57 Depth=2
	s_or_b64 exec, exec, vcc
	v_add_co_u32_e32 v44, vcc, 2, v44
	v_addc_co_u32_e32 v45, vcc, 0, v45, vcc
	flat_store_dwordx2 v[48:49], v[44:45]
.LBB4_56:                               ;   in Loop: Header=BB4_57 Depth=2
	s_or_b64 exec, exec, s[26:27]
	v_add_u32_e32 v6, v2, v6
	v_cmp_ge_i32_e32 vcc, v6, v0
	s_xor_b64 s[26:27], s[34:35], -1
	s_or_b64 s[26:27], s[26:27], vcc
	s_and_b64 s[26:27], exec, s[26:27]
	s_or_b64 s[30:31], s[26:27], s[30:31]
	s_mov_b64 s[34:35], 0
	v_mov_b32_e32 v3, s9
	s_mov_b32 s9, 2
	s_andn2_b64 exec, exec, s[30:31]
	s_cbranch_execz .LBB4_194
.LBB4_57:                               ;   Parent Loop BB4_47 Depth=1
                                        ; =>  This Loop Header: Depth=2
                                        ;       Child Loop BB4_65 Depth 3
                                        ;       Child Loop BB4_89 Depth 3
	;; [unrolled: 1-line block ×9, first 2 shown]
	s_and_saveexec_b64 s[26:27], s[4:5]
	s_cbranch_execz .LBB4_59
; %bb.58:                               ;   in Loop: Header=BB4_57 Depth=2
	s_trap 2
	ds_read_b64 v[8:9], v0
	v_accvgpr_read_b32 v1, a41
	v_accvgpr_read_b32 v3, a50
	v_ashrrev_i32_e32 v7, 31, v6
	v_mov_b32_e32 v58, v59
	s_waitcnt lgkmcnt(0)
	v_add_co_u32_e32 v1, vcc, v8, v1
	v_addc_co_u32_e32 v3, vcc, v9, v3, vcc
	v_add_co_u32_e32 v1, vcc, v1, v4
	v_addc_co_u32_e32 v3, vcc, v3, v5, vcc
	;; [unrolled: 2-line block ×3, first 2 shown]
	ds_write_b64 v0, v[8:9]
	ds_write_b64 v0, v[58:59]
.LBB4_59:                               ;   in Loop: Header=BB4_57 Depth=2
	s_or_b64 exec, exec, s[26:27]
	v_and_b32_e32 v1, 8, v60
	v_cmp_ne_u32_e32 vcc, 0, v1
	s_mov_b64 s[36:37], -1
	s_and_saveexec_b64 s[26:27], vcc
	s_cbranch_execz .LBB4_71
; %bb.60:                               ;   in Loop: Header=BB4_57 Depth=2
	v_add_co_u32_e32 v10, vcc, 8, v50
	v_addc_co_u32_e32 v11, vcc, 0, v51, vcc
	v_add_co_u32_e32 v8, vcc, 2, v44
	v_addc_co_u32_e32 v9, vcc, 0, v45, vcc
	v_cmp_lt_u64_e32 vcc, v[10:11], v[8:9]
	v_mov_b32_e32 v1, 1
	s_and_saveexec_b64 s[36:37], vcc
	s_cbranch_execz .LBB4_70
; %bb.61:                               ;   in Loop: Header=BB4_57 Depth=2
	s_mov_b64 s[60:61], 0
	v_mov_b32_e32 v3, 0
                                        ; implicit-def: $sgpr62_sgpr63
	s_branch .LBB4_65
.LBB4_62:                               ;   in Loop: Header=BB4_65 Depth=3
	s_or_b64 exec, exec, s[70:71]
	v_mov_b32_e32 v7, 0
	s_orn2_b64 s[68:69], s[68:69], exec
.LBB4_63:                               ;   in Loop: Header=BB4_65 Depth=3
	s_or_b64 exec, exec, s[66:67]
	s_andn2_b64 vcc, s[62:63], exec
	s_and_b64 s[62:63], s[68:69], exec
	s_or_b64 s[62:63], vcc, s[62:63]
	v_mov_b32_e32 v3, v7
.LBB4_64:                               ;   in Loop: Header=BB4_65 Depth=3
	s_or_b64 exec, exec, s[64:65]
	s_waitcnt vmcnt(0) lgkmcnt(0)
	v_add_co_u32_e32 v10, vcc, 8, v50
	v_addc_co_u32_e32 v11, vcc, 0, v51, vcc
	v_cmp_ge_u64_e32 vcc, v[10:11], v[8:9]
	s_xor_b64 s[64:65], s[62:63], -1
	s_or_b64 vcc, s[64:65], vcc
	s_and_b64 vcc, exec, vcc
	s_or_b64 s[60:61], vcc, s[60:61]
	s_andn2_b64 exec, exec, s[60:61]
	s_cbranch_execz .LBB4_69
.LBB4_65:                               ;   Parent Loop BB4_47 Depth=1
                                        ;     Parent Loop BB4_57 Depth=2
                                        ; =>    This Inner Loop Header: Depth=3
	s_sleep 1
	flat_load_dwordx2 v[50:51], v[48:49] glc
	v_and_b32_e32 v1, 64, v60
	v_cmp_eq_u32_e32 vcc, 0, v1
	s_andn2_b64 s[62:63], s[62:63], exec
	s_and_saveexec_b64 s[64:65], vcc
	s_cbranch_execz .LBB4_64
; %bb.66:                               ;   in Loop: Header=BB4_65 Depth=3
	v_add_u32_e32 v7, 1, v3
	v_cmp_lt_i32_e32 vcc, s89, v3
	s_mov_b64 s[68:69], -1
	s_and_saveexec_b64 s[66:67], vcc
	s_cbranch_execz .LBB4_63
; %bb.67:                               ;   in Loop: Header=BB4_65 Depth=3
	s_trap 2
	ds_read_b64 v[10:11], v0
	s_waitcnt vmcnt(0) lgkmcnt(0)
	flat_load_dword v1, v[10:11] glc
	s_waitcnt vmcnt(0) lgkmcnt(0)
	buffer_invl2
	buffer_wbinvl1_vol
	v_cmp_ne_u32_e32 vcc, 0, v1
	s_and_saveexec_b64 s[70:71], vcc
	s_cbranch_execz .LBB4_62
; %bb.68:                               ;   in Loop: Header=BB4_65 Depth=3
	v_or_b32_e32 v60, 64, v60
	s_xor_b64 s[68:69], exec, -1
	ds_write_b32 v0, v1
	s_trap 2
	s_branch .LBB4_62
.LBB4_69:                               ;   in Loop: Header=BB4_57 Depth=2
	s_or_b64 exec, exec, s[60:61]
	v_and_b32_e32 v1, 8, v60
.LBB4_70:                               ;   in Loop: Header=BB4_57 Depth=2
	s_or_b64 exec, exec, s[36:37]
	v_cmp_eq_u32_e32 vcc, 0, v1
	s_orn2_b64 s[36:37], vcc, exec
	;;#ASMSTART
	s_wakeup
	;;#ASMEND
.LBB4_71:                               ;   in Loop: Header=BB4_57 Depth=2
	s_or_b64 exec, exec, s[26:27]
	v_sub_u32_e32 v1, v0, v6
	s_xor_b64 s[26:27], s[36:37], -1
	v_min_i32_e32 v2, v2, v1
	s_and_saveexec_b64 s[36:37], s[26:27]
	s_cbranch_execz .LBB4_81
; %bb.72:                               ;   in Loop: Header=BB4_57 Depth=2
	v_and_b32_e32 v1, 0x100, v60
	v_cmp_ne_u32_e32 vcc, 0, v1
	v_and_b32_e32 v7, 7, v44
	s_mov_b64 s[26:27], -1
                                        ; implicit-def: $vgpr8_vgpr9
	s_and_saveexec_b64 s[60:61], vcc
	s_cbranch_execz .LBB4_76
; %bb.73:                               ;   in Loop: Header=BB4_57 Depth=2
	v_accvgpr_read_b32 v8, a12
	v_accvgpr_read_b32 v9, a13
	v_mad_u64_u32 v[10:11], s[26:27], v7, 24, v[8:9]
	flat_load_dword v1, v[10:11]
	v_ashrrev_i32_e32 v3, 31, v2
	flat_store_dwordx2 v[10:11], v[2:3] offset:8
                                        ; implicit-def: $vgpr8_vgpr9
	s_waitcnt vmcnt(0) lgkmcnt(0)
	v_cmp_ne_u32_e32 vcc, 1, v1
	v_cmp_eq_u32_e64 s[26:27], 1, v1
	s_and_saveexec_b64 s[62:63], s[26:27]
	s_cbranch_execz .LBB4_75
; %bb.74:                               ;   in Loop: Header=BB4_57 Depth=2
	flat_load_dword v8, v[10:11] offset:4 glc
	s_waitcnt vmcnt(0) lgkmcnt(0)
	v_ashrrev_i32_e32 v9, 31, v8
.LBB4_75:                               ;   in Loop: Header=BB4_57 Depth=2
	s_or_b64 exec, exec, s[62:63]
	s_orn2_b64 s[26:27], vcc, exec
.LBB4_76:                               ;   in Loop: Header=BB4_57 Depth=2
	s_or_b64 exec, exec, s[60:61]
	s_and_saveexec_b64 vcc, s[26:27]
; %bb.77:                               ;   in Loop: Header=BB4_57 Depth=2
	v_accvgpr_read_b32 v8, a16
	v_mad_i64_i32 v[8:9], s[26:27], v7, v8, 0
; %bb.78:                               ;   in Loop: Header=BB4_57 Depth=2
	s_or_b64 exec, exec, vcc
	v_accvgpr_read_b32 v10, a18
	v_accvgpr_read_b32 v11, a19
	v_add_co_u32_e32 v8, vcc, v10, v8
	v_addc_co_u32_e32 v9, vcc, v11, v9, vcc
	v_and_b32_e32 v1, 0x2000, v60
	v_cmp_ne_u32_e32 vcc, 0, v1
	ds_write_b64 v0, v[8:9] offset:784
	s_and_saveexec_b64 s[26:27], vcc
	s_cbranch_execz .LBB4_80
; %bb.79:                               ;   in Loop: Header=BB4_57 Depth=2
	ds_read_b64 v[8:9], v0 offset:584
	s_waitcnt lgkmcnt(0)
	v_add_co_u32_e32 v8, vcc, 1, v8
	v_addc_co_u32_e32 v9, vcc, 0, v9, vcc
	ds_write_b64 v0, v[8:9] offset:584
.LBB4_80:                               ;   in Loop: Header=BB4_57 Depth=2
	s_or_b64 exec, exec, s[26:27]
	v_add_co_u32_e32 v44, vcc, 2, v44
	v_addc_co_u32_e32 v45, vcc, 0, v45, vcc
.LBB4_81:                               ;   in Loop: Header=BB4_57 Depth=2
	s_or_b64 exec, exec, s[36:37]
	s_and_saveexec_b64 s[26:27], s[10:11]
	s_cbranch_execz .LBB4_100
; %bb.82:                               ;   in Loop: Header=BB4_57 Depth=2
	s_and_saveexec_b64 vcc, s[46:47]
	s_xor_b64 s[36:37], exec, vcc
	s_cbranch_execz .LBB4_97
; %bb.83:                               ;   in Loop: Header=BB4_57 Depth=2
	s_and_saveexec_b64 s[60:61], s[16:17]
	s_cbranch_execz .LBB4_96
; %bb.84:                               ;   in Loop: Header=BB4_57 Depth=2
	s_mov_b64 s[64:65], exec
	v_mbcnt_lo_u32_b32 v1, s64, 0
	v_mbcnt_hi_u32_b32 v1, s65, v1
	v_cmp_eq_u32_e32 vcc, 0, v1
	s_waitcnt vmcnt(0) lgkmcnt(0)
	buffer_wbinvl1_vol
	s_and_saveexec_b64 s[62:63], vcc
	s_cbranch_execz .LBB4_86
; %bb.85:                               ;   in Loop: Header=BB4_57 Depth=2
	s_bcnt1_i32_b64 vcc_lo, s[64:65]
	v_mov_b32_e32 v58, vcc_lo
	ds_add_u64 v0, v[58:59]
	s_trap 2
.LBB4_86:                               ;   in Loop: Header=BB4_57 Depth=2
	s_or_b64 exec, exec, s[62:63]
	s_trap 2
	ds_read_b64 v[8:9], v0
	v_accvgpr_read_b32 v10, a14
	v_accvgpr_read_b32 v11, a15
	v_add_co_u32_e32 v10, vcc, v10, v24
	v_addc_co_u32_e32 v11, vcc, 0, v11, vcc
	v_accvgpr_write_b32 a15, v11
	v_accvgpr_write_b32 a14, v10
	s_waitcnt lgkmcnt(0)
	v_cmp_lt_u64_e32 vcc, v[8:9], v[10:11]
	s_and_saveexec_b64 s[62:63], vcc
	s_cbranch_execz .LBB4_95
; %bb.87:                               ;   in Loop: Header=BB4_57 Depth=2
	s_mov_b32 s39, 0
	s_mov_b64 s[64:65], 0
                                        ; implicit-def: $sgpr66_sgpr67
                                        ; implicit-def: $sgpr68_sgpr69
	s_branch .LBB4_89
.LBB4_88:                               ;   in Loop: Header=BB4_89 Depth=3
	s_or_b64 exec, exec, s[72:73]
	s_and_b64 vcc, exec, vcc
	s_or_b64 s[64:65], vcc, s[64:65]
	s_andn2_b64 vcc, s[66:67], exec
	s_and_b64 s[66:67], s[68:69], exec
	s_or_b64 s[66:67], vcc, s[66:67]
	s_andn2_b64 exec, exec, s[64:65]
	s_cbranch_execz .LBB4_93
.LBB4_89:                               ;   Parent Loop BB4_47 Depth=1
                                        ;     Parent Loop BB4_57 Depth=2
                                        ; =>    This Inner Loop Header: Depth=3
	s_add_i32 s39, s39, 1
	s_cmpk_lg_i32 s39, 0x2710
	s_cselect_b64 s[70:71], -1, 0
	s_and_b64 vcc, exec, s[70:71]
                                        ; implicit-def: $sgpr72_sgpr73
	s_cbranch_vccnz .LBB4_91
; %bb.90:                               ;   in Loop: Header=BB4_89 Depth=3
	s_trap 2
	ds_read_b64 v[8:9], v0
	s_andn2_b64 s[70:71], s[70:71], exec
	s_mov_b32 s39, 0
	s_mov_b64 s[72:73], -1
	s_waitcnt lgkmcnt(0)
	flat_load_dword v1, v[8:9] glc
	s_waitcnt vmcnt(0) lgkmcnt(0)
	buffer_invl2
	buffer_wbinvl1_vol
	v_cmp_eq_u32_e32 vcc, 0, v1
	s_and_b64 vcc, vcc, exec
	s_or_b64 s[70:71], s[70:71], vcc
.LBB4_91:                               ;   in Loop: Header=BB4_89 Depth=3
	s_andn2_b64 s[68:69], s[68:69], exec
	s_and_b64 s[72:73], s[72:73], exec
	s_mov_b64 vcc, -1
	s_or_b64 s[68:69], s[68:69], s[72:73]
	s_and_saveexec_b64 s[72:73], s[70:71]
	s_cbranch_execz .LBB4_88
; %bb.92:                               ;   in Loop: Header=BB4_89 Depth=3
	s_sleep 1
	s_trap 2
	ds_read_b64 v[8:9], v0
	v_accvgpr_read_b32 v10, a14
	v_accvgpr_read_b32 v11, a15
	s_andn2_b64 s[68:69], s[68:69], exec
	s_waitcnt lgkmcnt(0)
	v_cmp_ge_u64_e32 vcc, v[8:9], v[10:11]
	s_orn2_b64 vcc, vcc, exec
	s_branch .LBB4_88
.LBB4_93:                               ;   in Loop: Header=BB4_57 Depth=2
	s_or_b64 exec, exec, s[64:65]
	s_and_saveexec_b64 vcc, s[66:67]
	s_xor_b64 vcc, exec, vcc
	s_cbranch_execz .LBB4_95
; %bb.94:                               ;   in Loop: Header=BB4_57 Depth=2
	v_mov_b32_e32 v1, 1
	ds_write_b32 v0, v1
	s_trap 2
.LBB4_95:                               ;   in Loop: Header=BB4_57 Depth=2
	s_or_b64 exec, exec, s[62:63]
	;;#ASMSTART
	s_wakeup
	;;#ASMEND
.LBB4_96:                               ;   in Loop: Header=BB4_57 Depth=2
	s_or_b64 exec, exec, s[60:61]
.LBB4_97:                               ;   in Loop: Header=BB4_57 Depth=2
	s_andn2_saveexec_b64 vcc, s[36:37]
	s_cbranch_execz .LBB4_99
; %bb.98:                               ;   in Loop: Header=BB4_57 Depth=2
	s_waitcnt vmcnt(0) lgkmcnt(0)
	buffer_wbinvl1_vol
	s_barrier
.LBB4_99:                               ;   in Loop: Header=BB4_57 Depth=2
	s_or_b64 exec, exec, vcc
.LBB4_100:                              ;   in Loop: Header=BB4_57 Depth=2
	s_or_b64 exec, exec, s[26:27]
	s_trap 2
	ds_read_b32 v3, v0
	v_and_b32_e32 v1, 0x4000, v60
	v_cmp_ne_u32_e32 vcc, 0, v1
	s_xor_b64 s[26:27], s[6:7], -1
	s_and_b64 vcc, s[26:27], vcc
	s_and_saveexec_b64 s[26:27], vcc
	s_cbranch_execz .LBB4_119
; %bb.101:                              ;   in Loop: Header=BB4_57 Depth=2
	s_and_saveexec_b64 vcc, s[46:47]
	s_xor_b64 s[36:37], exec, vcc
	s_cbranch_execz .LBB4_116
; %bb.102:                              ;   in Loop: Header=BB4_57 Depth=2
	s_and_saveexec_b64 s[60:61], s[16:17]
	s_cbranch_execz .LBB4_115
; %bb.103:                              ;   in Loop: Header=BB4_57 Depth=2
	s_mov_b64 s[64:65], exec
	v_mbcnt_lo_u32_b32 v1, s64, 0
	v_mbcnt_hi_u32_b32 v1, s65, v1
	v_cmp_eq_u32_e32 vcc, 0, v1
	s_waitcnt vmcnt(0) lgkmcnt(0)
	buffer_wbinvl1_vol
	s_and_saveexec_b64 s[62:63], vcc
	s_cbranch_execz .LBB4_105
; %bb.104:                              ;   in Loop: Header=BB4_57 Depth=2
	s_bcnt1_i32_b64 vcc_lo, s[64:65]
	v_mov_b32_e32 v58, vcc_lo
	ds_add_u64 v0, v[58:59]
	s_trap 2
.LBB4_105:                              ;   in Loop: Header=BB4_57 Depth=2
	s_or_b64 exec, exec, s[62:63]
	s_trap 2
	ds_read_b64 v[8:9], v0
	v_accvgpr_read_b32 v10, a14
	v_accvgpr_read_b32 v11, a15
	v_add_co_u32_e32 v10, vcc, v10, v24
	v_addc_co_u32_e32 v11, vcc, 0, v11, vcc
	v_accvgpr_write_b32 a15, v11
	v_accvgpr_write_b32 a14, v10
	s_waitcnt lgkmcnt(0)
	v_cmp_lt_u64_e32 vcc, v[8:9], v[10:11]
	s_and_saveexec_b64 s[62:63], vcc
	s_cbranch_execz .LBB4_114
; %bb.106:                              ;   in Loop: Header=BB4_57 Depth=2
	s_mov_b32 s39, 0
	s_mov_b64 s[64:65], 0
                                        ; implicit-def: $sgpr66_sgpr67
                                        ; implicit-def: $sgpr68_sgpr69
	s_branch .LBB4_108
.LBB4_107:                              ;   in Loop: Header=BB4_108 Depth=3
	s_or_b64 exec, exec, s[72:73]
	s_and_b64 vcc, exec, vcc
	s_or_b64 s[64:65], vcc, s[64:65]
	s_andn2_b64 vcc, s[66:67], exec
	s_and_b64 s[66:67], s[68:69], exec
	s_or_b64 s[66:67], vcc, s[66:67]
	s_andn2_b64 exec, exec, s[64:65]
	s_cbranch_execz .LBB4_112
.LBB4_108:                              ;   Parent Loop BB4_47 Depth=1
                                        ;     Parent Loop BB4_57 Depth=2
                                        ; =>    This Inner Loop Header: Depth=3
	s_add_i32 s39, s39, 1
	s_cmpk_lg_i32 s39, 0x2710
	s_cselect_b64 s[70:71], -1, 0
	s_and_b64 vcc, exec, s[70:71]
                                        ; implicit-def: $sgpr72_sgpr73
	s_cbranch_vccnz .LBB4_110
; %bb.109:                              ;   in Loop: Header=BB4_108 Depth=3
	s_trap 2
	ds_read_b64 v[8:9], v0
	s_andn2_b64 s[70:71], s[70:71], exec
	s_mov_b32 s39, 0
	s_mov_b64 s[72:73], -1
	s_waitcnt lgkmcnt(0)
	flat_load_dword v1, v[8:9] glc
	s_waitcnt vmcnt(0) lgkmcnt(0)
	buffer_invl2
	buffer_wbinvl1_vol
	v_cmp_eq_u32_e32 vcc, 0, v1
	s_and_b64 vcc, vcc, exec
	s_or_b64 s[70:71], s[70:71], vcc
.LBB4_110:                              ;   in Loop: Header=BB4_108 Depth=3
	s_andn2_b64 s[68:69], s[68:69], exec
	s_and_b64 s[72:73], s[72:73], exec
	s_mov_b64 vcc, -1
	s_or_b64 s[68:69], s[68:69], s[72:73]
	s_and_saveexec_b64 s[72:73], s[70:71]
	s_cbranch_execz .LBB4_107
; %bb.111:                              ;   in Loop: Header=BB4_108 Depth=3
	s_sleep 1
	s_trap 2
	ds_read_b64 v[8:9], v0
	v_accvgpr_read_b32 v10, a14
	v_accvgpr_read_b32 v11, a15
	s_andn2_b64 s[68:69], s[68:69], exec
	s_waitcnt lgkmcnt(0)
	v_cmp_ge_u64_e32 vcc, v[8:9], v[10:11]
	s_orn2_b64 vcc, vcc, exec
	s_branch .LBB4_107
.LBB4_112:                              ;   in Loop: Header=BB4_57 Depth=2
	s_or_b64 exec, exec, s[64:65]
	s_and_saveexec_b64 vcc, s[66:67]
	s_xor_b64 vcc, exec, vcc
	s_cbranch_execz .LBB4_114
; %bb.113:                              ;   in Loop: Header=BB4_57 Depth=2
	v_mov_b32_e32 v1, 1
	ds_write_b32 v0, v1
	s_trap 2
.LBB4_114:                              ;   in Loop: Header=BB4_57 Depth=2
	s_or_b64 exec, exec, s[62:63]
	;;#ASMSTART
	s_wakeup
	;;#ASMEND
.LBB4_115:                              ;   in Loop: Header=BB4_57 Depth=2
	s_or_b64 exec, exec, s[60:61]
.LBB4_116:                              ;   in Loop: Header=BB4_57 Depth=2
	s_andn2_saveexec_b64 vcc, s[36:37]
	s_cbranch_execz .LBB4_118
; %bb.117:                              ;   in Loop: Header=BB4_57 Depth=2
	s_waitcnt vmcnt(0) lgkmcnt(0)
	buffer_wbinvl1_vol
	s_barrier
.LBB4_118:                              ;   in Loop: Header=BB4_57 Depth=2
	s_or_b64 exec, exec, vcc
.LBB4_119:                              ;   in Loop: Header=BB4_57 Depth=2
	s_or_b64 exec, exec, s[26:27]
	s_trap 2
	ds_read_b64 v[8:9], v0
	v_mov_b32_e32 v7, 0
	s_waitcnt lgkmcnt(0)
	v_readfirstlane_b32 s26, v8
	v_readfirstlane_b32 s27, v9
	s_cmp_eq_u64 s[26:27], 0
	s_cselect_b64 s[26:27], -1, 0
	s_or_b64 s[26:27], s[26:27], s[26:27]
	s_and_b64 vcc, exec, s[26:27]
	s_cbranch_vccnz .LBB4_140
; %bb.120:                              ;   in Loop: Header=BB4_57 Depth=2
	s_mov_b64 s[26:27], -1
	s_and_saveexec_b64 s[36:37], s[18:19]
	s_cbranch_execz .LBB4_122
; %bb.121:                              ;   in Loop: Header=BB4_57 Depth=2
	ds_read_b32 v1, v0 offset:720
	s_waitcnt lgkmcnt(0)
	v_and_b32_e32 v1, 15, v1
	v_cmp_eq_u32_e32 vcc, 0, v1
	s_orn2_b64 s[26:27], vcc, exec
.LBB4_122:                              ;   in Loop: Header=BB4_57 Depth=2
	s_or_b64 exec, exec, s[36:37]
	s_and_saveexec_b64 s[36:37], s[20:21]
	s_cbranch_execz .LBB4_124
; %bb.123:                              ;   in Loop: Header=BB4_57 Depth=2
	ds_read_b32 v1, v0 offset:784
	s_waitcnt lgkmcnt(0)
	v_and_b32_e32 v1, 15, v1
	v_cmp_eq_u32_e32 vcc, 0, v1
	s_and_b64 vcc, s[26:27], vcc
	s_andn2_b64 s[26:27], s[26:27], exec
	s_and_b64 vcc, vcc, exec
	s_or_b64 s[26:27], s[26:27], vcc
.LBB4_124:                              ;   in Loop: Header=BB4_57 Depth=2
	s_or_b64 exec, exec, s[36:37]
	v_cmp_eq_u32_e32 vcc, 0, v3
	s_xor_b64 s[26:27], s[26:27], -1
	v_cndmask_b32_e32 v7, 0, v2, vcc
	v_cndmask_b32_e64 v1, 0, 1, s[26:27]
	v_mov_b32_e32 v11, 0
	s_mov_b64 s[60:61], -1
	;;#ASMSTART
	;;#ASMEND
	v_cmp_ne_u32_e32 vcc, 0, v1
	v_mov_b32_e32 v14, v7
	v_mov_b32_e32 v15, v40
	v_accvgpr_read_b32 v3, a29
	s_cbranch_vccz .LBB4_141
; %bb.125:                              ;   in Loop: Header=BB4_57 Depth=2
	s_and_saveexec_b64 s[26:27], s[60:61]
	s_cbranch_execz .LBB4_154
.LBB4_126:                              ;   in Loop: Header=BB4_57 Depth=2
	v_ashrrev_i32_e32 v1, 31, v14
	v_lshrrev_b32_e32 v1, 22, v1
	v_add_u32_e32 v1, v14, v1
	v_ashrrev_i32_e32 v18, 10, v1
	v_sub_u32_e32 v16, v18, v3
	v_ashrrev_i32_e32 v1, 31, v15
	v_cmp_lt_i32_e32 vcc, 0, v16
	v_lshrrev_b32_e32 v17, 26, v1
	s_and_saveexec_b64 s[36:37], vcc
	s_cbranch_execz .LBB4_130
; %bb.127:                              ;   in Loop: Header=BB4_57 Depth=2
	s_trap 2
	ds_read_b64 v[8:9], v0
	v_add_u32_e32 v1, v15, v17
	v_and_b32_e32 v1, 0xffffffc0, v1
	v_sub_u32_e32 v1, v15, v1
	v_lshlrev_b32_e32 v3, 10, v3
	v_add3_u32 v10, v11, v1, v3
	v_ashrrev_i32_e32 v3, 31, v10
	s_mov_b64 s[60:61], 0
	s_waitcnt lgkmcnt(0)
	v_pk_mov_b32 v[12:13], v[8:9], v[8:9] op_sel:[0,1]
	v_mov_b32_e32 v36, v24
	v_accvgpr_read_b32 v37, a39
	v_accvgpr_read_b32 v38, a40
.LBB4_128:                              ;   Parent Loop BB4_47 Depth=1
                                        ;     Parent Loop BB4_57 Depth=2
                                        ; =>    This Inner Loop Header: Depth=3
	v_add_co_u32_e32 v20, vcc, v10, v12
	v_addc_co_u32_e32 v21, vcc, v3, v13, vcc
	flat_load_ubyte v1, v[20:21] glc slc
	flat_load_ubyte v19, v[20:21] offset:64 glc slc
	flat_load_ubyte v22, v[20:21] offset:128 glc slc
	;; [unrolled: 1-line block ×15, first 2 shown]
	v_add_co_u32_e32 v20, vcc, v10, v8
	v_addc_co_u32_e32 v21, vcc, v3, v9, vcc
	v_add_co_u32_e32 v12, vcc, v12, v37
	v_addc_co_u32_e32 v13, vcc, v13, v38, vcc
	v_add_co_u32_e32 v8, vcc, v8, v37
	v_sub_u32_e32 v16, v16, v36
	v_addc_co_u32_e32 v9, vcc, v9, v38, vcc
	v_cmp_gt_i32_e32 vcc, 1, v16
	s_or_b64 s[60:61], vcc, s[60:61]
	s_waitcnt vmcnt(0) lgkmcnt(0)
	flat_store_byte v[20:21], v1 glc slc
	flat_store_byte v[20:21], v19 offset:64 glc slc
	flat_store_byte v[20:21], v22 offset:128 glc slc
	;; [unrolled: 1-line block ×15, first 2 shown]
	s_andn2_b64 exec, exec, s[60:61]
	s_cbranch_execnz .LBB4_128
; %bb.129:                              ;   in Loop: Header=BB4_57 Depth=2
	s_or_b64 exec, exec, s[60:61]
	v_mov_b32_e32 v24, v36
.LBB4_130:                              ;   in Loop: Header=BB4_57 Depth=2
	s_or_b64 exec, exec, s[36:37]
	v_lshlrev_b32_e32 v1, 10, v18
	v_cmp_ne_u32_e32 vcc, v14, v1
	s_mov_b64 s[36:37], exec
	s_and_b64 vcc, s[36:37], vcc
	v_accvgpr_read_b32 v13, a34
	v_accvgpr_read_b32 v18, a35
	s_mov_b64 exec, vcc
	s_cbranch_execz .LBB4_134
; %bb.131:                              ;   in Loop: Header=BB4_57 Depth=2
	v_add_u32_e32 v3, v15, v17
	v_and_b32_e32 v3, 0xffffffc0, v3
	v_sub_u32_e32 v3, v15, v3
	v_lshlrev_b32_e32 v8, 6, v16
	v_sub_u32_e32 v3, v3, v8
	v_add_u32_e32 v1, v1, v3
	v_sub_u32_e32 v12, v14, v1
	v_cmp_lt_i32_e32 vcc, 0, v12
	s_and_b64 exec, exec, vcc
	s_cbranch_execz .LBB4_134
; %bb.132:                              ;   in Loop: Header=BB4_57 Depth=2
	s_trap 2
	ds_read_b64 v[8:9], v0
	v_add_u32_e32 v10, v1, v11
	v_ashrrev_i32_e32 v3, 31, v10
	s_mov_b64 s[60:61], 0
.LBB4_133:                              ;   Parent Loop BB4_47 Depth=1
                                        ;     Parent Loop BB4_57 Depth=2
                                        ; =>    This Inner Loop Header: Depth=3
	s_waitcnt lgkmcnt(0)
	v_add_co_u32_e32 v14, vcc, v8, v10
	v_addc_co_u32_e32 v15, vcc, v9, v3, vcc
	flat_load_ubyte v1, v[14:15] glc slc
	v_add_co_u32_e32 v10, vcc, v10, v13
	v_sub_u32_e32 v12, v12, v41
	v_addc_co_u32_e32 v3, vcc, v3, v18, vcc
	v_cmp_gt_i32_e32 vcc, 1, v12
	s_or_b64 s[60:61], vcc, s[60:61]
	s_waitcnt vmcnt(0) lgkmcnt(0)
	flat_store_byte v[14:15], v1 glc slc
	s_andn2_b64 exec, exec, s[60:61]
	s_cbranch_execnz .LBB4_133
.LBB4_134:                              ;   in Loop: Header=BB4_57 Depth=2
	s_or_b64 exec, exec, s[36:37]
	s_or_b64 exec, exec, s[26:27]
	s_and_saveexec_b64 s[26:27], s[10:11]
	s_cbranch_execnz .LBB4_155
.LBB4_135:                              ;   in Loop: Header=BB4_57 Depth=2
	s_or_b64 exec, exec, s[26:27]
                                        ; implicit-def: $vgpr3
	s_and_saveexec_b64 s[26:27], s[24:25]
	s_xor_b64 s[36:37], exec, s[26:27]
	s_cbranch_execz .LBB4_173
.LBB4_136:                              ;   in Loop: Header=BB4_57 Depth=2
	v_and_b32_e32 v1, 16, v60
	v_cmp_lt_i32_e32 vcc, 0, v7
	v_cmp_ne_u32_e64 s[26:27], 0, v1
	v_and_b32_e32 v3, 16, v60
	s_and_b64 vcc, s[26:27], vcc
	s_and_saveexec_b64 s[26:27], vcc
	s_cbranch_execz .LBB4_138
; %bb.137:                              ;   in Loop: Header=BB4_57 Depth=2
	v_mov_b32_e32 v3, 1
	s_waitcnt vmcnt(0) lgkmcnt(0)
	buffer_wbinvl1_vol
.LBB4_138:                              ;   in Loop: Header=BB4_57 Depth=2
	s_or_b64 exec, exec, s[26:27]
	s_andn2_saveexec_b64 s[26:27], s[36:37]
	s_cbranch_execnz .LBB4_174
.LBB4_139:                              ;   in Loop: Header=BB4_57 Depth=2
	s_or_b64 exec, exec, s[26:27]
	v_cmp_ne_u32_e32 vcc, 0, v3
	s_and_saveexec_b64 s[26:27], vcc
	s_cbranch_execz .LBB4_56
	s_branch .LBB4_192
.LBB4_140:                              ;   in Loop: Header=BB4_57 Depth=2
	s_and_saveexec_b64 s[26:27], s[10:11]
	s_cbranch_execnz .LBB4_155
	s_branch .LBB4_135
.LBB4_141:                              ;   in Loop: Header=BB4_57 Depth=2
	v_ashrrev_i32_e32 v1, 31, v7
	v_lshrrev_b32_e32 v1, 21, v1
	v_add_u32_e32 v1, v7, v1
	v_ashrrev_i32_e32 v3, 11, v1
	v_accvgpr_read_b32 v1, a29
	v_sub_u32_e32 v13, v3, v1
	v_cmp_lt_i32_e32 vcc, 0, v13
	s_and_saveexec_b64 s[26:27], vcc
	s_cbranch_execz .LBB4_145
; %bb.142:                              ;   in Loop: Header=BB4_57 Depth=2
	s_trap 2
	ds_read_b64 v[8:9], v0
	v_accvgpr_read_b32 v10, a42
	s_mov_b64 s[36:37], 0
	v_accvgpr_read_b32 v11, a43
	v_accvgpr_read_b32 v1, a31
	;; [unrolled: 1-line block ×3, first 2 shown]
.LBB4_143:                              ;   Parent Loop BB4_47 Depth=1
                                        ;     Parent Loop BB4_57 Depth=2
                                        ; =>    This Inner Loop Header: Depth=3
	s_waitcnt lgkmcnt(0)
	v_add_co_u32_e32 v22, vcc, v8, v10
	v_addc_co_u32_e32 v23, vcc, v9, v11, vcc
	global_load_dwordx4 v[14:17], v[22:23], off glc slc
	global_load_dwordx4 v[18:21], v[22:23], off offset:1024 glc slc
	v_add_co_u32_e32 v10, vcc, v10, v1
	v_sub_u32_e32 v13, v13, v24
	v_addc_co_u32_e32 v11, vcc, v11, v12, vcc
	v_cmp_gt_i32_e32 vcc, 1, v13
	s_or_b64 s[36:37], vcc, s[36:37]
	s_waitcnt vmcnt(0)
	global_store_dwordx4 v[22:23], v[14:17], off glc slc
	s_waitcnt vmcnt(1)
	global_store_dwordx4 v[22:23], v[18:21], off offset:1024 glc slc
	s_andn2_b64 exec, exec, s[36:37]
	s_cbranch_execnz .LBB4_143
; %bb.144:                              ;   in Loop: Header=BB4_57 Depth=2
	s_or_b64 exec, exec, s[36:37]
.LBB4_145:                              ;   in Loop: Header=BB4_57 Depth=2
	s_or_b64 exec, exec, s[26:27]
	v_lshlrev_b32_e32 v12, 11, v3
	v_cmp_ne_u32_e32 vcc, v7, v12
	s_mov_b64 s[60:61], 0
	v_mov_b32_e32 v11, 0
                                        ; implicit-def: $vgpr14
                                        ; implicit-def: $vgpr15
                                        ; implicit-def: $vgpr3
	s_and_saveexec_b64 s[36:37], vcc
	s_cbranch_execz .LBB4_153
; %bb.146:                              ;   in Loop: Header=BB4_57 Depth=2
	v_lshlrev_b32_e32 v1, 6, v13
	v_accvgpr_read_b32 v8, a38
	v_sub_u32_e32 v1, v8, v1
	v_ashrrev_i32_e32 v8, 31, v1
	v_lshrrev_b32_e32 v8, 26, v8
	v_add_u32_e32 v8, v1, v8
	v_sub_u32_e32 v3, v7, v12
	v_ashrrev_i32_e32 v9, 6, v8
	v_and_b32_e32 v8, 0xffffffc0, v8
	v_sub_u32_e32 v13, v1, v8
	v_ashrrev_i32_e32 v8, 31, v3
	v_lshrrev_b32_e32 v8, 22, v8
	v_add_u32_e32 v8, v3, v8
	v_and_b32_e32 v16, 0xfffffc00, v8
	v_lshlrev_b32_e32 v1, 4, v13
	v_sub_u32_e32 v18, v3, v16
	v_lshl_add_u32 v1, v9, 10, v1
	v_ashrrev_i32_e32 v10, 10, v8
	v_cmp_lt_i32_e32 vcc, 15, v18
	v_sub_u32_e32 v11, v3, v1
	v_addc_co_u32_e64 v3, s[26:27], 0, v10, vcc
	v_sub_u32_e32 v17, v3, v9
	v_cmp_lt_i32_e64 s[26:27], 15, v11
	s_and_saveexec_b64 s[60:61], s[26:27]
	s_cbranch_execz .LBB4_150
; %bb.147:                              ;   in Loop: Header=BB4_57 Depth=2
	s_trap 2
	ds_read_b64 v[8:9], v0
	v_add_u32_e32 v10, v1, v12
	v_ashrrev_i32_e32 v3, 31, v10
	s_mov_b64 s[62:63], 0
	v_accvgpr_read_b32 v1, a26
	v_accvgpr_read_b32 v19, a39
	;; [unrolled: 1-line block ×3, first 2 shown]
.LBB4_148:                              ;   Parent Loop BB4_47 Depth=1
                                        ;     Parent Loop BB4_57 Depth=2
                                        ; =>    This Inner Loop Header: Depth=3
	s_waitcnt lgkmcnt(0)
	v_add_co_u32_e64 v14, s[26:27], v8, v10
	v_addc_co_u32_e64 v15, s[26:27], v9, v3, s[26:27]
	global_load_dwordx4 v[20:23], v[14:15], off glc slc
	v_add_co_u32_e64 v10, s[26:27], v10, v19
	v_sub_u32_e32 v11, v11, v1
	v_addc_co_u32_e64 v3, s[26:27], v3, v25, s[26:27]
	v_cmp_gt_i32_e64 s[26:27], 16, v11
	v_sub_u32_e32 v17, v17, v24
	s_or_b64 s[62:63], s[26:27], s[62:63]
	s_waitcnt vmcnt(0)
	global_store_dwordx4 v[14:15], v[20:23], off glc slc
	s_andn2_b64 exec, exec, s[62:63]
	s_cbranch_execnz .LBB4_148
; %bb.149:                              ;   in Loop: Header=BB4_57 Depth=2
	s_or_b64 exec, exec, s[62:63]
.LBB4_150:                              ;   in Loop: Header=BB4_57 Depth=2
	s_or_b64 exec, exec, s[60:61]
	v_and_b32_e32 v1, 15, v7
	v_cndmask_b32_e32 v14, v18, v1, vcc
	v_cmp_ne_u32_e64 s[26:27], 0, v14
	s_mov_b64 s[60:61], 0
	v_mov_b32_e32 v11, 0
                                        ; implicit-def: $vgpr15
                                        ; implicit-def: $vgpr3
	s_and_saveexec_b64 s[62:63], s[26:27]
	s_cbranch_execz .LBB4_152
; %bb.151:                              ;   in Loop: Header=BB4_57 Depth=2
	v_sub_u32_e32 v1, v18, v1
	v_cndmask_b32_e32 v1, 0, v1, vcc
	v_cmp_lt_i32_e32 vcc, 0, v17
	v_add3_u32 v11, v16, v12, v1
	v_cndmask_b32_e32 v1, 0, v24, vcc
	v_sub_u32_e32 v1, v1, v17
	v_lshl_add_u32 v15, v1, 6, v13
	v_ashrrev_i32_e32 v1, 31, v15
	v_lshrrev_b32_e32 v1, 26, v1
	v_add_u32_e32 v1, v15, v1
	s_mov_b64 s[60:61], exec
	v_ashrrev_i32_e32 v3, 6, v1
.LBB4_152:                              ;   in Loop: Header=BB4_57 Depth=2
	s_or_b64 exec, exec, s[62:63]
	s_and_b64 s[60:61], s[60:61], exec
.LBB4_153:                              ;   in Loop: Header=BB4_57 Depth=2
	s_or_b64 exec, exec, s[36:37]
	s_and_saveexec_b64 s[26:27], s[60:61]
	s_cbranch_execnz .LBB4_126
.LBB4_154:                              ;   in Loop: Header=BB4_57 Depth=2
	s_or_b64 exec, exec, s[26:27]
	s_and_saveexec_b64 s[26:27], s[10:11]
	s_cbranch_execz .LBB4_135
.LBB4_155:                              ;   in Loop: Header=BB4_57 Depth=2
	s_and_saveexec_b64 vcc, s[46:47]
	s_xor_b64 s[36:37], exec, vcc
	s_cbranch_execz .LBB4_170
; %bb.156:                              ;   in Loop: Header=BB4_57 Depth=2
	s_and_saveexec_b64 s[60:61], s[16:17]
	s_cbranch_execz .LBB4_169
; %bb.157:                              ;   in Loop: Header=BB4_57 Depth=2
	s_mov_b64 s[64:65], exec
	v_mbcnt_lo_u32_b32 v1, s64, 0
	v_mbcnt_hi_u32_b32 v1, s65, v1
	v_cmp_eq_u32_e32 vcc, 0, v1
	s_waitcnt vmcnt(0) lgkmcnt(0)
	buffer_wbinvl1_vol
	s_and_saveexec_b64 s[62:63], vcc
	s_cbranch_execz .LBB4_159
; %bb.158:                              ;   in Loop: Header=BB4_57 Depth=2
	s_bcnt1_i32_b64 vcc_lo, s[64:65]
	v_mov_b32_e32 v58, vcc_lo
	ds_add_u64 v0, v[58:59]
	s_trap 2
.LBB4_159:                              ;   in Loop: Header=BB4_57 Depth=2
	s_or_b64 exec, exec, s[62:63]
	s_trap 2
	ds_read_b64 v[8:9], v0
	v_accvgpr_read_b32 v10, a14
	v_accvgpr_read_b32 v11, a15
	v_add_co_u32_e32 v10, vcc, v10, v24
	v_addc_co_u32_e32 v11, vcc, 0, v11, vcc
	v_accvgpr_write_b32 a15, v11
	v_accvgpr_write_b32 a14, v10
	s_waitcnt lgkmcnt(0)
	v_cmp_lt_u64_e32 vcc, v[8:9], v[10:11]
	s_and_saveexec_b64 s[62:63], vcc
	s_cbranch_execz .LBB4_168
; %bb.160:                              ;   in Loop: Header=BB4_57 Depth=2
	s_mov_b32 s39, 0
	s_mov_b64 s[64:65], 0
                                        ; implicit-def: $sgpr66_sgpr67
                                        ; implicit-def: $sgpr68_sgpr69
	s_branch .LBB4_162
.LBB4_161:                              ;   in Loop: Header=BB4_162 Depth=3
	s_or_b64 exec, exec, s[72:73]
	s_and_b64 vcc, exec, vcc
	s_or_b64 s[64:65], vcc, s[64:65]
	s_andn2_b64 vcc, s[66:67], exec
	s_and_b64 s[66:67], s[68:69], exec
	s_or_b64 s[66:67], vcc, s[66:67]
	s_andn2_b64 exec, exec, s[64:65]
	s_cbranch_execz .LBB4_166
.LBB4_162:                              ;   Parent Loop BB4_47 Depth=1
                                        ;     Parent Loop BB4_57 Depth=2
                                        ; =>    This Inner Loop Header: Depth=3
	s_add_i32 s39, s39, 1
	s_cmpk_lg_i32 s39, 0x2710
	s_cselect_b64 s[70:71], -1, 0
	s_and_b64 vcc, exec, s[70:71]
                                        ; implicit-def: $sgpr72_sgpr73
	s_cbranch_vccnz .LBB4_164
; %bb.163:                              ;   in Loop: Header=BB4_162 Depth=3
	s_trap 2
	ds_read_b64 v[8:9], v0
	s_andn2_b64 s[70:71], s[70:71], exec
	s_mov_b32 s39, 0
	s_mov_b64 s[72:73], -1
	s_waitcnt lgkmcnt(0)
	flat_load_dword v1, v[8:9] glc
	s_waitcnt vmcnt(0) lgkmcnt(0)
	buffer_invl2
	buffer_wbinvl1_vol
	v_cmp_eq_u32_e32 vcc, 0, v1
	s_and_b64 vcc, vcc, exec
	s_or_b64 s[70:71], s[70:71], vcc
.LBB4_164:                              ;   in Loop: Header=BB4_162 Depth=3
	s_andn2_b64 s[68:69], s[68:69], exec
	s_and_b64 s[72:73], s[72:73], exec
	s_mov_b64 vcc, -1
	s_or_b64 s[68:69], s[68:69], s[72:73]
	s_and_saveexec_b64 s[72:73], s[70:71]
	s_cbranch_execz .LBB4_161
; %bb.165:                              ;   in Loop: Header=BB4_162 Depth=3
	s_sleep 1
	s_trap 2
	ds_read_b64 v[8:9], v0
	v_accvgpr_read_b32 v10, a14
	v_accvgpr_read_b32 v11, a15
	s_andn2_b64 s[68:69], s[68:69], exec
	s_waitcnt lgkmcnt(0)
	v_cmp_ge_u64_e32 vcc, v[8:9], v[10:11]
	s_orn2_b64 vcc, vcc, exec
	s_branch .LBB4_161
.LBB4_166:                              ;   in Loop: Header=BB4_57 Depth=2
	s_or_b64 exec, exec, s[64:65]
	s_and_saveexec_b64 vcc, s[66:67]
	s_xor_b64 vcc, exec, vcc
	s_cbranch_execz .LBB4_168
; %bb.167:                              ;   in Loop: Header=BB4_57 Depth=2
	v_mov_b32_e32 v1, 1
	ds_write_b32 v0, v1
	s_trap 2
.LBB4_168:                              ;   in Loop: Header=BB4_57 Depth=2
	s_or_b64 exec, exec, s[62:63]
	;;#ASMSTART
	s_wakeup
	;;#ASMEND
.LBB4_169:                              ;   in Loop: Header=BB4_57 Depth=2
	s_or_b64 exec, exec, s[60:61]
.LBB4_170:                              ;   in Loop: Header=BB4_57 Depth=2
	s_andn2_saveexec_b64 vcc, s[36:37]
	s_cbranch_execz .LBB4_172
; %bb.171:                              ;   in Loop: Header=BB4_57 Depth=2
	s_waitcnt vmcnt(0) lgkmcnt(0)
	buffer_wbinvl1_vol
	s_barrier
.LBB4_172:                              ;   in Loop: Header=BB4_57 Depth=2
	s_or_b64 exec, exec, vcc
	s_or_b64 exec, exec, s[26:27]
                                        ; implicit-def: $vgpr3
	s_and_saveexec_b64 s[26:27], s[24:25]
	s_xor_b64 s[36:37], exec, s[26:27]
	s_cbranch_execnz .LBB4_136
.LBB4_173:                              ;   in Loop: Header=BB4_57 Depth=2
	s_andn2_saveexec_b64 s[26:27], s[36:37]
	s_cbranch_execz .LBB4_139
.LBB4_174:                              ;   in Loop: Header=BB4_57 Depth=2
	s_and_saveexec_b64 vcc, s[46:47]
	s_xor_b64 s[36:37], exec, vcc
	s_cbranch_execz .LBB4_189
; %bb.175:                              ;   in Loop: Header=BB4_57 Depth=2
	s_and_saveexec_b64 s[60:61], s[16:17]
	s_cbranch_execz .LBB4_188
; %bb.176:                              ;   in Loop: Header=BB4_57 Depth=2
	s_mov_b64 s[64:65], exec
	v_mbcnt_lo_u32_b32 v1, s64, 0
	v_mbcnt_hi_u32_b32 v1, s65, v1
	v_cmp_eq_u32_e32 vcc, 0, v1
	;;#ASMSTART
	s_waitcnt lgkmcnt(0) vmcnt(0)
	;;#ASMEND
	s_and_saveexec_b64 s[62:63], vcc
	s_cbranch_execz .LBB4_178
; %bb.177:                              ;   in Loop: Header=BB4_57 Depth=2
	s_bcnt1_i32_b64 vcc_lo, s[64:65]
	v_mov_b32_e32 v58, vcc_lo
	ds_add_u64 v0, v[58:59]
	s_trap 2
.LBB4_178:                              ;   in Loop: Header=BB4_57 Depth=2
	s_or_b64 exec, exec, s[62:63]
	s_trap 2
	ds_read_b64 v[8:9], v0
	v_accvgpr_read_b32 v10, a14
	v_accvgpr_read_b32 v11, a15
	v_add_co_u32_e32 v10, vcc, v10, v24
	v_addc_co_u32_e32 v11, vcc, 0, v11, vcc
	v_accvgpr_write_b32 a15, v11
	v_accvgpr_write_b32 a14, v10
	s_waitcnt lgkmcnt(0)
	v_cmp_lt_u64_e32 vcc, v[8:9], v[10:11]
	s_and_saveexec_b64 s[62:63], vcc
	s_cbranch_execz .LBB4_187
; %bb.179:                              ;   in Loop: Header=BB4_57 Depth=2
	s_mov_b32 s39, 0
	s_mov_b64 s[64:65], 0
                                        ; implicit-def: $sgpr66_sgpr67
                                        ; implicit-def: $sgpr68_sgpr69
	s_branch .LBB4_181
.LBB4_180:                              ;   in Loop: Header=BB4_181 Depth=3
	s_or_b64 exec, exec, s[72:73]
	s_and_b64 vcc, exec, vcc
	s_or_b64 s[64:65], vcc, s[64:65]
	s_andn2_b64 vcc, s[66:67], exec
	s_and_b64 s[66:67], s[68:69], exec
	s_or_b64 s[66:67], vcc, s[66:67]
	s_andn2_b64 exec, exec, s[64:65]
	s_cbranch_execz .LBB4_185
.LBB4_181:                              ;   Parent Loop BB4_47 Depth=1
                                        ;     Parent Loop BB4_57 Depth=2
                                        ; =>    This Inner Loop Header: Depth=3
	s_add_i32 s39, s39, 1
	s_cmpk_lg_i32 s39, 0x2710
	s_cselect_b64 s[70:71], -1, 0
	s_and_b64 vcc, exec, s[70:71]
                                        ; implicit-def: $sgpr72_sgpr73
	s_cbranch_vccnz .LBB4_183
; %bb.182:                              ;   in Loop: Header=BB4_181 Depth=3
	s_trap 2
	ds_read_b64 v[8:9], v0
	s_andn2_b64 s[70:71], s[70:71], exec
	s_mov_b32 s39, 0
	s_mov_b64 s[72:73], -1
	s_waitcnt vmcnt(0) lgkmcnt(0)
	flat_load_dword v1, v[8:9] glc
	s_waitcnt vmcnt(0) lgkmcnt(0)
	buffer_invl2
	buffer_wbinvl1_vol
	v_cmp_eq_u32_e32 vcc, 0, v1
	s_and_b64 vcc, vcc, exec
	s_or_b64 s[70:71], s[70:71], vcc
.LBB4_183:                              ;   in Loop: Header=BB4_181 Depth=3
	s_andn2_b64 s[68:69], s[68:69], exec
	s_and_b64 s[72:73], s[72:73], exec
	s_mov_b64 vcc, -1
	s_or_b64 s[68:69], s[68:69], s[72:73]
	s_and_saveexec_b64 s[72:73], s[70:71]
	s_cbranch_execz .LBB4_180
; %bb.184:                              ;   in Loop: Header=BB4_181 Depth=3
	s_sleep 1
	s_trap 2
	ds_read_b64 v[8:9], v0
	v_accvgpr_read_b32 v10, a14
	v_accvgpr_read_b32 v11, a15
	s_andn2_b64 s[68:69], s[68:69], exec
	s_waitcnt lgkmcnt(0)
	v_cmp_ge_u64_e32 vcc, v[8:9], v[10:11]
	s_orn2_b64 vcc, vcc, exec
	s_branch .LBB4_180
.LBB4_185:                              ;   in Loop: Header=BB4_57 Depth=2
	s_or_b64 exec, exec, s[64:65]
	s_and_saveexec_b64 vcc, s[66:67]
	s_xor_b64 vcc, exec, vcc
	s_cbranch_execz .LBB4_187
; %bb.186:                              ;   in Loop: Header=BB4_57 Depth=2
	v_mov_b32_e32 v1, 1
	ds_write_b32 v0, v1
	s_trap 2
.LBB4_187:                              ;   in Loop: Header=BB4_57 Depth=2
	s_or_b64 exec, exec, s[62:63]
	;;#ASMSTART
	s_wakeup
	;;#ASMEND
.LBB4_188:                              ;   in Loop: Header=BB4_57 Depth=2
	s_or_b64 exec, exec, s[60:61]
.LBB4_189:                              ;   in Loop: Header=BB4_57 Depth=2
	s_andn2_saveexec_b64 vcc, s[36:37]
	s_cbranch_execz .LBB4_191
; %bb.190:                              ;   in Loop: Header=BB4_57 Depth=2
	;;#ASMSTART
	s_waitcnt lgkmcnt(0) vmcnt(0)
	;;#ASMEND
	s_barrier
.LBB4_191:                              ;   in Loop: Header=BB4_57 Depth=2
	s_or_b64 exec, exec, vcc
	v_and_b32_e32 v3, 16, v60
	s_or_b64 exec, exec, s[26:27]
	v_cmp_ne_u32_e32 vcc, 0, v3
	s_and_saveexec_b64 s[26:27], vcc
	s_cbranch_execz .LBB4_56
.LBB4_192:                              ;   in Loop: Header=BB4_57 Depth=2
	s_and_saveexec_b64 vcc, s[14:15]
	s_cbranch_execz .LBB4_55
; %bb.193:                              ;   in Loop: Header=BB4_57 Depth=2
	v_accvgpr_read_b32 v8, a20
	v_accvgpr_read_b32 v9, a21
	v_mov_b32_e32 v1, 1
	flat_store_dword v[8:9], v1
	s_branch .LBB4_55
.LBB4_194:                              ;   in Loop: Header=BB4_47 Depth=1
	s_or_b64 exec, exec, s[30:31]
.LBB4_195:                              ;   in Loop: Header=BB4_47 Depth=1
	s_or_b64 exec, exec, s[28:29]
	v_cmp_gt_i32_e32 vcc, 2, v3
	s_and_saveexec_b64 s[28:29], vcc
	s_cbranch_execz .LBB4_267
; %bb.196:                              ;   in Loop: Header=BB4_47 Depth=1
	v_cmp_eq_u32_e64 s[26:27], 0, v3
	s_mov_b64 s[30:31], 0
	s_branch .LBB4_199
.LBB4_197:                              ;   in Loop: Header=BB4_199 Depth=2
	s_or_b64 exec, exec, vcc
	v_add_co_u32_e32 v44, vcc, 2, v44
	v_addc_co_u32_e32 v45, vcc, 0, v45, vcc
	flat_store_dwordx2 v[48:49], v[44:45]
.LBB4_198:                              ;   in Loop: Header=BB4_199 Depth=2
	s_or_b64 exec, exec, s[26:27]
	v_add_u32_e32 v6, v2, v6
	s_mov_b64 s[26:27], 0
	s_andn2_b64 exec, exec, s[30:31]
	s_cbranch_execz .LBB4_266
.LBB4_199:                              ;   Parent Loop BB4_47 Depth=1
                                        ; =>  This Loop Header: Depth=2
                                        ;       Child Loop BB4_205 Depth 3
                                        ;       Child Loop BB4_234 Depth 3
	;; [unrolled: 1-line block ×3, first 2 shown]
	v_and_b32_e32 v1, 8, v60
	s_mov_b64 s[36:37], -1
	v_cmp_ne_u32_e32 vcc, 0, v1
	s_and_saveexec_b64 s[34:35], vcc
	s_cbranch_execz .LBB4_211
; %bb.200:                              ;   in Loop: Header=BB4_199 Depth=2
	v_add_co_u32_e32 v8, vcc, 8, v50
	v_addc_co_u32_e32 v9, vcc, 0, v51, vcc
	v_add_co_u32_e32 v4, vcc, 2, v44
	v_addc_co_u32_e32 v5, vcc, 0, v45, vcc
	v_cmp_lt_u64_e32 vcc, v[8:9], v[4:5]
	v_mov_b32_e32 v1, 1
	s_and_saveexec_b64 s[36:37], vcc
	s_cbranch_execz .LBB4_210
; %bb.201:                              ;   in Loop: Header=BB4_199 Depth=2
	s_mov_b64 s[60:61], 0
	v_mov_b32_e32 v3, 0
                                        ; implicit-def: $sgpr62_sgpr63
	s_branch .LBB4_205
.LBB4_202:                              ;   in Loop: Header=BB4_205 Depth=3
	s_or_b64 exec, exec, s[70:71]
	v_mov_b32_e32 v7, 0
	s_orn2_b64 s[68:69], s[68:69], exec
.LBB4_203:                              ;   in Loop: Header=BB4_205 Depth=3
	s_or_b64 exec, exec, s[66:67]
	s_andn2_b64 vcc, s[62:63], exec
	s_and_b64 s[62:63], s[68:69], exec
	s_or_b64 s[62:63], vcc, s[62:63]
	v_mov_b32_e32 v3, v7
.LBB4_204:                              ;   in Loop: Header=BB4_205 Depth=3
	s_or_b64 exec, exec, s[64:65]
	s_waitcnt vmcnt(0) lgkmcnt(0)
	v_add_co_u32_e32 v8, vcc, 8, v50
	v_addc_co_u32_e32 v9, vcc, 0, v51, vcc
	v_cmp_ge_u64_e32 vcc, v[8:9], v[4:5]
	s_xor_b64 s[64:65], s[62:63], -1
	s_or_b64 vcc, s[64:65], vcc
	s_and_b64 vcc, exec, vcc
	s_or_b64 s[60:61], vcc, s[60:61]
	s_andn2_b64 exec, exec, s[60:61]
	s_cbranch_execz .LBB4_209
.LBB4_205:                              ;   Parent Loop BB4_47 Depth=1
                                        ;     Parent Loop BB4_199 Depth=2
                                        ; =>    This Inner Loop Header: Depth=3
	s_sleep 1
	flat_load_dwordx2 v[50:51], v[48:49] glc
	v_and_b32_e32 v1, 64, v60
	v_cmp_eq_u32_e32 vcc, 0, v1
	s_andn2_b64 s[62:63], s[62:63], exec
	s_and_saveexec_b64 s[64:65], vcc
	s_cbranch_execz .LBB4_204
; %bb.206:                              ;   in Loop: Header=BB4_205 Depth=3
	v_add_u32_e32 v7, 1, v3
	v_cmp_lt_i32_e32 vcc, s89, v3
	s_mov_b64 s[68:69], -1
	s_and_saveexec_b64 s[66:67], vcc
	s_cbranch_execz .LBB4_203
; %bb.207:                              ;   in Loop: Header=BB4_205 Depth=3
	s_trap 2
	ds_read_b64 v[8:9], v0
	s_waitcnt vmcnt(0) lgkmcnt(0)
	flat_load_dword v1, v[8:9] glc
	s_waitcnt vmcnt(0) lgkmcnt(0)
	buffer_invl2
	buffer_wbinvl1_vol
	v_cmp_ne_u32_e32 vcc, 0, v1
	s_and_saveexec_b64 s[70:71], vcc
	s_cbranch_execz .LBB4_202
; %bb.208:                              ;   in Loop: Header=BB4_205 Depth=3
	v_or_b32_e32 v60, 64, v60
	s_xor_b64 s[68:69], exec, -1
	ds_write_b32 v0, v1
	s_trap 2
	s_branch .LBB4_202
.LBB4_209:                              ;   in Loop: Header=BB4_199 Depth=2
	s_or_b64 exec, exec, s[60:61]
	v_and_b32_e32 v1, 8, v60
.LBB4_210:                              ;   in Loop: Header=BB4_199 Depth=2
	s_or_b64 exec, exec, s[36:37]
	v_cmp_eq_u32_e32 vcc, 0, v1
	s_orn2_b64 s[36:37], vcc, exec
	;;#ASMSTART
	s_wakeup
	;;#ASMEND
.LBB4_211:                              ;   in Loop: Header=BB4_199 Depth=2
	s_or_b64 exec, exec, s[34:35]
	s_xor_b64 s[26:27], s[26:27], -1
	s_and_b64 s[26:27], exec, s[26:27]
	s_or_b64 s[30:31], s[26:27], s[30:31]
	v_sub_u32_e32 v1, v0, v6
	s_xor_b64 s[26:27], s[36:37], -1
	v_min_i32_e32 v2, v2, v1
	s_and_saveexec_b64 s[34:35], s[26:27]
	s_cbranch_execz .LBB4_226
; %bb.212:                              ;   in Loop: Header=BB4_199 Depth=2
	v_and_b32_e32 v1, 0x100, v60
	v_cmp_ne_u32_e32 vcc, 0, v1
	v_and_b32_e32 v7, 7, v44
	s_mov_b64 s[26:27], -1
                                        ; implicit-def: $vgpr4_vgpr5
	s_and_saveexec_b64 s[36:37], vcc
	s_cbranch_execz .LBB4_216
; %bb.213:                              ;   in Loop: Header=BB4_199 Depth=2
	v_accvgpr_read_b32 v4, a12
	v_accvgpr_read_b32 v5, a13
	v_mad_u64_u32 v[8:9], s[26:27], v7, 24, v[4:5]
	flat_load_dword v1, v[8:9]
	v_ashrrev_i32_e32 v3, 31, v2
	flat_store_dwordx2 v[8:9], v[2:3] offset:8
                                        ; implicit-def: $vgpr4_vgpr5
	s_waitcnt vmcnt(0) lgkmcnt(0)
	v_cmp_ne_u32_e32 vcc, 1, v1
	v_cmp_eq_u32_e64 s[26:27], 1, v1
	s_and_saveexec_b64 s[60:61], s[26:27]
	s_cbranch_execz .LBB4_215
; %bb.214:                              ;   in Loop: Header=BB4_199 Depth=2
	flat_load_dword v4, v[8:9] offset:4 glc
	s_waitcnt vmcnt(0) lgkmcnt(0)
	v_ashrrev_i32_e32 v5, 31, v4
.LBB4_215:                              ;   in Loop: Header=BB4_199 Depth=2
	s_or_b64 exec, exec, s[60:61]
	s_orn2_b64 s[26:27], vcc, exec
.LBB4_216:                              ;   in Loop: Header=BB4_199 Depth=2
	s_or_b64 exec, exec, s[36:37]
	s_and_saveexec_b64 vcc, s[26:27]
; %bb.217:                              ;   in Loop: Header=BB4_199 Depth=2
	v_accvgpr_read_b32 v4, a16
	v_mad_i64_i32 v[4:5], s[26:27], v7, v4, 0
; %bb.218:                              ;   in Loop: Header=BB4_199 Depth=2
	s_or_b64 exec, exec, vcc
	v_accvgpr_read_b32 v8, a18
	v_accvgpr_read_b32 v9, a19
	v_add_co_u32_e32 v4, vcc, v8, v4
	v_addc_co_u32_e32 v5, vcc, v9, v5, vcc
	v_and_b32_e32 v1, 0x2000, v60
	v_cmp_ne_u32_e32 vcc, 0, v1
	ds_write_b64 v0, v[4:5] offset:784
	s_and_saveexec_b64 s[26:27], vcc
	s_cbranch_execz .LBB4_220
; %bb.219:                              ;   in Loop: Header=BB4_199 Depth=2
	ds_read_b64 v[4:5], v0 offset:584
	s_waitcnt lgkmcnt(0)
	v_add_co_u32_e32 v4, vcc, 1, v4
	v_addc_co_u32_e32 v5, vcc, 0, v5, vcc
	ds_write_b64 v0, v[4:5] offset:584
.LBB4_220:                              ;   in Loop: Header=BB4_199 Depth=2
	s_or_b64 exec, exec, s[26:27]
	v_add_co_u32_e32 v44, vcc, 2, v44
	v_addc_co_u32_e32 v45, vcc, 0, v45, vcc
	s_or_b64 exec, exec, s[34:35]
	s_and_saveexec_b64 s[26:27], s[10:11]
	s_cbranch_execnz .LBB4_227
.LBB4_221:                              ;   in Loop: Header=BB4_199 Depth=2
	s_or_b64 exec, exec, s[26:27]
                                        ; implicit-def: $vgpr3
	s_and_saveexec_b64 s[26:27], s[24:25]
	s_xor_b64 s[26:27], exec, s[26:27]
	s_cbranch_execz .LBB4_245
.LBB4_222:                              ;   in Loop: Header=BB4_199 Depth=2
	s_trap 2
	ds_read_b32 v1, v0
	v_cmp_lt_i32_e32 vcc, 0, v2
	v_and_b32_e32 v4, 16, v60
	v_and_b32_e32 v3, 16, v60
	s_waitcnt lgkmcnt(0)
	v_readfirstlane_b32 s9, v1
	s_cmp_eq_u32 s9, 0
	s_cselect_b64 s[34:35], -1, 0
	s_and_b64 s[34:35], vcc, s[34:35]
	v_cmp_ne_u32_e32 vcc, 0, v4
	s_and_b64 s[34:35], vcc, s[34:35]
	s_and_saveexec_b64 vcc, s[34:35]
	s_cbranch_execz .LBB4_224
; %bb.223:                              ;   in Loop: Header=BB4_199 Depth=2
	v_mov_b32_e32 v3, 1
	s_waitcnt vmcnt(0)
	buffer_wbinvl1_vol
.LBB4_224:                              ;   in Loop: Header=BB4_199 Depth=2
	s_or_b64 exec, exec, vcc
	s_andn2_saveexec_b64 s[26:27], s[26:27]
	s_cbranch_execnz .LBB4_246
.LBB4_225:                              ;   in Loop: Header=BB4_199 Depth=2
	s_or_b64 exec, exec, s[26:27]
	v_cmp_ne_u32_e32 vcc, 0, v3
	s_and_saveexec_b64 s[26:27], vcc
	s_cbranch_execz .LBB4_198
	s_branch .LBB4_264
.LBB4_226:                              ;   in Loop: Header=BB4_199 Depth=2
	s_or_b64 exec, exec, s[34:35]
	s_and_saveexec_b64 s[26:27], s[10:11]
	s_cbranch_execz .LBB4_221
.LBB4_227:                              ;   in Loop: Header=BB4_199 Depth=2
	s_and_saveexec_b64 vcc, s[46:47]
	s_xor_b64 s[34:35], exec, vcc
	s_cbranch_execz .LBB4_242
; %bb.228:                              ;   in Loop: Header=BB4_199 Depth=2
	s_and_saveexec_b64 s[36:37], s[16:17]
	s_cbranch_execz .LBB4_241
; %bb.229:                              ;   in Loop: Header=BB4_199 Depth=2
	s_mov_b64 s[62:63], exec
	v_mbcnt_lo_u32_b32 v1, s62, 0
	v_mbcnt_hi_u32_b32 v1, s63, v1
	v_cmp_eq_u32_e32 vcc, 0, v1
	s_waitcnt vmcnt(0) lgkmcnt(0)
	buffer_wbinvl1_vol
	s_and_saveexec_b64 s[60:61], vcc
	s_cbranch_execz .LBB4_231
; %bb.230:                              ;   in Loop: Header=BB4_199 Depth=2
	s_bcnt1_i32_b64 s9, s[62:63]
	v_mov_b32_e32 v58, s9
	ds_add_u64 v0, v[58:59]
	s_trap 2
.LBB4_231:                              ;   in Loop: Header=BB4_199 Depth=2
	s_or_b64 exec, exec, s[60:61]
	s_trap 2
	ds_read_b64 v[4:5], v0
	v_accvgpr_read_b32 v8, a14
	v_accvgpr_read_b32 v9, a15
	v_add_co_u32_e32 v8, vcc, v8, v24
	v_addc_co_u32_e32 v9, vcc, 0, v9, vcc
	v_accvgpr_write_b32 a15, v9
	v_accvgpr_write_b32 a14, v8
	s_waitcnt lgkmcnt(0)
	v_cmp_lt_u64_e32 vcc, v[4:5], v[8:9]
	s_and_saveexec_b64 s[60:61], vcc
	s_cbranch_execz .LBB4_240
; %bb.232:                              ;   in Loop: Header=BB4_199 Depth=2
	s_mov_b32 s9, 0
	s_mov_b64 s[62:63], 0
                                        ; implicit-def: $sgpr64_sgpr65
                                        ; implicit-def: $sgpr66_sgpr67
	s_branch .LBB4_234
.LBB4_233:                              ;   in Loop: Header=BB4_234 Depth=3
	s_or_b64 exec, exec, s[70:71]
	s_and_b64 vcc, exec, vcc
	s_or_b64 s[62:63], vcc, s[62:63]
	s_andn2_b64 vcc, s[64:65], exec
	s_and_b64 s[64:65], s[66:67], exec
	s_or_b64 s[64:65], vcc, s[64:65]
	s_andn2_b64 exec, exec, s[62:63]
	s_cbranch_execz .LBB4_238
.LBB4_234:                              ;   Parent Loop BB4_47 Depth=1
                                        ;     Parent Loop BB4_199 Depth=2
                                        ; =>    This Inner Loop Header: Depth=3
	s_add_i32 s9, s9, 1
	s_cmpk_lg_i32 s9, 0x2710
	s_cselect_b64 s[68:69], -1, 0
	s_and_b64 vcc, exec, s[68:69]
                                        ; implicit-def: $sgpr70_sgpr71
	s_cbranch_vccnz .LBB4_236
; %bb.235:                              ;   in Loop: Header=BB4_234 Depth=3
	s_trap 2
	ds_read_b64 v[4:5], v0
	s_andn2_b64 s[68:69], s[68:69], exec
	s_mov_b32 s9, 0
	s_mov_b64 s[70:71], -1
	s_waitcnt lgkmcnt(0)
	flat_load_dword v1, v[4:5] glc
	s_waitcnt vmcnt(0) lgkmcnt(0)
	buffer_invl2
	buffer_wbinvl1_vol
	v_cmp_eq_u32_e32 vcc, 0, v1
	s_and_b64 vcc, vcc, exec
	s_or_b64 s[68:69], s[68:69], vcc
.LBB4_236:                              ;   in Loop: Header=BB4_234 Depth=3
	s_andn2_b64 s[66:67], s[66:67], exec
	s_and_b64 s[70:71], s[70:71], exec
	s_mov_b64 vcc, -1
	s_or_b64 s[66:67], s[66:67], s[70:71]
	s_and_saveexec_b64 s[70:71], s[68:69]
	s_cbranch_execz .LBB4_233
; %bb.237:                              ;   in Loop: Header=BB4_234 Depth=3
	s_sleep 1
	s_trap 2
	ds_read_b64 v[4:5], v0
	v_accvgpr_read_b32 v8, a14
	v_accvgpr_read_b32 v9, a15
	s_andn2_b64 s[66:67], s[66:67], exec
	s_waitcnt lgkmcnt(0)
	v_cmp_ge_u64_e32 vcc, v[4:5], v[8:9]
	s_orn2_b64 vcc, vcc, exec
	s_branch .LBB4_233
.LBB4_238:                              ;   in Loop: Header=BB4_199 Depth=2
	s_or_b64 exec, exec, s[62:63]
	s_and_saveexec_b64 vcc, s[64:65]
	s_xor_b64 vcc, exec, vcc
	s_cbranch_execz .LBB4_240
; %bb.239:                              ;   in Loop: Header=BB4_199 Depth=2
	v_mov_b32_e32 v1, 1
	ds_write_b32 v0, v1
	s_trap 2
.LBB4_240:                              ;   in Loop: Header=BB4_199 Depth=2
	s_or_b64 exec, exec, s[60:61]
	;;#ASMSTART
	s_wakeup
	;;#ASMEND
.LBB4_241:                              ;   in Loop: Header=BB4_199 Depth=2
	s_or_b64 exec, exec, s[36:37]
.LBB4_242:                              ;   in Loop: Header=BB4_199 Depth=2
	s_andn2_saveexec_b64 vcc, s[34:35]
	s_cbranch_execz .LBB4_244
; %bb.243:                              ;   in Loop: Header=BB4_199 Depth=2
	s_waitcnt vmcnt(0) lgkmcnt(0)
	buffer_wbinvl1_vol
	s_barrier
.LBB4_244:                              ;   in Loop: Header=BB4_199 Depth=2
	s_or_b64 exec, exec, vcc
	s_or_b64 exec, exec, s[26:27]
                                        ; implicit-def: $vgpr3
	s_and_saveexec_b64 s[26:27], s[24:25]
	s_xor_b64 s[26:27], exec, s[26:27]
	s_cbranch_execnz .LBB4_222
.LBB4_245:                              ;   in Loop: Header=BB4_199 Depth=2
	s_andn2_saveexec_b64 s[26:27], s[26:27]
	s_cbranch_execz .LBB4_225
.LBB4_246:                              ;   in Loop: Header=BB4_199 Depth=2
	s_and_saveexec_b64 vcc, s[46:47]
	s_xor_b64 s[34:35], exec, vcc
	s_cbranch_execz .LBB4_261
; %bb.247:                              ;   in Loop: Header=BB4_199 Depth=2
	s_and_saveexec_b64 s[36:37], s[16:17]
	s_cbranch_execz .LBB4_260
; %bb.248:                              ;   in Loop: Header=BB4_199 Depth=2
	s_mov_b64 s[62:63], exec
	v_mbcnt_lo_u32_b32 v1, s62, 0
	v_mbcnt_hi_u32_b32 v1, s63, v1
	v_cmp_eq_u32_e32 vcc, 0, v1
	;;#ASMSTART
	s_waitcnt lgkmcnt(0) vmcnt(0)
	;;#ASMEND
	s_and_saveexec_b64 s[60:61], vcc
	s_cbranch_execz .LBB4_250
; %bb.249:                              ;   in Loop: Header=BB4_199 Depth=2
	s_bcnt1_i32_b64 s9, s[62:63]
	v_mov_b32_e32 v58, s9
	ds_add_u64 v0, v[58:59]
	s_trap 2
.LBB4_250:                              ;   in Loop: Header=BB4_199 Depth=2
	s_or_b64 exec, exec, s[60:61]
	s_trap 2
	ds_read_b64 v[4:5], v0
	v_accvgpr_read_b32 v8, a14
	v_accvgpr_read_b32 v9, a15
	v_add_co_u32_e32 v8, vcc, v8, v24
	v_addc_co_u32_e32 v9, vcc, 0, v9, vcc
	v_accvgpr_write_b32 a15, v9
	v_accvgpr_write_b32 a14, v8
	s_waitcnt lgkmcnt(0)
	v_cmp_lt_u64_e32 vcc, v[4:5], v[8:9]
	s_and_saveexec_b64 s[60:61], vcc
	s_cbranch_execz .LBB4_259
; %bb.251:                              ;   in Loop: Header=BB4_199 Depth=2
	s_mov_b32 s9, 0
	s_mov_b64 s[62:63], 0
                                        ; implicit-def: $sgpr64_sgpr65
                                        ; implicit-def: $sgpr66_sgpr67
	s_branch .LBB4_253
.LBB4_252:                              ;   in Loop: Header=BB4_253 Depth=3
	s_or_b64 exec, exec, s[70:71]
	s_and_b64 vcc, exec, vcc
	s_or_b64 s[62:63], vcc, s[62:63]
	s_andn2_b64 vcc, s[64:65], exec
	s_and_b64 s[64:65], s[66:67], exec
	s_or_b64 s[64:65], vcc, s[64:65]
	s_andn2_b64 exec, exec, s[62:63]
	s_cbranch_execz .LBB4_257
.LBB4_253:                              ;   Parent Loop BB4_47 Depth=1
                                        ;     Parent Loop BB4_199 Depth=2
                                        ; =>    This Inner Loop Header: Depth=3
	s_add_i32 s9, s9, 1
	s_cmpk_lg_i32 s9, 0x2710
	s_cselect_b64 s[68:69], -1, 0
	s_and_b64 vcc, exec, s[68:69]
                                        ; implicit-def: $sgpr70_sgpr71
	s_cbranch_vccnz .LBB4_255
; %bb.254:                              ;   in Loop: Header=BB4_253 Depth=3
	s_trap 2
	ds_read_b64 v[4:5], v0
	s_andn2_b64 s[68:69], s[68:69], exec
	s_mov_b32 s9, 0
	s_mov_b64 s[70:71], -1
	s_waitcnt vmcnt(0) lgkmcnt(0)
	flat_load_dword v1, v[4:5] glc
	s_waitcnt vmcnt(0) lgkmcnt(0)
	buffer_invl2
	buffer_wbinvl1_vol
	v_cmp_eq_u32_e32 vcc, 0, v1
	s_and_b64 vcc, vcc, exec
	s_or_b64 s[68:69], s[68:69], vcc
.LBB4_255:                              ;   in Loop: Header=BB4_253 Depth=3
	s_andn2_b64 s[66:67], s[66:67], exec
	s_and_b64 s[70:71], s[70:71], exec
	s_mov_b64 vcc, -1
	s_or_b64 s[66:67], s[66:67], s[70:71]
	s_and_saveexec_b64 s[70:71], s[68:69]
	s_cbranch_execz .LBB4_252
; %bb.256:                              ;   in Loop: Header=BB4_253 Depth=3
	s_sleep 1
	s_trap 2
	ds_read_b64 v[4:5], v0
	v_accvgpr_read_b32 v8, a14
	v_accvgpr_read_b32 v9, a15
	s_andn2_b64 s[66:67], s[66:67], exec
	s_waitcnt lgkmcnt(0)
	v_cmp_ge_u64_e32 vcc, v[4:5], v[8:9]
	s_orn2_b64 vcc, vcc, exec
	s_branch .LBB4_252
.LBB4_257:                              ;   in Loop: Header=BB4_199 Depth=2
	s_or_b64 exec, exec, s[62:63]
	s_and_saveexec_b64 vcc, s[64:65]
	s_xor_b64 vcc, exec, vcc
	s_cbranch_execz .LBB4_259
; %bb.258:                              ;   in Loop: Header=BB4_199 Depth=2
	v_mov_b32_e32 v1, 1
	ds_write_b32 v0, v1
	s_trap 2
.LBB4_259:                              ;   in Loop: Header=BB4_199 Depth=2
	s_or_b64 exec, exec, s[60:61]
	;;#ASMSTART
	s_wakeup
	;;#ASMEND
.LBB4_260:                              ;   in Loop: Header=BB4_199 Depth=2
	s_or_b64 exec, exec, s[36:37]
.LBB4_261:                              ;   in Loop: Header=BB4_199 Depth=2
	s_andn2_saveexec_b64 vcc, s[34:35]
	s_cbranch_execz .LBB4_263
; %bb.262:                              ;   in Loop: Header=BB4_199 Depth=2
	;;#ASMSTART
	s_waitcnt lgkmcnt(0) vmcnt(0)
	;;#ASMEND
	s_barrier
.LBB4_263:                              ;   in Loop: Header=BB4_199 Depth=2
	s_or_b64 exec, exec, vcc
	v_and_b32_e32 v3, 16, v60
	s_or_b64 exec, exec, s[26:27]
	v_cmp_ne_u32_e32 vcc, 0, v3
	s_and_saveexec_b64 s[26:27], vcc
	s_cbranch_execz .LBB4_198
.LBB4_264:                              ;   in Loop: Header=BB4_199 Depth=2
	s_and_saveexec_b64 vcc, s[14:15]
	s_cbranch_execz .LBB4_197
; %bb.265:                              ;   in Loop: Header=BB4_199 Depth=2
	v_accvgpr_read_b32 v4, a20
	v_accvgpr_read_b32 v5, a21
	v_mov_b32_e32 v1, 1
	flat_store_dword v[4:5], v1
	s_branch .LBB4_197
.LBB4_266:                              ;   in Loop: Header=BB4_47 Depth=1
	s_or_b64 exec, exec, s[30:31]
.LBB4_267:                              ;   in Loop: Header=BB4_47 Depth=1
	s_or_b64 exec, exec, s[28:29]
	v_cndmask_b32_e64 v0, 0, 1, s[48:49]
	v_cmp_ne_u32_e64 s[26:27], 1, v0
	s_andn2_b64 vcc, exec, s[48:49]
	s_cbranch_vccnz .LBB4_1892
; %bb.268:                              ;   in Loop: Header=BB4_47 Depth=1
	s_mov_b32 s39, 2
	s_branch .LBB4_271
.LBB4_269:                              ;   in Loop: Header=BB4_271 Depth=2
	s_or_b64 exec, exec, s[34:35]
.LBB4_270:                              ;   in Loop: Header=BB4_271 Depth=2
	s_or_b64 exec, exec, s[30:31]
	s_add_i32 s39, s39, 1
	s_cmp_eq_u32 s39, s76
	s_cbranch_scc1 .LBB4_1892
.LBB4_271:                              ;   Parent Loop BB4_47 Depth=1
                                        ; =>  This Loop Header: Depth=2
                                        ;       Child Loop BB4_274 Depth 3
                                        ;         Child Loop BB4_282 Depth 4
                                        ;         Child Loop BB4_308 Depth 4
	;; [unrolled: 1-line block ×9, first 2 shown]
                                        ;       Child Loop BB4_1822 Depth 3
                                        ;         Child Loop BB4_1828 Depth 4
                                        ;         Child Loop BB4_1866 Depth 4
	;; [unrolled: 1-line block ×3, first 2 shown]
	s_sub_i32 s9, s82, s39
	s_cmp_le_i32 s76, s9
	s_cselect_b32 s28, s76, 0
	s_sub_i32 s9, s9, s28
	v_accvgpr_read_b32 v2, a46
	s_ashr_i32 s28, s9, 31
	v_accvgpr_read_b32 v3, a47
	v_mul_lo_u32 v0, v2, s28
	v_mul_lo_u32 v1, v3, s9
	v_mad_u64_u32 v[4:5], s[28:29], v2, s9, 0
	v_add3_u32 v5, v5, v0, v1
	v_accvgpr_read_b32 v0, a48
	v_accvgpr_read_b32 v1, a49
	v_sub_co_u32_e32 v0, vcc, v0, v4
	v_subb_co_u32_e32 v1, vcc, v1, v5, vcc
	v_cmp_lt_i64_e32 vcc, v[2:3], v[0:1]
	v_cndmask_b32_e32 v0, v0, v2, vcc
	v_max_i32_e32 v38, 0, v0
	v_add_u32_e32 v1, 31, v38
	v_lshrrev_b32_e32 v1, 1, v1
	v_accvgpr_write_b32 a53, v5
	v_and_b32_e32 v1, 0x3ffffff0, v1
	v_cmp_lt_i32_e32 vcc, 0, v0
	v_accvgpr_write_b32 a52, v4
	v_max_i32_e32 v2, s85, v1
	s_and_b64 s[28:29], s[52:53], vcc
	v_mov_b32_e32 v0, 0
	v_mov_b32_e32 v27, 0
	s_and_saveexec_b64 s[34:35], s[28:29]
	s_cbranch_execz .LBB4_1818
; %bb.272:                              ;   in Loop: Header=BB4_271 Depth=2
	s_mov_b32 s80, 1
	s_mov_b64 s[60:61], -1
	s_mov_b64 s[36:37], 0
	v_mov_b32_e32 v27, 0
	s_branch .LBB4_274
.LBB4_273:                              ;   in Loop: Header=BB4_274 Depth=3
	s_or_b64 exec, exec, s[28:29]
	v_add_u32_e32 v27, v2, v27
	v_cmp_ge_i32_e32 vcc, v27, v38
	s_xor_b64 s[28:29], s[60:61], -1
	s_or_b64 s[28:29], s[28:29], vcc
	s_and_b64 s[28:29], exec, s[28:29]
	s_or_b64 s[36:37], s[28:29], s[36:37]
	s_mov_b64 s[60:61], 0
	v_mov_b32_e32 v0, s80
	s_mov_b32 s80, 2
	s_andn2_b64 exec, exec, s[36:37]
	s_cbranch_execz .LBB4_1819
.LBB4_274:                              ;   Parent Loop BB4_47 Depth=1
                                        ;     Parent Loop BB4_271 Depth=2
                                        ; =>    This Loop Header: Depth=3
                                        ;         Child Loop BB4_282 Depth 4
                                        ;         Child Loop BB4_308 Depth 4
	;; [unrolled: 1-line block ×9, first 2 shown]
	s_and_saveexec_b64 s[28:29], s[4:5]
	s_cbranch_execz .LBB4_276
; %bb.275:                              ;   in Loop: Header=BB4_274 Depth=3
	s_trap 2
	ds_read_b64 v[0:1], v0
	v_accvgpr_read_b32 v3, a41
	v_accvgpr_read_b32 v4, a52
	;; [unrolled: 1-line block ×3, first 2 shown]
	v_mov_b32_e32 v58, v59
	s_waitcnt lgkmcnt(0)
	v_add_co_u32_e32 v0, vcc, v0, v3
	v_accvgpr_read_b32 v3, a50
	v_addc_co_u32_e32 v1, vcc, v1, v3, vcc
	v_add_co_u32_e32 v0, vcc, v0, v4
	v_addc_co_u32_e32 v1, vcc, v1, v5, vcc
	v_ashrrev_i32_e32 v3, 31, v27
	v_add_co_u32_e32 v0, vcc, v0, v27
	v_addc_co_u32_e32 v1, vcc, v1, v3, vcc
	ds_write_b64 v0, v[0:1]
	ds_write_b64 v0, v[58:59]
.LBB4_276:                              ;   in Loop: Header=BB4_274 Depth=3
	s_or_b64 exec, exec, s[28:29]
	v_and_b32_e32 v0, 12, v60
	v_cmp_ne_u32_e32 vcc, 0, v0
	s_mov_b64 s[30:31], -1
	s_and_saveexec_b64 s[28:29], vcc
	s_cbranch_execz .LBB4_288
; %bb.277:                              ;   in Loop: Header=BB4_274 Depth=3
	v_and_b32_e32 v4, 8, v60
	v_add_co_u32_e32 v0, vcc, v50, v4
	v_addc_co_u32_e32 v1, vcc, 0, v51, vcc
	v_add_co_u32_e32 v8, vcc, 2, v44
	v_addc_co_u32_e32 v9, vcc, 0, v45, vcc
	v_cmp_lt_u64_e32 vcc, v[0:1], v[8:9]
	v_mov_b32_e32 v0, 1
	s_and_saveexec_b64 s[30:31], vcc
	s_cbranch_execz .LBB4_287
; %bb.278:                              ;   in Loop: Header=BB4_274 Depth=3
	s_mov_b64 s[62:63], 0
	v_mov_b32_e32 v0, 0
                                        ; implicit-def: $sgpr64_sgpr65
	s_branch .LBB4_282
.LBB4_279:                              ;   in Loop: Header=BB4_282 Depth=4
	s_or_b64 exec, exec, s[72:73]
	v_mov_b32_e32 v3, 0
	s_orn2_b64 s[70:71], s[70:71], exec
.LBB4_280:                              ;   in Loop: Header=BB4_282 Depth=4
	s_or_b64 exec, exec, s[68:69]
	s_andn2_b64 vcc, s[64:65], exec
	s_and_b64 s[64:65], s[70:71], exec
	s_or_b64 s[64:65], vcc, s[64:65]
	v_mov_b32_e32 v0, v3
.LBB4_281:                              ;   in Loop: Header=BB4_282 Depth=4
	s_or_b64 exec, exec, s[66:67]
	s_waitcnt vmcnt(0) lgkmcnt(0)
	v_add_co_u32_e32 v6, vcc, v50, v4
	v_addc_co_u32_e32 v7, vcc, 0, v51, vcc
	v_cmp_ge_u64_e32 vcc, v[6:7], v[8:9]
	s_xor_b64 s[66:67], s[64:65], -1
	s_or_b64 vcc, s[66:67], vcc
	s_and_b64 vcc, exec, vcc
	s_or_b64 s[62:63], vcc, s[62:63]
	s_andn2_b64 exec, exec, s[62:63]
	s_cbranch_execz .LBB4_286
.LBB4_282:                              ;   Parent Loop BB4_47 Depth=1
                                        ;     Parent Loop BB4_271 Depth=2
                                        ;       Parent Loop BB4_274 Depth=3
                                        ; =>      This Inner Loop Header: Depth=4
	s_sleep 1
	flat_load_dwordx2 v[50:51], v[48:49] glc
	v_and_b32_e32 v1, 64, v60
	v_cmp_eq_u32_e32 vcc, 0, v1
	s_andn2_b64 s[64:65], s[64:65], exec
	s_and_saveexec_b64 s[66:67], vcc
	s_cbranch_execz .LBB4_281
; %bb.283:                              ;   in Loop: Header=BB4_282 Depth=4
	v_add_u32_e32 v3, 1, v0
	v_cmp_lt_i32_e32 vcc, s89, v0
	s_mov_b64 s[70:71], -1
	s_and_saveexec_b64 s[68:69], vcc
	s_cbranch_execz .LBB4_280
; %bb.284:                              ;   in Loop: Header=BB4_282 Depth=4
	s_trap 2
	ds_read_b64 v[0:1], v0
	s_waitcnt vmcnt(0) lgkmcnt(0)
	flat_load_dword v0, v[0:1] glc
	s_waitcnt vmcnt(0) lgkmcnt(0)
	buffer_invl2
	buffer_wbinvl1_vol
	v_cmp_ne_u32_e32 vcc, 0, v0
	s_and_saveexec_b64 s[72:73], vcc
	s_cbranch_execz .LBB4_279
; %bb.285:                              ;   in Loop: Header=BB4_282 Depth=4
	v_or_b32_e32 v60, 64, v60
	s_xor_b64 s[70:71], exec, -1
	ds_write_b32 v0, v0
	s_trap 2
	s_branch .LBB4_279
.LBB4_286:                              ;   in Loop: Header=BB4_274 Depth=3
	s_or_b64 exec, exec, s[62:63]
	v_and_b32_e32 v0, 12, v60
.LBB4_287:                              ;   in Loop: Header=BB4_274 Depth=3
	s_or_b64 exec, exec, s[30:31]
	v_cmp_eq_u32_e32 vcc, 0, v0
	s_orn2_b64 s[30:31], vcc, exec
	;;#ASMSTART
	s_wakeup
	;;#ASMEND
.LBB4_288:                              ;   in Loop: Header=BB4_274 Depth=3
	s_or_b64 exec, exec, s[28:29]
	v_sub_u32_e32 v0, v38, v27
	s_xor_b64 s[28:29], s[30:31], -1
	v_min_i32_e32 v2, v2, v0
	s_and_saveexec_b64 s[30:31], s[28:29]
	s_cbranch_execz .LBB4_300
; %bb.289:                              ;   in Loop: Header=BB4_274 Depth=3
	v_and_b32_e32 v0, 0x108, v60
	v_cmp_ne_u32_e32 vcc, s90, v0
	v_and_b32_e32 v4, 7, v44
	s_and_saveexec_b64 s[28:29], vcc
	s_xor_b64 s[28:29], exec, s[28:29]
	s_andn2_saveexec_b64 s[28:29], s[28:29]
	s_cbranch_execz .LBB4_291
; %bb.290:                              ;   in Loop: Header=BB4_274 Depth=3
	v_accvgpr_read_b32 v0, a12
	v_accvgpr_read_b32 v1, a13
	v_mad_u64_u32 v[0:1], vcc, v4, 24, v[0:1]
	v_ashrrev_i32_e32 v3, 31, v2
	flat_store_dwordx2 v[0:1], v[2:3] offset:8
.LBB4_291:                              ;   in Loop: Header=BB4_274 Depth=3
	s_or_b64 exec, exec, s[28:29]
	v_and_b32_e32 v0, 0x100, v60
	v_cmp_ne_u32_e32 vcc, 0, v0
	s_mov_b64 s[28:29], -1
                                        ; implicit-def: $vgpr8_vgpr9
	s_and_saveexec_b64 s[62:63], vcc
	s_cbranch_execz .LBB4_295
; %bb.292:                              ;   in Loop: Header=BB4_274 Depth=3
	v_accvgpr_read_b32 v0, a12
	v_accvgpr_read_b32 v1, a13
	v_mad_u64_u32 v[10:11], s[28:29], v4, 24, v[0:1]
	v_mov_b32_e32 v0, v11
	v_mad_u64_u32 v[0:1], s[28:29], v59, 24, v[0:1]
	v_mov_b32_e32 v11, v0
	flat_load_dword v0, v[10:11]
                                        ; implicit-def: $vgpr8_vgpr9
	s_waitcnt vmcnt(0) lgkmcnt(0)
	v_cmp_ne_u32_e32 vcc, 1, v0
	v_cmp_eq_u32_e64 s[28:29], 1, v0
	s_and_saveexec_b64 s[64:65], s[28:29]
	s_cbranch_execz .LBB4_294
; %bb.293:                              ;   in Loop: Header=BB4_274 Depth=3
	flat_load_dword v8, v[10:11] offset:4 glc
	s_waitcnt vmcnt(0) lgkmcnt(0)
	v_ashrrev_i32_e32 v9, 31, v8
.LBB4_294:                              ;   in Loop: Header=BB4_274 Depth=3
	s_or_b64 exec, exec, s[64:65]
	s_orn2_b64 s[28:29], vcc, exec
.LBB4_295:                              ;   in Loop: Header=BB4_274 Depth=3
	s_or_b64 exec, exec, s[62:63]
	s_and_saveexec_b64 vcc, s[28:29]
; %bb.296:                              ;   in Loop: Header=BB4_274 Depth=3
	v_accvgpr_read_b32 v6, a16
	v_accvgpr_read_b32 v1, a17
	v_mul_lo_u32 v0, v59, v6
	v_mul_lo_u32 v1, v4, v1
	v_mad_u64_u32 v[8:9], s[28:29], v4, v6, 0
	v_add3_u32 v9, v9, v1, v0
; %bb.297:                              ;   in Loop: Header=BB4_274 Depth=3
	s_or_b64 exec, exec, vcc
	v_accvgpr_read_b32 v0, a18
	v_accvgpr_read_b32 v1, a19
	v_add_co_u32_e32 v0, vcc, v0, v8
	v_addc_co_u32_e32 v1, vcc, v1, v9, vcc
	s_trap 2
	ds_write_b64 v0, v[0:1]
	v_and_b32_e32 v0, 0x2000, v60
	v_cmp_ne_u32_e32 vcc, 0, v0
	s_and_saveexec_b64 s[28:29], vcc
	s_cbranch_execz .LBB4_299
; %bb.298:                              ;   in Loop: Header=BB4_274 Depth=3
	ds_read_b64 v[0:1], v0 offset:584
	s_waitcnt lgkmcnt(0)
	v_add_co_u32_e32 v0, vcc, 1, v0
	v_addc_co_u32_e32 v1, vcc, 0, v1, vcc
	ds_write_b64 v0, v[0:1] offset:584
.LBB4_299:                              ;   in Loop: Header=BB4_274 Depth=3
	s_or_b64 exec, exec, s[28:29]
	v_add_co_u32_e32 v44, vcc, 2, v44
	v_addc_co_u32_e32 v45, vcc, 0, v45, vcc
.LBB4_300:                              ;   in Loop: Header=BB4_274 Depth=3
	s_or_b64 exec, exec, s[30:31]
	s_and_saveexec_b64 s[28:29], s[10:11]
	s_cbranch_execz .LBB4_319
; %bb.301:                              ;   in Loop: Header=BB4_274 Depth=3
	s_and_saveexec_b64 vcc, s[46:47]
	s_xor_b64 s[30:31], exec, vcc
	s_cbranch_execz .LBB4_316
; %bb.302:                              ;   in Loop: Header=BB4_274 Depth=3
	s_and_saveexec_b64 s[62:63], s[16:17]
	s_cbranch_execz .LBB4_315
; %bb.303:                              ;   in Loop: Header=BB4_274 Depth=3
	s_mov_b64 s[66:67], exec
	v_mbcnt_lo_u32_b32 v0, s66, 0
	v_mbcnt_hi_u32_b32 v0, s67, v0
	v_cmp_eq_u32_e32 vcc, 0, v0
	s_waitcnt vmcnt(0) lgkmcnt(0)
	buffer_wbinvl1_vol
	s_and_saveexec_b64 s[64:65], vcc
	s_cbranch_execz .LBB4_305
; %bb.304:                              ;   in Loop: Header=BB4_274 Depth=3
	s_bcnt1_i32_b64 s9, s[66:67]
	v_mov_b32_e32 v58, s9
	ds_add_u64 v0, v[58:59]
	s_trap 2
.LBB4_305:                              ;   in Loop: Header=BB4_274 Depth=3
	s_or_b64 exec, exec, s[64:65]
	s_trap 2
	ds_read_b64 v[0:1], v0
	v_accvgpr_read_b32 v4, a14
	v_accvgpr_read_b32 v5, a15
	v_add_co_u32_e32 v4, vcc, v4, v24
	v_addc_co_u32_e32 v5, vcc, 0, v5, vcc
	v_accvgpr_write_b32 a15, v5
	v_accvgpr_write_b32 a14, v4
	s_waitcnt lgkmcnt(0)
	v_cmp_lt_u64_e32 vcc, v[0:1], v[4:5]
	s_and_saveexec_b64 s[64:65], vcc
	s_cbranch_execz .LBB4_314
; %bb.306:                              ;   in Loop: Header=BB4_274 Depth=3
	s_mov_b32 s9, 0
	s_mov_b64 s[66:67], 0
                                        ; implicit-def: $sgpr68_sgpr69
                                        ; implicit-def: $sgpr70_sgpr71
	s_branch .LBB4_308
.LBB4_307:                              ;   in Loop: Header=BB4_308 Depth=4
	s_or_b64 exec, exec, s[74:75]
	s_and_b64 vcc, exec, vcc
	s_or_b64 s[66:67], vcc, s[66:67]
	s_andn2_b64 vcc, s[68:69], exec
	s_and_b64 s[68:69], s[70:71], exec
	s_or_b64 s[68:69], vcc, s[68:69]
	s_andn2_b64 exec, exec, s[66:67]
	s_cbranch_execz .LBB4_312
.LBB4_308:                              ;   Parent Loop BB4_47 Depth=1
                                        ;     Parent Loop BB4_271 Depth=2
                                        ;       Parent Loop BB4_274 Depth=3
                                        ; =>      This Inner Loop Header: Depth=4
	s_add_i32 s9, s9, 1
	s_cmpk_lg_i32 s9, 0x2710
	s_cselect_b64 s[72:73], -1, 0
	s_and_b64 vcc, exec, s[72:73]
                                        ; implicit-def: $sgpr74_sgpr75
	s_cbranch_vccnz .LBB4_310
; %bb.309:                              ;   in Loop: Header=BB4_308 Depth=4
	s_trap 2
	ds_read_b64 v[0:1], v0
	s_andn2_b64 s[72:73], s[72:73], exec
	s_mov_b32 s9, 0
	s_mov_b64 s[74:75], -1
	s_waitcnt lgkmcnt(0)
	flat_load_dword v0, v[0:1] glc
	s_waitcnt vmcnt(0) lgkmcnt(0)
	buffer_invl2
	buffer_wbinvl1_vol
	v_cmp_eq_u32_e32 vcc, 0, v0
	s_and_b64 vcc, vcc, exec
	s_or_b64 s[72:73], s[72:73], vcc
.LBB4_310:                              ;   in Loop: Header=BB4_308 Depth=4
	s_andn2_b64 s[70:71], s[70:71], exec
	s_and_b64 s[74:75], s[74:75], exec
	s_mov_b64 vcc, -1
	s_or_b64 s[70:71], s[70:71], s[74:75]
	s_and_saveexec_b64 s[74:75], s[72:73]
	s_cbranch_execz .LBB4_307
; %bb.311:                              ;   in Loop: Header=BB4_308 Depth=4
	s_sleep 1
	s_trap 2
	ds_read_b64 v[0:1], v0
	v_accvgpr_read_b32 v4, a14
	v_accvgpr_read_b32 v5, a15
	s_andn2_b64 s[70:71], s[70:71], exec
	s_waitcnt lgkmcnt(0)
	v_cmp_ge_u64_e32 vcc, v[0:1], v[4:5]
	s_orn2_b64 vcc, vcc, exec
	s_branch .LBB4_307
.LBB4_312:                              ;   in Loop: Header=BB4_274 Depth=3
	s_or_b64 exec, exec, s[66:67]
	s_and_saveexec_b64 vcc, s[68:69]
	s_xor_b64 vcc, exec, vcc
	s_cbranch_execz .LBB4_314
; %bb.313:                              ;   in Loop: Header=BB4_274 Depth=3
	v_mov_b32_e32 v0, 1
	ds_write_b32 v0, v0
	s_trap 2
.LBB4_314:                              ;   in Loop: Header=BB4_274 Depth=3
	s_or_b64 exec, exec, s[64:65]
	;;#ASMSTART
	s_wakeup
	;;#ASMEND
.LBB4_315:                              ;   in Loop: Header=BB4_274 Depth=3
	s_or_b64 exec, exec, s[62:63]
.LBB4_316:                              ;   in Loop: Header=BB4_274 Depth=3
	s_andn2_saveexec_b64 vcc, s[30:31]
	s_cbranch_execz .LBB4_318
; %bb.317:                              ;   in Loop: Header=BB4_274 Depth=3
	s_waitcnt vmcnt(0) lgkmcnt(0)
	buffer_wbinvl1_vol
	s_barrier
.LBB4_318:                              ;   in Loop: Header=BB4_274 Depth=3
	s_or_b64 exec, exec, vcc
.LBB4_319:                              ;   in Loop: Header=BB4_274 Depth=3
	s_or_b64 exec, exec, s[28:29]
	s_trap 2
	ds_read_b32 v3, v0
	v_and_b32_e32 v0, 0x4000, v60
	v_cmp_ne_u32_e32 vcc, 0, v0
	s_xor_b64 s[28:29], s[6:7], -1
	s_and_b64 vcc, s[28:29], vcc
	s_and_saveexec_b64 s[28:29], vcc
	s_cbranch_execz .LBB4_338
; %bb.320:                              ;   in Loop: Header=BB4_274 Depth=3
	s_and_saveexec_b64 vcc, s[46:47]
	s_xor_b64 s[30:31], exec, vcc
	s_cbranch_execz .LBB4_335
; %bb.321:                              ;   in Loop: Header=BB4_274 Depth=3
	s_and_saveexec_b64 s[62:63], s[16:17]
	s_cbranch_execz .LBB4_334
; %bb.322:                              ;   in Loop: Header=BB4_274 Depth=3
	s_mov_b64 s[66:67], exec
	v_mbcnt_lo_u32_b32 v0, s66, 0
	v_mbcnt_hi_u32_b32 v0, s67, v0
	v_cmp_eq_u32_e32 vcc, 0, v0
	s_waitcnt vmcnt(0) lgkmcnt(0)
	buffer_wbinvl1_vol
	s_and_saveexec_b64 s[64:65], vcc
	s_cbranch_execz .LBB4_324
; %bb.323:                              ;   in Loop: Header=BB4_274 Depth=3
	s_bcnt1_i32_b64 s9, s[66:67]
	v_mov_b32_e32 v58, s9
	ds_add_u64 v0, v[58:59]
	s_trap 2
.LBB4_324:                              ;   in Loop: Header=BB4_274 Depth=3
	s_or_b64 exec, exec, s[64:65]
	s_trap 2
	ds_read_b64 v[0:1], v0
	v_accvgpr_read_b32 v4, a14
	v_accvgpr_read_b32 v5, a15
	v_add_co_u32_e32 v4, vcc, v4, v24
	v_addc_co_u32_e32 v5, vcc, 0, v5, vcc
	v_accvgpr_write_b32 a15, v5
	v_accvgpr_write_b32 a14, v4
	s_waitcnt lgkmcnt(0)
	v_cmp_lt_u64_e32 vcc, v[0:1], v[4:5]
	s_and_saveexec_b64 s[64:65], vcc
	s_cbranch_execz .LBB4_333
; %bb.325:                              ;   in Loop: Header=BB4_274 Depth=3
	s_mov_b32 s9, 0
	s_mov_b64 s[66:67], 0
                                        ; implicit-def: $sgpr68_sgpr69
                                        ; implicit-def: $sgpr70_sgpr71
	s_branch .LBB4_327
.LBB4_326:                              ;   in Loop: Header=BB4_327 Depth=4
	s_or_b64 exec, exec, s[74:75]
	s_and_b64 vcc, exec, vcc
	s_or_b64 s[66:67], vcc, s[66:67]
	s_andn2_b64 vcc, s[68:69], exec
	s_and_b64 s[68:69], s[70:71], exec
	s_or_b64 s[68:69], vcc, s[68:69]
	s_andn2_b64 exec, exec, s[66:67]
	s_cbranch_execz .LBB4_331
.LBB4_327:                              ;   Parent Loop BB4_47 Depth=1
                                        ;     Parent Loop BB4_271 Depth=2
                                        ;       Parent Loop BB4_274 Depth=3
                                        ; =>      This Inner Loop Header: Depth=4
	s_add_i32 s9, s9, 1
	s_cmpk_lg_i32 s9, 0x2710
	s_cselect_b64 s[72:73], -1, 0
	s_and_b64 vcc, exec, s[72:73]
                                        ; implicit-def: $sgpr74_sgpr75
	s_cbranch_vccnz .LBB4_329
; %bb.328:                              ;   in Loop: Header=BB4_327 Depth=4
	s_trap 2
	ds_read_b64 v[0:1], v0
	s_andn2_b64 s[72:73], s[72:73], exec
	s_mov_b32 s9, 0
	s_mov_b64 s[74:75], -1
	s_waitcnt lgkmcnt(0)
	flat_load_dword v0, v[0:1] glc
	s_waitcnt vmcnt(0) lgkmcnt(0)
	buffer_invl2
	buffer_wbinvl1_vol
	v_cmp_eq_u32_e32 vcc, 0, v0
	s_and_b64 vcc, vcc, exec
	s_or_b64 s[72:73], s[72:73], vcc
.LBB4_329:                              ;   in Loop: Header=BB4_327 Depth=4
	s_andn2_b64 s[70:71], s[70:71], exec
	s_and_b64 s[74:75], s[74:75], exec
	s_mov_b64 vcc, -1
	s_or_b64 s[70:71], s[70:71], s[74:75]
	s_and_saveexec_b64 s[74:75], s[72:73]
	s_cbranch_execz .LBB4_326
; %bb.330:                              ;   in Loop: Header=BB4_327 Depth=4
	s_sleep 1
	s_trap 2
	ds_read_b64 v[0:1], v0
	v_accvgpr_read_b32 v4, a14
	v_accvgpr_read_b32 v5, a15
	s_andn2_b64 s[70:71], s[70:71], exec
	s_waitcnt lgkmcnt(0)
	v_cmp_ge_u64_e32 vcc, v[0:1], v[4:5]
	s_orn2_b64 vcc, vcc, exec
	s_branch .LBB4_326
.LBB4_331:                              ;   in Loop: Header=BB4_274 Depth=3
	s_or_b64 exec, exec, s[66:67]
	s_and_saveexec_b64 vcc, s[68:69]
	s_xor_b64 vcc, exec, vcc
	s_cbranch_execz .LBB4_333
; %bb.332:                              ;   in Loop: Header=BB4_274 Depth=3
	v_mov_b32_e32 v0, 1
	ds_write_b32 v0, v0
	s_trap 2
.LBB4_333:                              ;   in Loop: Header=BB4_274 Depth=3
	s_or_b64 exec, exec, s[64:65]
	;;#ASMSTART
	s_wakeup
	;;#ASMEND
.LBB4_334:                              ;   in Loop: Header=BB4_274 Depth=3
	s_or_b64 exec, exec, s[62:63]
.LBB4_335:                              ;   in Loop: Header=BB4_274 Depth=3
	s_andn2_saveexec_b64 vcc, s[30:31]
	s_cbranch_execz .LBB4_337
; %bb.336:                              ;   in Loop: Header=BB4_274 Depth=3
	s_waitcnt vmcnt(0) lgkmcnt(0)
	buffer_wbinvl1_vol
	s_barrier
.LBB4_337:                              ;   in Loop: Header=BB4_274 Depth=3
	s_or_b64 exec, exec, vcc
.LBB4_338:                              ;   in Loop: Header=BB4_274 Depth=3
	s_or_b64 exec, exec, s[28:29]
	s_trap 2
	ds_read_b64 v[0:1], v0
	v_mov_b32_e32 v19, 0
	s_waitcnt lgkmcnt(0)
	v_readfirstlane_b32 s28, v0
	v_readfirstlane_b32 s29, v1
	s_cmp_eq_u64 s[28:29], 0
	s_cselect_b64 s[28:29], -1, 0
	s_or_b64 s[28:29], s[28:29], s[28:29]
	s_and_b64 vcc, exec, s[28:29]
	s_cbranch_vccnz .LBB4_572
; %bb.339:                              ;   in Loop: Header=BB4_274 Depth=3
	s_mov_b64 s[30:31], -1
	s_and_saveexec_b64 s[28:29], s[22:23]
	s_cbranch_execz .LBB4_341
; %bb.340:                              ;   in Loop: Header=BB4_274 Depth=3
	ds_read_b32 v0, v0 offset:720
	s_waitcnt lgkmcnt(0)
	v_and_b32_e32 v0, 15, v0
	v_cmp_eq_u32_e32 vcc, 0, v0
	s_orn2_b64 s[30:31], vcc, exec
.LBB4_341:                              ;   in Loop: Header=BB4_274 Depth=3
	s_or_b64 exec, exec, s[28:29]
	s_and_saveexec_b64 s[28:29], s[20:21]
	s_cbranch_execz .LBB4_343
; %bb.342:                              ;   in Loop: Header=BB4_274 Depth=3
	ds_read_b32 v0, v0 offset:784
	s_waitcnt lgkmcnt(0)
	v_and_b32_e32 v0, 15, v0
	v_cmp_eq_u32_e32 vcc, 0, v0
	s_and_b64 vcc, s[30:31], vcc
	s_andn2_b64 s[30:31], s[30:31], exec
	s_and_b64 vcc, vcc, exec
	s_or_b64 s[30:31], s[30:31], vcc
.LBB4_343:                              ;   in Loop: Header=BB4_274 Depth=3
	s_or_b64 exec, exec, s[28:29]
	v_cmp_eq_u32_e32 vcc, 0, v3
	v_cndmask_b32_e32 v19, 0, v2, vcc
	s_xor_b64 vcc, s[30:31], -1
	v_cndmask_b32_e64 v1, 0, 1, vcc
	v_mov_b32_e32 v0, 0
	s_mov_b64 s[28:29], -1
	;;#ASMSTART
	;;#ASMEND
	v_cmp_ne_u32_e32 vcc, 0, v1
	v_mov_b32_e32 v14, v19
	v_mov_b32_e32 v15, v40
	v_accvgpr_read_b32 v3, a29
	s_cbranch_vccz .LBB4_577
; %bb.344:                              ;   in Loop: Header=BB4_274 Depth=3
	s_and_saveexec_b64 s[30:31], s[28:29]
	s_cbranch_execz .LBB4_1776
.LBB4_345:                              ;   in Loop: Header=BB4_274 Depth=3
	v_ashrrev_i32_e32 v1, 31, v14
	v_lshrrev_b32_e32 v1, 23, v1
	v_add_u32_e32 v1, v14, v1
	v_ashrrev_i32_e32 v16, 9, v1
	v_sub_u32_e32 v6, v16, v3
	v_ashrrev_i32_e32 v1, 31, v15
	v_cmp_lt_i32_e32 vcc, 0, v6
	v_lshrrev_b32_e32 v7, 26, v1
	s_and_saveexec_b64 s[62:63], vcc
	s_cbranch_execz .LBB4_1349
; %bb.346:                              ;   in Loop: Header=BB4_274 Depth=3
	s_trap 2
	ds_read_b128 v[8:11], v0
	ds_read_b64 v[12:13], v0
	v_add_u32_e32 v1, v15, v7
	v_and_b32_e32 v1, 0xffffffc0, v1
	v_sub_u32_e32 v1, v15, v1
	v_lshlrev_b32_e32 v3, 9, v3
	v_add3_u32 v1, v0, v1, v3
	v_ashrrev_i32_e32 v3, 31, v1
	s_waitcnt lgkmcnt(0)
	v_add_co_u32_e32 v4, vcc, v8, v1
	v_addc_co_u32_e32 v5, vcc, v9, v3, vcc
	v_add_co_u32_e32 v8, vcc, v10, v1
	v_addc_co_u32_e32 v9, vcc, v11, v3, vcc
	;; [unrolled: 2-line block ×3, first 2 shown]
	v_add_co_u32_e32 v10, vcc, v10, v1
	v_mov_b32_e32 v39, v19
	v_addc_co_u32_e32 v11, vcc, v11, v3, vcc
	s_mov_b64 s[64:65], 0
	s_branch .LBB4_348
.LBB4_347:                              ;   in Loop: Header=BB4_348 Depth=4
	s_or_b64 exec, exec, s[28:29]
	v_add_co_u32_e32 v18, vcc, 0xfffffe40, v10
	v_addc_co_u32_e32 v19, vcc, -1, v11, vcc
	flat_store_byte v[18:19], v17 glc slc
	v_add_co_u32_e32 v18, vcc, 0xfffffe80, v10
	v_addc_co_u32_e32 v19, vcc, -1, v11, vcc
	flat_store_byte v[18:19], v20 glc slc
	;; [unrolled: 3-line block ×6, first 2 shown]
	v_add_co_u32_e32 v18, vcc, s78, v10
	v_addc_co_u32_e32 v19, vcc, -1, v11, vcc
	v_accvgpr_read_b32 v1, a36
	v_add_co_u32_e32 v4, vcc, v4, v1
	v_accvgpr_read_b32 v3, a37
	v_addc_co_u32_e32 v5, vcc, v5, v3, vcc
	v_add_co_u32_e32 v8, vcc, v8, v1
	v_accvgpr_read_b32 v24, a22
	v_addc_co_u32_e32 v9, vcc, v9, v3, vcc
	v_sub_u32_e32 v6, v6, v24
	v_cmp_gt_i32_e32 vcc, 1, v6
	flat_store_byte v[18:19], v21 glc slc
	flat_store_byte v[10:11], v13 glc slc
	s_or_b64 s[64:65], vcc, s[64:65]
	v_add_co_u32_e32 v10, vcc, v10, v1
	v_addc_co_u32_e32 v11, vcc, v11, v3, vcc
	s_andn2_b64 exec, exec, s[64:65]
	s_cbranch_execz .LBB4_1348
.LBB4_348:                              ;   Parent Loop BB4_47 Depth=1
                                        ;     Parent Loop BB4_271 Depth=2
                                        ;       Parent Loop BB4_274 Depth=3
                                        ; =>      This Inner Loop Header: Depth=4
	flat_load_ubyte v37, v[4:5] glc slc
	flat_load_ubyte v31, v[4:5] offset:64 glc slc
	flat_load_ubyte v30, v[4:5] offset:128 glc slc
	;; [unrolled: 1-line block ×7, first 2 shown]
	flat_load_ubyte v13, v[8:9] glc slc
	flat_load_ubyte v20, v[8:9] offset:64 glc slc
	flat_load_ubyte v23, v[8:9] offset:128 glc slc
	flat_load_ubyte v3, v[8:9] offset:192 glc slc
	flat_load_ubyte v26, v[8:9] offset:256 glc slc
	flat_load_ubyte v24, v[8:9] offset:320 glc slc
	flat_load_ubyte v21, v[8:9] offset:384 glc slc
	flat_load_ubyte v18, v[8:9] offset:448 glc slc
	v_mov_b32_e32 v17, 0
	v_mov_b32_e32 v36, 0
	s_waitcnt vmcnt(0) lgkmcnt(0)
	v_cmp_ne_u16_e32 vcc, 0, v37
	s_and_saveexec_b64 s[28:29], vcc
	s_cbranch_execz .LBB4_354
; %bb.349:                              ;   in Loop: Header=BB4_348 Depth=4
	v_cmp_ne_u16_e32 vcc, s91, v37
	v_bfrev_b32_e32 v36, 1
	s_and_saveexec_b64 s[66:67], vcc
	s_cbranch_execz .LBB4_353
; %bb.350:                              ;   in Loop: Header=BB4_348 Depth=4
	v_and_b32_e32 v12, 0xffff, v37
	v_and_b32_e32 v1, 0x7f, v12
	v_cmp_ne_u32_e32 vcc, s92, v1
	v_mov_b32_e32 v36, 0x7f800001
	s_and_saveexec_b64 s[68:69], vcc
	s_cbranch_execz .LBB4_352
; %bb.351:                              ;   in Loop: Header=BB4_348 Depth=4
	v_and_b32_e32 v34, 7, v12
	v_ffbh_u32_e32 v32, v34
	v_min_u32_e32 v36, 32, v32
	v_subrev_u32_e32 v32, 28, v36
	v_lshlrev_b64 v[32:33], v32, v[12:13]
	v_lshrrev_b32_e32 v35, 3, v1
	v_sub_u32_e32 v12, 29, v36
	v_and_b32_e32 v32, 7, v32
	v_cmp_gt_u32_e32 vcc, 8, v1
	v_cndmask_b32_e32 v1, v35, v12, vcc
	v_cndmask_b32_e32 v12, v34, v32, vcc
	v_lshlrev_b32_e32 v32, 24, v37
	v_bfrev_b32_e32 v33, 60
	v_lshlrev_b32_e32 v12, 20, v12
	v_and_b32_e32 v32, 0x80000000, v32
	v_lshl_add_u32 v1, v1, 23, v33
	v_or3_b32 v36, v32, v1, v12
.LBB4_352:                              ;   in Loop: Header=BB4_348 Depth=4
	s_or_b64 exec, exec, s[68:69]
.LBB4_353:                              ;   in Loop: Header=BB4_348 Depth=4
	s_or_b64 exec, exec, s[66:67]
.LBB4_354:                              ;   in Loop: Header=BB4_348 Depth=4
	s_or_b64 exec, exec, s[28:29]
	v_and_b32_e32 v12, 0xff, v13
	v_cmp_ne_u16_e32 vcc, 0, v12
	s_and_saveexec_b64 s[28:29], vcc
	s_cbranch_execz .LBB4_360
; %bb.355:                              ;   in Loop: Header=BB4_348 Depth=4
	v_cmp_ne_u16_e32 vcc, s91, v12
	v_bfrev_b32_e32 v17, 1
	s_and_saveexec_b64 s[66:67], vcc
	s_cbranch_execz .LBB4_359
; %bb.356:                              ;   in Loop: Header=BB4_348 Depth=4
	v_and_b32_e32 v1, 0x7f, v13
	v_cmp_ne_u32_e32 vcc, s92, v1
	v_mov_b32_e32 v17, 0x7f800001
	s_and_saveexec_b64 s[68:69], vcc
	s_cbranch_execz .LBB4_358
; %bb.357:                              ;   in Loop: Header=BB4_348 Depth=4
	v_and_b32_e32 v17, 7, v12
	v_ffbh_u32_e32 v32, v17
	v_min_u32_e32 v35, 32, v32
	v_subrev_u32_e32 v32, 28, v35
	v_lshlrev_b64 v[32:33], v32, v[12:13]
	v_lshrrev_b32_e32 v34, 3, v1
	v_sub_u32_e32 v12, 29, v35
	v_and_b32_e32 v32, 7, v32
	v_cmp_gt_u32_e32 vcc, 8, v1
	v_cndmask_b32_e32 v1, v34, v12, vcc
	v_cndmask_b32_e32 v12, v17, v32, vcc
	v_lshlrev_b32_e32 v13, 24, v13
	v_bfrev_b32_e32 v17, 60
	v_lshlrev_b32_e32 v12, 20, v12
	v_and_b32_e32 v13, 0x80000000, v13
	v_lshl_add_u32 v1, v1, 23, v17
	v_or3_b32 v17, v13, v1, v12
.LBB4_358:                              ;   in Loop: Header=BB4_348 Depth=4
	s_or_b64 exec, exec, s[68:69]
.LBB4_359:                              ;   in Loop: Header=BB4_348 Depth=4
	s_or_b64 exec, exec, s[66:67]
.LBB4_360:                              ;   in Loop: Header=BB4_348 Depth=4
	s_or_b64 exec, exec, s[28:29]
	v_add_f32_e32 v12, v36, v17
	v_and_b32_sdwa v36, v12, s91 dst_sel:DWORD dst_unused:UNUSED_PAD src0_sel:BYTE_3 src1_sel:DWORD
	v_and_b32_e32 v32, 0x7f800000, v12
	v_mov_b32_e32 v33, v59
	v_and_b32_e32 v58, 0x7fffff, v12
	v_or_b32_e32 v17, 0x7e, v36
	v_cmp_ne_u64_e32 vcc, s[54:55], v[32:33]
	s_and_saveexec_b64 s[28:29], vcc
	s_xor_b64 s[66:67], exec, s[28:29]
	s_cbranch_execz .LBB4_374
; %bb.361:                              ;   in Loop: Header=BB4_348 Depth=4
	v_and_b32_e32 v32, 0x7fffffff, v12
	v_mov_b32_e32 v33, v59
	v_cmp_gt_u64_e32 vcc, s[56:57], v[32:33]
	s_and_saveexec_b64 s[28:29], vcc
	s_xor_b64 s[68:69], exec, s[28:29]
	s_cbranch_execz .LBB4_373
; %bb.362:                              ;   in Loop: Header=BB4_348 Depth=4
	v_cmp_ne_u32_e32 vcc, 0, v12
	v_mov_b32_e32 v17, 0
	s_and_saveexec_b64 s[70:71], vcc
	s_cbranch_execz .LBB4_372
; %bb.363:                              ;   in Loop: Header=BB4_348 Depth=4
	v_bfe_u32 v1, v12, 23, 8
	v_sub_u32_e32 v13, 0x79, v1
	v_cmp_gt_u32_e32 vcc, s93, v1
	v_add_u32_e32 v12, 0xffffff81, v1
	v_cndmask_b32_e32 v13, 0, v13, vcc
	v_cmp_eq_u32_e32 vcc, 0, v1
	v_mov_b32_e32 v1, 0xffffff82
	v_cndmask_b32_e32 v1, v12, v1, vcc
	v_mov_b32_e32 v12, 0x78
	v_or_b32_e32 v17, 0x800000, v58
	v_cndmask_b32_e32 v37, v13, v12, vcc
	v_cndmask_b32_e32 v58, v17, v58, vcc
	v_add_u32_e32 v12, 20, v37
	v_lshlrev_b64 v[12:13], v12, -1
	v_add_u32_e32 v17, 19, v37
	v_lshrrev_b64 v[34:35], v37, v[58:59]
	v_not_b32_e32 v13, v13
	v_not_b32_e32 v12, v12
	v_lshlrev_b64 v[32:33], v17, 1
	v_lshrrev_b32_e32 v17, 23, v34
	v_and_b32_e32 v13, 0, v13
	v_and_b32_e32 v12, v58, v12
	v_add3_u32 v1, v37, v1, v17
	v_bfe_u32 v37, v34, 20, 1
	v_add_u32_e32 v37, -1, v37
	v_cmp_eq_u64_e32 vcc, v[12:13], v[32:33]
	v_cndmask_b32_e32 v12, 0, v37, vcc
	v_add_u32_e32 v12, v12, v34
	v_and_b32_e32 v12, 0xfffff, v12
	v_add_co_u32_e32 v12, vcc, v12, v34
	v_add_u32_e32 v17, 6, v1
	v_addc_co_u32_e32 v13, vcc, 0, v35, vcc
	v_cmp_ne_u32_e32 vcc, 0, v17
                                        ; implicit-def: $vgpr37
	s_and_saveexec_b64 s[28:29], vcc
	s_xor_b64 s[28:29], exec, s[28:29]
; %bb.364:                              ;   in Loop: Header=BB4_348 Depth=4
	v_add_u32_e32 v1, 7, v1
	v_cmp_lt_u64_e32 vcc, s[58:59], v[12:13]
	v_cndmask_b32_e32 v37, v17, v1, vcc
	v_cndmask_b32_e64 v1, 0, 1, vcc
	v_lshrrev_b64 v[12:13], v1, v[12:13]
; %bb.365:                              ;   in Loop: Header=BB4_348 Depth=4
	s_andn2_saveexec_b64 s[28:29], s[28:29]
; %bb.366:                              ;   in Loop: Header=BB4_348 Depth=4
	v_bfe_u32 v37, v12, 23, 1
; %bb.367:                              ;   in Loop: Header=BB4_348 Depth=4
	s_or_b64 exec, exec, s[28:29]
	v_lshrrev_b64 v[12:13], 20, v[12:13]
	v_cmp_gt_i32_e32 vcc, 16, v37
	v_cndmask_b32_e32 v13, 0, v13, vcc
	v_cndmask_b32_e32 v12, 7, v12, vcc
	v_cmp_ne_u32_e32 vcc, 0, v37
	v_cmp_ne_u64_e64 s[28:29], 0, v[12:13]
	s_or_b64 s[28:29], vcc, s[28:29]
                                        ; implicit-def: $vgpr17
	s_and_saveexec_b64 vcc, s[28:29]
	s_xor_b64 s[28:29], exec, vcc
; %bb.368:                              ;   in Loop: Header=BB4_348 Depth=4
	v_min_i32_e32 v1, 15, v37
	v_lshl_or_b32 v1, v1, 3, v36
	v_and_or_b32 v17, v12, 7, v1
                                        ; implicit-def: $vgpr36
; %bb.369:                              ;   in Loop: Header=BB4_348 Depth=4
	s_andn2_saveexec_b64 s[28:29], s[28:29]
; %bb.370:                              ;   in Loop: Header=BB4_348 Depth=4
	v_mov_b32_e32 v17, v36
; %bb.371:                              ;   in Loop: Header=BB4_348 Depth=4
	s_or_b64 exec, exec, s[28:29]
.LBB4_372:                              ;   in Loop: Header=BB4_348 Depth=4
	s_or_b64 exec, exec, s[70:71]
.LBB4_373:                              ;   in Loop: Header=BB4_348 Depth=4
	s_andn2_saveexec_b64 s[28:29], s[68:69]
	s_or_b64 exec, exec, s[28:29]
                                        ; implicit-def: $vgpr12
.LBB4_374:                              ;   in Loop: Header=BB4_348 Depth=4
	s_andn2_saveexec_b64 s[28:29], s[66:67]
; %bb.375:                              ;   in Loop: Header=BB4_348 Depth=4
	v_or_b32_sdwa v1, v12, s92 dst_sel:DWORD dst_unused:UNUSED_PAD src0_sel:BYTE_3 src1_sel:DWORD
	v_cmp_eq_u64_e32 vcc, 0, v[58:59]
	v_cndmask_b32_e32 v17, v1, v17, vcc
; %bb.376:                              ;   in Loop: Header=BB4_348 Depth=4
	s_or_b64 exec, exec, s[28:29]
	v_and_b32_e32 v12, 0xff, v31
	v_cmp_ne_u16_e32 vcc, 0, v12
	v_mov_b32_e32 v13, 0
	v_mov_b32_e32 v36, 0
	s_and_saveexec_b64 s[28:29], vcc
	s_cbranch_execz .LBB4_382
; %bb.377:                              ;   in Loop: Header=BB4_348 Depth=4
	v_cmp_ne_u16_e32 vcc, s91, v12
	v_bfrev_b32_e32 v36, 1
	s_and_saveexec_b64 s[66:67], vcc
	s_cbranch_execz .LBB4_381
; %bb.378:                              ;   in Loop: Header=BB4_348 Depth=4
	v_and_b32_e32 v1, 0x7f, v31
	v_cmp_ne_u32_e32 vcc, s92, v1
	v_mov_b32_e32 v36, 0x7f800001
	s_and_saveexec_b64 s[68:69], vcc
	s_cbranch_execz .LBB4_380
; %bb.379:                              ;   in Loop: Header=BB4_348 Depth=4
	v_and_b32_e32 v34, 7, v12
	v_ffbh_u32_e32 v32, v34
	v_min_u32_e32 v36, 32, v32
	v_subrev_u32_e32 v32, 28, v36
	v_lshlrev_b64 v[32:33], v32, v[12:13]
	v_lshrrev_b32_e32 v35, 3, v1
	v_sub_u32_e32 v12, 29, v36
	v_and_b32_e32 v32, 7, v32
	v_cmp_gt_u32_e32 vcc, 8, v1
	v_cndmask_b32_e32 v1, v35, v12, vcc
	v_cndmask_b32_e32 v12, v34, v32, vcc
	v_lshlrev_b32_e32 v31, 24, v31
	v_bfrev_b32_e32 v32, 60
	v_lshlrev_b32_e32 v12, 20, v12
	v_and_b32_e32 v31, 0x80000000, v31
	v_lshl_add_u32 v1, v1, 23, v32
	v_or3_b32 v36, v31, v1, v12
.LBB4_380:                              ;   in Loop: Header=BB4_348 Depth=4
	s_or_b64 exec, exec, s[68:69]
.LBB4_381:                              ;   in Loop: Header=BB4_348 Depth=4
	s_or_b64 exec, exec, s[66:67]
.LBB4_382:                              ;   in Loop: Header=BB4_348 Depth=4
	s_or_b64 exec, exec, s[28:29]
	v_and_b32_e32 v12, 0xff, v20
	v_cmp_ne_u16_e32 vcc, 0, v12
	s_and_saveexec_b64 s[28:29], vcc
	s_cbranch_execz .LBB4_388
; %bb.383:                              ;   in Loop: Header=BB4_348 Depth=4
	v_cmp_ne_u16_e32 vcc, s91, v12
	v_bfrev_b32_e32 v13, 1
	s_and_saveexec_b64 s[66:67], vcc
	s_cbranch_execz .LBB4_387
; %bb.384:                              ;   in Loop: Header=BB4_348 Depth=4
	v_and_b32_e32 v1, 0x7f, v20
	v_cmp_ne_u32_e32 vcc, s92, v1
	v_mov_b32_e32 v13, 0x7f800001
	s_and_saveexec_b64 s[68:69], vcc
	s_cbranch_execz .LBB4_386
; %bb.385:                              ;   in Loop: Header=BB4_348 Depth=4
	v_and_b32_e32 v31, 7, v12
	v_ffbh_u32_e32 v13, v31
	v_min_u32_e32 v33, 32, v13
	v_subrev_u32_e32 v13, 28, v33
	v_lshlrev_b64 v[12:13], v13, v[12:13]
	v_lshrrev_b32_e32 v32, 3, v1
	v_sub_u32_e32 v13, 29, v33
	v_and_b32_e32 v12, 7, v12
	v_cmp_gt_u32_e32 vcc, 8, v1
	v_cndmask_b32_e32 v1, v32, v13, vcc
	v_cndmask_b32_e32 v12, v31, v12, vcc
	v_lshlrev_b32_e32 v13, 24, v20
	v_bfrev_b32_e32 v20, 60
	v_lshlrev_b32_e32 v12, 20, v12
	v_and_b32_e32 v13, 0x80000000, v13
	v_lshl_add_u32 v1, v1, 23, v20
	v_or3_b32 v13, v13, v1, v12
.LBB4_386:                              ;   in Loop: Header=BB4_348 Depth=4
	s_or_b64 exec, exec, s[68:69]
.LBB4_387:                              ;   in Loop: Header=BB4_348 Depth=4
	s_or_b64 exec, exec, s[66:67]
.LBB4_388:                              ;   in Loop: Header=BB4_348 Depth=4
	s_or_b64 exec, exec, s[28:29]
	v_add_f32_e32 v12, v36, v13
	v_and_b32_sdwa v31, v12, s91 dst_sel:DWORD dst_unused:UNUSED_PAD src0_sel:BYTE_3 src1_sel:DWORD
	v_and_b32_e32 v32, 0x7f800000, v12
	v_mov_b32_e32 v33, v59
	v_and_b32_e32 v58, 0x7fffff, v12
	v_or_b32_e32 v20, 0x7e, v31
	v_cmp_ne_u64_e32 vcc, s[54:55], v[32:33]
	s_and_saveexec_b64 s[28:29], vcc
	s_xor_b64 s[66:67], exec, s[28:29]
	s_cbranch_execz .LBB4_402
; %bb.389:                              ;   in Loop: Header=BB4_348 Depth=4
	v_and_b32_e32 v32, 0x7fffffff, v12
	v_mov_b32_e32 v33, v59
	v_cmp_gt_u64_e32 vcc, s[56:57], v[32:33]
	s_and_saveexec_b64 s[28:29], vcc
	s_xor_b64 s[68:69], exec, s[28:29]
	s_cbranch_execz .LBB4_401
; %bb.390:                              ;   in Loop: Header=BB4_348 Depth=4
	v_cmp_ne_u32_e32 vcc, 0, v12
	v_mov_b32_e32 v20, 0
	s_and_saveexec_b64 s[70:71], vcc
	s_cbranch_execz .LBB4_400
; %bb.391:                              ;   in Loop: Header=BB4_348 Depth=4
	v_bfe_u32 v1, v12, 23, 8
	v_sub_u32_e32 v13, 0x79, v1
	v_cmp_gt_u32_e32 vcc, s93, v1
	v_add_u32_e32 v12, 0xffffff81, v1
	v_cndmask_b32_e32 v13, 0, v13, vcc
	v_cmp_eq_u32_e32 vcc, 0, v1
	v_mov_b32_e32 v1, 0xffffff82
	v_cndmask_b32_e32 v1, v12, v1, vcc
	v_mov_b32_e32 v12, 0x78
	v_or_b32_e32 v20, 0x800000, v58
	v_cndmask_b32_e32 v36, v13, v12, vcc
	v_cndmask_b32_e32 v58, v20, v58, vcc
	v_add_u32_e32 v12, 20, v36
	v_lshlrev_b64 v[12:13], v12, -1
	v_add_u32_e32 v20, 19, v36
	v_lshrrev_b64 v[34:35], v36, v[58:59]
	v_not_b32_e32 v13, v13
	v_not_b32_e32 v12, v12
	v_lshlrev_b64 v[32:33], v20, 1
	v_lshrrev_b32_e32 v20, 23, v34
	v_and_b32_e32 v13, 0, v13
	v_and_b32_e32 v12, v58, v12
	v_add3_u32 v1, v36, v1, v20
	v_bfe_u32 v36, v34, 20, 1
	v_add_u32_e32 v36, -1, v36
	v_cmp_eq_u64_e32 vcc, v[12:13], v[32:33]
	v_cndmask_b32_e32 v12, 0, v36, vcc
	v_add_u32_e32 v12, v12, v34
	v_and_b32_e32 v12, 0xfffff, v12
	v_add_co_u32_e32 v12, vcc, v12, v34
	v_add_u32_e32 v20, 6, v1
	v_addc_co_u32_e32 v13, vcc, 0, v35, vcc
	v_cmp_ne_u32_e32 vcc, 0, v20
                                        ; implicit-def: $vgpr36
	s_and_saveexec_b64 s[28:29], vcc
	s_xor_b64 s[28:29], exec, s[28:29]
; %bb.392:                              ;   in Loop: Header=BB4_348 Depth=4
	v_add_u32_e32 v1, 7, v1
	v_cmp_lt_u64_e32 vcc, s[58:59], v[12:13]
	v_cndmask_b32_e32 v36, v20, v1, vcc
	v_cndmask_b32_e64 v1, 0, 1, vcc
	v_lshrrev_b64 v[12:13], v1, v[12:13]
; %bb.393:                              ;   in Loop: Header=BB4_348 Depth=4
	s_andn2_saveexec_b64 s[28:29], s[28:29]
; %bb.394:                              ;   in Loop: Header=BB4_348 Depth=4
	v_bfe_u32 v36, v12, 23, 1
; %bb.395:                              ;   in Loop: Header=BB4_348 Depth=4
	s_or_b64 exec, exec, s[28:29]
	v_lshrrev_b64 v[12:13], 20, v[12:13]
	v_cmp_gt_i32_e32 vcc, 16, v36
	v_cndmask_b32_e32 v13, 0, v13, vcc
	v_cndmask_b32_e32 v12, 7, v12, vcc
	v_cmp_ne_u32_e32 vcc, 0, v36
	v_cmp_ne_u64_e64 s[28:29], 0, v[12:13]
	s_or_b64 s[28:29], vcc, s[28:29]
                                        ; implicit-def: $vgpr20
	s_and_saveexec_b64 vcc, s[28:29]
	s_xor_b64 s[28:29], exec, vcc
; %bb.396:                              ;   in Loop: Header=BB4_348 Depth=4
	v_min_i32_e32 v1, 15, v36
	v_lshl_or_b32 v1, v1, 3, v31
	v_and_or_b32 v20, v12, 7, v1
                                        ; implicit-def: $vgpr31
; %bb.397:                              ;   in Loop: Header=BB4_348 Depth=4
	s_andn2_saveexec_b64 s[28:29], s[28:29]
; %bb.398:                              ;   in Loop: Header=BB4_348 Depth=4
	v_mov_b32_e32 v20, v31
; %bb.399:                              ;   in Loop: Header=BB4_348 Depth=4
	s_or_b64 exec, exec, s[28:29]
.LBB4_400:                              ;   in Loop: Header=BB4_348 Depth=4
	s_or_b64 exec, exec, s[70:71]
.LBB4_401:                              ;   in Loop: Header=BB4_348 Depth=4
	s_andn2_saveexec_b64 s[28:29], s[68:69]
	s_or_b64 exec, exec, s[28:29]
                                        ; implicit-def: $vgpr12
.LBB4_402:                              ;   in Loop: Header=BB4_348 Depth=4
	s_andn2_saveexec_b64 s[28:29], s[66:67]
; %bb.403:                              ;   in Loop: Header=BB4_348 Depth=4
	v_or_b32_sdwa v1, v12, s92 dst_sel:DWORD dst_unused:UNUSED_PAD src0_sel:BYTE_3 src1_sel:DWORD
	v_cmp_eq_u64_e32 vcc, 0, v[58:59]
	v_cndmask_b32_e32 v20, v1, v20, vcc
; %bb.404:                              ;   in Loop: Header=BB4_348 Depth=4
	s_or_b64 exec, exec, s[28:29]
	v_and_b32_e32 v12, 0xff, v30
	v_cmp_ne_u16_e32 vcc, 0, v12
	v_mov_b32_e32 v13, 0
	v_mov_b32_e32 v31, 0
	s_and_saveexec_b64 s[28:29], vcc
	s_cbranch_execz .LBB4_410
; %bb.405:                              ;   in Loop: Header=BB4_348 Depth=4
	v_cmp_ne_u16_e32 vcc, s91, v12
	v_bfrev_b32_e32 v31, 1
	s_and_saveexec_b64 s[66:67], vcc
	s_cbranch_execz .LBB4_409
; %bb.406:                              ;   in Loop: Header=BB4_348 Depth=4
	v_and_b32_e32 v1, 0x7f, v30
	v_cmp_ne_u32_e32 vcc, s92, v1
	v_mov_b32_e32 v31, 0x7f800001
	s_and_saveexec_b64 s[68:69], vcc
	s_cbranch_execz .LBB4_408
; %bb.407:                              ;   in Loop: Header=BB4_348 Depth=4
	v_and_b32_e32 v31, 7, v12
	v_ffbh_u32_e32 v32, v31
	v_min_u32_e32 v35, 32, v32
	v_subrev_u32_e32 v32, 28, v35
	v_lshlrev_b64 v[32:33], v32, v[12:13]
	v_lshrrev_b32_e32 v34, 3, v1
	v_sub_u32_e32 v12, 29, v35
	v_and_b32_e32 v32, 7, v32
	v_cmp_gt_u32_e32 vcc, 8, v1
	v_cndmask_b32_e32 v1, v34, v12, vcc
	v_cndmask_b32_e32 v12, v31, v32, vcc
	v_lshlrev_b32_e32 v30, 24, v30
	v_bfrev_b32_e32 v31, 60
	v_lshlrev_b32_e32 v12, 20, v12
	v_and_b32_e32 v30, 0x80000000, v30
	v_lshl_add_u32 v1, v1, 23, v31
	v_or3_b32 v31, v30, v1, v12
.LBB4_408:                              ;   in Loop: Header=BB4_348 Depth=4
	s_or_b64 exec, exec, s[68:69]
.LBB4_409:                              ;   in Loop: Header=BB4_348 Depth=4
	s_or_b64 exec, exec, s[66:67]
.LBB4_410:                              ;   in Loop: Header=BB4_348 Depth=4
	s_or_b64 exec, exec, s[28:29]
	v_and_b32_e32 v12, 0xff, v23
	v_cmp_ne_u16_e32 vcc, 0, v12
	s_and_saveexec_b64 s[28:29], vcc
	s_cbranch_execz .LBB4_416
; %bb.411:                              ;   in Loop: Header=BB4_348 Depth=4
	v_cmp_ne_u16_e32 vcc, s91, v12
	v_bfrev_b32_e32 v13, 1
	s_and_saveexec_b64 s[66:67], vcc
	s_cbranch_execz .LBB4_415
; %bb.412:                              ;   in Loop: Header=BB4_348 Depth=4
	v_and_b32_e32 v1, 0x7f, v23
	v_cmp_ne_u32_e32 vcc, s92, v1
	v_mov_b32_e32 v13, 0x7f800001
	s_and_saveexec_b64 s[68:69], vcc
	s_cbranch_execz .LBB4_414
; %bb.413:                              ;   in Loop: Header=BB4_348 Depth=4
	v_and_b32_e32 v30, 7, v12
	v_ffbh_u32_e32 v13, v30
	v_min_u32_e32 v33, 32, v13
	v_subrev_u32_e32 v13, 28, v33
	v_lshlrev_b64 v[12:13], v13, v[12:13]
	v_lshrrev_b32_e32 v32, 3, v1
	v_sub_u32_e32 v13, 29, v33
	v_and_b32_e32 v12, 7, v12
	v_cmp_gt_u32_e32 vcc, 8, v1
	v_cndmask_b32_e32 v1, v32, v13, vcc
	v_cndmask_b32_e32 v12, v30, v12, vcc
	v_lshlrev_b32_e32 v13, 24, v23
	v_bfrev_b32_e32 v23, 60
	v_lshlrev_b32_e32 v12, 20, v12
	v_and_b32_e32 v13, 0x80000000, v13
	v_lshl_add_u32 v1, v1, 23, v23
	v_or3_b32 v13, v13, v1, v12
.LBB4_414:                              ;   in Loop: Header=BB4_348 Depth=4
	s_or_b64 exec, exec, s[68:69]
.LBB4_415:                              ;   in Loop: Header=BB4_348 Depth=4
	s_or_b64 exec, exec, s[66:67]
.LBB4_416:                              ;   in Loop: Header=BB4_348 Depth=4
	s_or_b64 exec, exec, s[28:29]
	v_add_f32_e32 v12, v31, v13
	v_and_b32_sdwa v30, v12, s91 dst_sel:DWORD dst_unused:UNUSED_PAD src0_sel:BYTE_3 src1_sel:DWORD
	v_and_b32_e32 v32, 0x7f800000, v12
	v_mov_b32_e32 v33, v59
	v_and_b32_e32 v58, 0x7fffff, v12
	v_or_b32_e32 v23, 0x7e, v30
	v_cmp_ne_u64_e32 vcc, s[54:55], v[32:33]
	s_and_saveexec_b64 s[28:29], vcc
	s_xor_b64 s[66:67], exec, s[28:29]
	s_cbranch_execz .LBB4_430
; %bb.417:                              ;   in Loop: Header=BB4_348 Depth=4
	v_and_b32_e32 v32, 0x7fffffff, v12
	v_mov_b32_e32 v33, v59
	v_cmp_gt_u64_e32 vcc, s[56:57], v[32:33]
	s_and_saveexec_b64 s[28:29], vcc
	s_xor_b64 s[68:69], exec, s[28:29]
	s_cbranch_execz .LBB4_429
; %bb.418:                              ;   in Loop: Header=BB4_348 Depth=4
	v_cmp_ne_u32_e32 vcc, 0, v12
	v_mov_b32_e32 v23, 0
	s_and_saveexec_b64 s[70:71], vcc
	s_cbranch_execz .LBB4_428
; %bb.419:                              ;   in Loop: Header=BB4_348 Depth=4
	v_bfe_u32 v1, v12, 23, 8
	v_sub_u32_e32 v13, 0x79, v1
	v_cmp_gt_u32_e32 vcc, s93, v1
	v_add_u32_e32 v12, 0xffffff81, v1
	v_cndmask_b32_e32 v13, 0, v13, vcc
	v_cmp_eq_u32_e32 vcc, 0, v1
	v_mov_b32_e32 v1, 0xffffff82
	v_cndmask_b32_e32 v1, v12, v1, vcc
	v_mov_b32_e32 v12, 0x78
	v_or_b32_e32 v23, 0x800000, v58
	v_cndmask_b32_e32 v31, v13, v12, vcc
	v_cndmask_b32_e32 v58, v23, v58, vcc
	v_add_u32_e32 v12, 20, v31
	v_lshlrev_b64 v[12:13], v12, -1
	v_add_u32_e32 v23, 19, v31
	v_lshrrev_b64 v[34:35], v31, v[58:59]
	v_not_b32_e32 v13, v13
	v_not_b32_e32 v12, v12
	v_lshlrev_b64 v[32:33], v23, 1
	v_lshrrev_b32_e32 v23, 23, v34
	v_and_b32_e32 v13, 0, v13
	v_and_b32_e32 v12, v58, v12
	v_add3_u32 v1, v31, v1, v23
	v_bfe_u32 v31, v34, 20, 1
	v_add_u32_e32 v31, -1, v31
	v_cmp_eq_u64_e32 vcc, v[12:13], v[32:33]
	v_cndmask_b32_e32 v12, 0, v31, vcc
	v_add_u32_e32 v12, v12, v34
	v_and_b32_e32 v12, 0xfffff, v12
	v_add_co_u32_e32 v12, vcc, v12, v34
	v_add_u32_e32 v23, 6, v1
	v_addc_co_u32_e32 v13, vcc, 0, v35, vcc
	v_cmp_ne_u32_e32 vcc, 0, v23
                                        ; implicit-def: $vgpr31
	s_and_saveexec_b64 s[28:29], vcc
	s_xor_b64 s[28:29], exec, s[28:29]
; %bb.420:                              ;   in Loop: Header=BB4_348 Depth=4
	v_add_u32_e32 v1, 7, v1
	v_cmp_lt_u64_e32 vcc, s[58:59], v[12:13]
	v_cndmask_b32_e32 v31, v23, v1, vcc
	v_cndmask_b32_e64 v1, 0, 1, vcc
	v_lshrrev_b64 v[12:13], v1, v[12:13]
; %bb.421:                              ;   in Loop: Header=BB4_348 Depth=4
	s_andn2_saveexec_b64 s[28:29], s[28:29]
; %bb.422:                              ;   in Loop: Header=BB4_348 Depth=4
	v_bfe_u32 v31, v12, 23, 1
; %bb.423:                              ;   in Loop: Header=BB4_348 Depth=4
	s_or_b64 exec, exec, s[28:29]
	v_lshrrev_b64 v[12:13], 20, v[12:13]
	v_cmp_gt_i32_e32 vcc, 16, v31
	v_cndmask_b32_e32 v13, 0, v13, vcc
	v_cndmask_b32_e32 v12, 7, v12, vcc
	v_cmp_ne_u32_e32 vcc, 0, v31
	v_cmp_ne_u64_e64 s[28:29], 0, v[12:13]
	s_or_b64 s[28:29], vcc, s[28:29]
                                        ; implicit-def: $vgpr23
	s_and_saveexec_b64 vcc, s[28:29]
	s_xor_b64 s[28:29], exec, vcc
; %bb.424:                              ;   in Loop: Header=BB4_348 Depth=4
	v_min_i32_e32 v1, 15, v31
	v_lshl_or_b32 v1, v1, 3, v30
	v_and_or_b32 v23, v12, 7, v1
                                        ; implicit-def: $vgpr30
; %bb.425:                              ;   in Loop: Header=BB4_348 Depth=4
	s_andn2_saveexec_b64 s[28:29], s[28:29]
; %bb.426:                              ;   in Loop: Header=BB4_348 Depth=4
	v_mov_b32_e32 v23, v30
; %bb.427:                              ;   in Loop: Header=BB4_348 Depth=4
	s_or_b64 exec, exec, s[28:29]
.LBB4_428:                              ;   in Loop: Header=BB4_348 Depth=4
	s_or_b64 exec, exec, s[70:71]
.LBB4_429:                              ;   in Loop: Header=BB4_348 Depth=4
	s_andn2_saveexec_b64 s[28:29], s[68:69]
	s_or_b64 exec, exec, s[28:29]
                                        ; implicit-def: $vgpr12
.LBB4_430:                              ;   in Loop: Header=BB4_348 Depth=4
	s_andn2_saveexec_b64 s[28:29], s[66:67]
; %bb.431:                              ;   in Loop: Header=BB4_348 Depth=4
	v_or_b32_sdwa v1, v12, s92 dst_sel:DWORD dst_unused:UNUSED_PAD src0_sel:BYTE_3 src1_sel:DWORD
	v_cmp_eq_u64_e32 vcc, 0, v[58:59]
	v_cndmask_b32_e32 v23, v1, v23, vcc
; %bb.432:                              ;   in Loop: Header=BB4_348 Depth=4
	s_or_b64 exec, exec, s[28:29]
	v_and_b32_e32 v12, 0xff, v29
	v_cmp_ne_u16_e32 vcc, 0, v12
	v_mov_b32_e32 v13, 0
	v_mov_b32_e32 v30, 0
	s_and_saveexec_b64 s[28:29], vcc
	s_cbranch_execz .LBB4_438
; %bb.433:                              ;   in Loop: Header=BB4_348 Depth=4
	v_cmp_ne_u16_e32 vcc, s91, v12
	v_bfrev_b32_e32 v30, 1
	s_and_saveexec_b64 s[66:67], vcc
	s_cbranch_execz .LBB4_437
; %bb.434:                              ;   in Loop: Header=BB4_348 Depth=4
	v_and_b32_e32 v1, 0x7f, v29
	v_cmp_ne_u32_e32 vcc, s92, v1
	v_mov_b32_e32 v30, 0x7f800001
	s_and_saveexec_b64 s[68:69], vcc
	s_cbranch_execz .LBB4_436
; %bb.435:                              ;   in Loop: Header=BB4_348 Depth=4
	v_and_b32_e32 v32, 7, v12
	v_ffbh_u32_e32 v30, v32
	v_min_u32_e32 v34, 32, v30
	v_subrev_u32_e32 v30, 28, v34
	v_lshlrev_b64 v[30:31], v30, v[12:13]
	v_lshrrev_b32_e32 v33, 3, v1
	v_sub_u32_e32 v12, 29, v34
	v_and_b32_e32 v30, 7, v30
	v_cmp_gt_u32_e32 vcc, 8, v1
	v_cndmask_b32_e32 v1, v33, v12, vcc
	v_cndmask_b32_e32 v12, v32, v30, vcc
	v_lshlrev_b32_e32 v29, 24, v29
	v_bfrev_b32_e32 v30, 60
	v_lshlrev_b32_e32 v12, 20, v12
	v_and_b32_e32 v29, 0x80000000, v29
	v_lshl_add_u32 v1, v1, 23, v30
	v_or3_b32 v30, v29, v1, v12
.LBB4_436:                              ;   in Loop: Header=BB4_348 Depth=4
	s_or_b64 exec, exec, s[68:69]
.LBB4_437:                              ;   in Loop: Header=BB4_348 Depth=4
	s_or_b64 exec, exec, s[66:67]
.LBB4_438:                              ;   in Loop: Header=BB4_348 Depth=4
	s_or_b64 exec, exec, s[28:29]
	v_and_b32_e32 v12, 0xff, v3
	v_cmp_ne_u16_e32 vcc, 0, v12
	s_and_saveexec_b64 s[28:29], vcc
	s_cbranch_execz .LBB4_444
; %bb.439:                              ;   in Loop: Header=BB4_348 Depth=4
	v_cmp_ne_u16_e32 vcc, s91, v12
	v_bfrev_b32_e32 v13, 1
	s_and_saveexec_b64 s[66:67], vcc
	s_cbranch_execz .LBB4_443
; %bb.440:                              ;   in Loop: Header=BB4_348 Depth=4
	v_and_b32_e32 v1, 0x7f, v3
	v_cmp_ne_u32_e32 vcc, s92, v1
	v_mov_b32_e32 v13, 0x7f800001
	s_and_saveexec_b64 s[68:69], vcc
	s_cbranch_execz .LBB4_442
; %bb.441:                              ;   in Loop: Header=BB4_348 Depth=4
	v_and_b32_e32 v29, 7, v12
	v_ffbh_u32_e32 v13, v29
	v_min_u32_e32 v32, 32, v13
	v_subrev_u32_e32 v13, 28, v32
	v_lshlrev_b64 v[12:13], v13, v[12:13]
	v_lshrrev_b32_e32 v31, 3, v1
	v_sub_u32_e32 v13, 29, v32
	v_and_b32_e32 v12, 7, v12
	v_cmp_gt_u32_e32 vcc, 8, v1
	v_cndmask_b32_e32 v1, v31, v13, vcc
	v_cndmask_b32_e32 v12, v29, v12, vcc
	v_lshlrev_b32_e32 v3, 24, v3
	v_bfrev_b32_e32 v13, 60
	v_lshlrev_b32_e32 v12, 20, v12
	v_and_b32_e32 v3, 0x80000000, v3
	v_lshl_add_u32 v1, v1, 23, v13
	v_or3_b32 v13, v3, v1, v12
.LBB4_442:                              ;   in Loop: Header=BB4_348 Depth=4
	s_or_b64 exec, exec, s[68:69]
.LBB4_443:                              ;   in Loop: Header=BB4_348 Depth=4
	s_or_b64 exec, exec, s[66:67]
.LBB4_444:                              ;   in Loop: Header=BB4_348 Depth=4
	s_or_b64 exec, exec, s[28:29]
	v_add_f32_e32 v12, v30, v13
	v_and_b32_sdwa v29, v12, s91 dst_sel:DWORD dst_unused:UNUSED_PAD src0_sel:BYTE_3 src1_sel:DWORD
	v_and_b32_e32 v30, 0x7f800000, v12
	v_mov_b32_e32 v31, v59
	v_and_b32_e32 v58, 0x7fffff, v12
	v_or_b32_e32 v3, 0x7e, v29
	v_cmp_ne_u64_e32 vcc, s[54:55], v[30:31]
	s_and_saveexec_b64 s[28:29], vcc
	s_xor_b64 s[66:67], exec, s[28:29]
	s_cbranch_execz .LBB4_458
; %bb.445:                              ;   in Loop: Header=BB4_348 Depth=4
	v_and_b32_e32 v30, 0x7fffffff, v12
	v_mov_b32_e32 v31, v59
	v_cmp_gt_u64_e32 vcc, s[56:57], v[30:31]
	s_and_saveexec_b64 s[28:29], vcc
	s_xor_b64 s[68:69], exec, s[28:29]
	s_cbranch_execz .LBB4_457
; %bb.446:                              ;   in Loop: Header=BB4_348 Depth=4
	v_cmp_ne_u32_e32 vcc, 0, v12
	v_mov_b32_e32 v3, 0
	s_and_saveexec_b64 s[70:71], vcc
	s_cbranch_execz .LBB4_456
; %bb.447:                              ;   in Loop: Header=BB4_348 Depth=4
	v_bfe_u32 v1, v12, 23, 8
	v_sub_u32_e32 v12, 0x79, v1
	v_cmp_gt_u32_e32 vcc, s93, v1
	v_add_u32_e32 v3, 0xffffff81, v1
	v_cndmask_b32_e32 v12, 0, v12, vcc
	v_cmp_eq_u32_e32 vcc, 0, v1
	v_mov_b32_e32 v1, 0xffffff82
	v_cndmask_b32_e32 v1, v3, v1, vcc
	v_mov_b32_e32 v3, 0x78
	v_or_b32_e32 v13, 0x800000, v58
	v_cndmask_b32_e32 v3, v12, v3, vcc
	v_cndmask_b32_e32 v58, v13, v58, vcc
	v_add_u32_e32 v12, 20, v3
	v_lshlrev_b64 v[12:13], v12, -1
	v_lshrrev_b64 v[32:33], v3, v[58:59]
	v_not_b32_e32 v13, v13
	v_not_b32_e32 v12, v12
	v_add_u32_e32 v30, 19, v3
	v_lshrrev_b32_e32 v34, 23, v32
	v_and_b32_e32 v13, 0, v13
	v_and_b32_e32 v12, v58, v12
	v_lshlrev_b64 v[30:31], v30, 1
	v_add3_u32 v1, v3, v1, v34
	v_bfe_u32 v34, v32, 20, 1
	v_add_u32_e32 v34, -1, v34
	v_cmp_eq_u64_e32 vcc, v[12:13], v[30:31]
	v_cndmask_b32_e32 v12, 0, v34, vcc
	v_add_u32_e32 v12, v12, v32
	v_and_b32_e32 v12, 0xfffff, v12
	v_add_co_u32_e32 v12, vcc, v12, v32
	v_add_u32_e32 v3, 6, v1
	v_addc_co_u32_e32 v13, vcc, 0, v33, vcc
	v_cmp_ne_u32_e32 vcc, 0, v3
                                        ; implicit-def: $vgpr30
	s_and_saveexec_b64 s[28:29], vcc
	s_xor_b64 s[28:29], exec, s[28:29]
; %bb.448:                              ;   in Loop: Header=BB4_348 Depth=4
	v_add_u32_e32 v1, 7, v1
	v_cmp_lt_u64_e32 vcc, s[58:59], v[12:13]
	v_cndmask_b32_e32 v30, v3, v1, vcc
	v_cndmask_b32_e64 v1, 0, 1, vcc
	v_lshrrev_b64 v[12:13], v1, v[12:13]
; %bb.449:                              ;   in Loop: Header=BB4_348 Depth=4
	s_andn2_saveexec_b64 s[28:29], s[28:29]
; %bb.450:                              ;   in Loop: Header=BB4_348 Depth=4
	v_bfe_u32 v30, v12, 23, 1
; %bb.451:                              ;   in Loop: Header=BB4_348 Depth=4
	s_or_b64 exec, exec, s[28:29]
	v_lshrrev_b64 v[12:13], 20, v[12:13]
	v_cmp_gt_i32_e32 vcc, 16, v30
	v_cndmask_b32_e32 v13, 0, v13, vcc
	v_cndmask_b32_e32 v12, 7, v12, vcc
	v_cmp_ne_u32_e32 vcc, 0, v30
	v_cmp_ne_u64_e64 s[28:29], 0, v[12:13]
	s_or_b64 s[28:29], vcc, s[28:29]
                                        ; implicit-def: $vgpr3
	s_and_saveexec_b64 vcc, s[28:29]
	s_xor_b64 s[28:29], exec, vcc
; %bb.452:                              ;   in Loop: Header=BB4_348 Depth=4
	v_min_i32_e32 v1, 15, v30
	v_lshl_or_b32 v1, v1, 3, v29
	v_and_or_b32 v3, v12, 7, v1
                                        ; implicit-def: $vgpr29
; %bb.453:                              ;   in Loop: Header=BB4_348 Depth=4
	s_andn2_saveexec_b64 s[28:29], s[28:29]
; %bb.454:                              ;   in Loop: Header=BB4_348 Depth=4
	v_mov_b32_e32 v3, v29
; %bb.455:                              ;   in Loop: Header=BB4_348 Depth=4
	s_or_b64 exec, exec, s[28:29]
.LBB4_456:                              ;   in Loop: Header=BB4_348 Depth=4
	s_or_b64 exec, exec, s[70:71]
.LBB4_457:                              ;   in Loop: Header=BB4_348 Depth=4
	s_andn2_saveexec_b64 s[28:29], s[68:69]
	s_or_b64 exec, exec, s[28:29]
                                        ; implicit-def: $vgpr12
.LBB4_458:                              ;   in Loop: Header=BB4_348 Depth=4
	s_andn2_saveexec_b64 s[28:29], s[66:67]
; %bb.459:                              ;   in Loop: Header=BB4_348 Depth=4
	v_or_b32_sdwa v1, v12, s92 dst_sel:DWORD dst_unused:UNUSED_PAD src0_sel:BYTE_3 src1_sel:DWORD
	v_cmp_eq_u64_e32 vcc, 0, v[58:59]
	v_cndmask_b32_e32 v3, v1, v3, vcc
; %bb.460:                              ;   in Loop: Header=BB4_348 Depth=4
	s_or_b64 exec, exec, s[28:29]
	v_and_b32_e32 v12, 0xff, v28
	v_cmp_ne_u16_e32 vcc, 0, v12
	v_mov_b32_e32 v13, 0
	v_mov_b32_e32 v29, 0
	s_and_saveexec_b64 s[28:29], vcc
	s_cbranch_execz .LBB4_466
; %bb.461:                              ;   in Loop: Header=BB4_348 Depth=4
	v_cmp_ne_u16_e32 vcc, s91, v12
	v_bfrev_b32_e32 v29, 1
	s_and_saveexec_b64 s[66:67], vcc
	s_cbranch_execz .LBB4_465
; %bb.462:                              ;   in Loop: Header=BB4_348 Depth=4
	v_and_b32_e32 v1, 0x7f, v28
	v_cmp_ne_u32_e32 vcc, s92, v1
	v_mov_b32_e32 v29, 0x7f800001
	s_and_saveexec_b64 s[68:69], vcc
	s_cbranch_execz .LBB4_464
; %bb.463:                              ;   in Loop: Header=BB4_348 Depth=4
	v_and_b32_e32 v29, 7, v12
	v_ffbh_u32_e32 v30, v29
	v_min_u32_e32 v33, 32, v30
	v_subrev_u32_e32 v30, 28, v33
	v_lshlrev_b64 v[30:31], v30, v[12:13]
	v_lshrrev_b32_e32 v32, 3, v1
	v_sub_u32_e32 v12, 29, v33
	v_and_b32_e32 v30, 7, v30
	v_cmp_gt_u32_e32 vcc, 8, v1
	v_cndmask_b32_e32 v1, v32, v12, vcc
	v_cndmask_b32_e32 v12, v29, v30, vcc
	v_lshlrev_b32_e32 v28, 24, v28
	v_bfrev_b32_e32 v29, 60
	v_lshlrev_b32_e32 v12, 20, v12
	v_and_b32_e32 v28, 0x80000000, v28
	v_lshl_add_u32 v1, v1, 23, v29
	v_or3_b32 v29, v28, v1, v12
.LBB4_464:                              ;   in Loop: Header=BB4_348 Depth=4
	s_or_b64 exec, exec, s[68:69]
.LBB4_465:                              ;   in Loop: Header=BB4_348 Depth=4
	s_or_b64 exec, exec, s[66:67]
.LBB4_466:                              ;   in Loop: Header=BB4_348 Depth=4
	s_or_b64 exec, exec, s[28:29]
	v_and_b32_e32 v12, 0xff, v26
	v_cmp_ne_u16_e32 vcc, 0, v12
	s_and_saveexec_b64 s[28:29], vcc
	s_cbranch_execz .LBB4_472
; %bb.467:                              ;   in Loop: Header=BB4_348 Depth=4
	v_cmp_ne_u16_e32 vcc, s91, v12
	v_bfrev_b32_e32 v13, 1
	s_and_saveexec_b64 s[66:67], vcc
	s_cbranch_execz .LBB4_471
; %bb.468:                              ;   in Loop: Header=BB4_348 Depth=4
	v_and_b32_e32 v1, 0x7f, v26
	v_cmp_ne_u32_e32 vcc, s92, v1
	v_mov_b32_e32 v13, 0x7f800001
	s_and_saveexec_b64 s[68:69], vcc
	s_cbranch_execz .LBB4_470
; %bb.469:                              ;   in Loop: Header=BB4_348 Depth=4
	v_and_b32_e32 v28, 7, v12
	v_ffbh_u32_e32 v13, v28
	v_min_u32_e32 v31, 32, v13
	v_subrev_u32_e32 v13, 28, v31
	v_lshlrev_b64 v[12:13], v13, v[12:13]
	v_lshrrev_b32_e32 v30, 3, v1
	v_sub_u32_e32 v13, 29, v31
	v_and_b32_e32 v12, 7, v12
	v_cmp_gt_u32_e32 vcc, 8, v1
	v_cndmask_b32_e32 v1, v30, v13, vcc
	v_cndmask_b32_e32 v12, v28, v12, vcc
	v_lshlrev_b32_e32 v13, 24, v26
	v_bfrev_b32_e32 v26, 60
	v_lshlrev_b32_e32 v12, 20, v12
	v_and_b32_e32 v13, 0x80000000, v13
	v_lshl_add_u32 v1, v1, 23, v26
	v_or3_b32 v13, v13, v1, v12
.LBB4_470:                              ;   in Loop: Header=BB4_348 Depth=4
	s_or_b64 exec, exec, s[68:69]
.LBB4_471:                              ;   in Loop: Header=BB4_348 Depth=4
	s_or_b64 exec, exec, s[66:67]
.LBB4_472:                              ;   in Loop: Header=BB4_348 Depth=4
	s_or_b64 exec, exec, s[28:29]
	v_add_f32_e32 v12, v29, v13
	v_and_b32_sdwa v28, v12, s91 dst_sel:DWORD dst_unused:UNUSED_PAD src0_sel:BYTE_3 src1_sel:DWORD
	v_and_b32_e32 v30, 0x7f800000, v12
	v_mov_b32_e32 v31, v59
	v_and_b32_e32 v58, 0x7fffff, v12
	v_or_b32_e32 v26, 0x7e, v28
	v_cmp_ne_u64_e32 vcc, s[54:55], v[30:31]
	s_and_saveexec_b64 s[28:29], vcc
	s_xor_b64 s[66:67], exec, s[28:29]
	s_cbranch_execz .LBB4_486
; %bb.473:                              ;   in Loop: Header=BB4_348 Depth=4
	v_and_b32_e32 v30, 0x7fffffff, v12
	v_mov_b32_e32 v31, v59
	v_cmp_gt_u64_e32 vcc, s[56:57], v[30:31]
	s_and_saveexec_b64 s[28:29], vcc
	s_xor_b64 s[68:69], exec, s[28:29]
	s_cbranch_execz .LBB4_485
; %bb.474:                              ;   in Loop: Header=BB4_348 Depth=4
	v_cmp_ne_u32_e32 vcc, 0, v12
	v_mov_b32_e32 v26, 0
	s_and_saveexec_b64 s[70:71], vcc
	s_cbranch_execz .LBB4_484
; %bb.475:                              ;   in Loop: Header=BB4_348 Depth=4
	v_bfe_u32 v1, v12, 23, 8
	v_sub_u32_e32 v13, 0x79, v1
	v_cmp_gt_u32_e32 vcc, s93, v1
	v_add_u32_e32 v12, 0xffffff81, v1
	v_cndmask_b32_e32 v13, 0, v13, vcc
	v_cmp_eq_u32_e32 vcc, 0, v1
	v_mov_b32_e32 v1, 0xffffff82
	v_cndmask_b32_e32 v1, v12, v1, vcc
	v_mov_b32_e32 v12, 0x78
	v_or_b32_e32 v26, 0x800000, v58
	v_cndmask_b32_e32 v29, v13, v12, vcc
	v_cndmask_b32_e32 v58, v26, v58, vcc
	v_add_u32_e32 v12, 20, v29
	v_lshlrev_b64 v[12:13], v12, -1
	v_add_u32_e32 v26, 19, v29
	v_lshrrev_b64 v[32:33], v29, v[58:59]
	v_not_b32_e32 v13, v13
	v_not_b32_e32 v12, v12
	v_lshlrev_b64 v[30:31], v26, 1
	v_lshrrev_b32_e32 v26, 23, v32
	v_and_b32_e32 v13, 0, v13
	v_and_b32_e32 v12, v58, v12
	v_add3_u32 v1, v29, v1, v26
	v_bfe_u32 v29, v32, 20, 1
	v_add_u32_e32 v29, -1, v29
	v_cmp_eq_u64_e32 vcc, v[12:13], v[30:31]
	v_cndmask_b32_e32 v12, 0, v29, vcc
	v_add_u32_e32 v12, v12, v32
	v_and_b32_e32 v12, 0xfffff, v12
	v_add_co_u32_e32 v12, vcc, v12, v32
	v_add_u32_e32 v26, 6, v1
	v_addc_co_u32_e32 v13, vcc, 0, v33, vcc
	v_cmp_ne_u32_e32 vcc, 0, v26
                                        ; implicit-def: $vgpr29
	s_and_saveexec_b64 s[28:29], vcc
	s_xor_b64 s[28:29], exec, s[28:29]
; %bb.476:                              ;   in Loop: Header=BB4_348 Depth=4
	v_add_u32_e32 v1, 7, v1
	v_cmp_lt_u64_e32 vcc, s[58:59], v[12:13]
	v_cndmask_b32_e32 v29, v26, v1, vcc
	v_cndmask_b32_e64 v1, 0, 1, vcc
	v_lshrrev_b64 v[12:13], v1, v[12:13]
; %bb.477:                              ;   in Loop: Header=BB4_348 Depth=4
	s_andn2_saveexec_b64 s[28:29], s[28:29]
; %bb.478:                              ;   in Loop: Header=BB4_348 Depth=4
	v_bfe_u32 v29, v12, 23, 1
; %bb.479:                              ;   in Loop: Header=BB4_348 Depth=4
	s_or_b64 exec, exec, s[28:29]
	v_lshrrev_b64 v[12:13], 20, v[12:13]
	v_cmp_gt_i32_e32 vcc, 16, v29
	v_cndmask_b32_e32 v13, 0, v13, vcc
	v_cndmask_b32_e32 v12, 7, v12, vcc
	v_cmp_ne_u32_e32 vcc, 0, v29
	v_cmp_ne_u64_e64 s[28:29], 0, v[12:13]
	s_or_b64 s[28:29], vcc, s[28:29]
                                        ; implicit-def: $vgpr26
	s_and_saveexec_b64 vcc, s[28:29]
	s_xor_b64 s[28:29], exec, vcc
; %bb.480:                              ;   in Loop: Header=BB4_348 Depth=4
	v_min_i32_e32 v1, 15, v29
	v_lshl_or_b32 v1, v1, 3, v28
	v_and_or_b32 v26, v12, 7, v1
                                        ; implicit-def: $vgpr28
; %bb.481:                              ;   in Loop: Header=BB4_348 Depth=4
	s_andn2_saveexec_b64 s[28:29], s[28:29]
; %bb.482:                              ;   in Loop: Header=BB4_348 Depth=4
	v_mov_b32_e32 v26, v28
; %bb.483:                              ;   in Loop: Header=BB4_348 Depth=4
	s_or_b64 exec, exec, s[28:29]
.LBB4_484:                              ;   in Loop: Header=BB4_348 Depth=4
	s_or_b64 exec, exec, s[70:71]
.LBB4_485:                              ;   in Loop: Header=BB4_348 Depth=4
	s_andn2_saveexec_b64 s[28:29], s[68:69]
	s_or_b64 exec, exec, s[28:29]
                                        ; implicit-def: $vgpr12
.LBB4_486:                              ;   in Loop: Header=BB4_348 Depth=4
	s_andn2_saveexec_b64 s[28:29], s[66:67]
; %bb.487:                              ;   in Loop: Header=BB4_348 Depth=4
	v_or_b32_sdwa v1, v12, s92 dst_sel:DWORD dst_unused:UNUSED_PAD src0_sel:BYTE_3 src1_sel:DWORD
	v_cmp_eq_u64_e32 vcc, 0, v[58:59]
	v_cndmask_b32_e32 v26, v1, v26, vcc
; %bb.488:                              ;   in Loop: Header=BB4_348 Depth=4
	s_or_b64 exec, exec, s[28:29]
	v_and_b32_e32 v12, 0xff, v25
	v_cmp_ne_u16_e32 vcc, 0, v12
	v_mov_b32_e32 v13, 0
	v_mov_b32_e32 v28, 0
	s_and_saveexec_b64 s[28:29], vcc
	s_cbranch_execz .LBB4_494
; %bb.489:                              ;   in Loop: Header=BB4_348 Depth=4
	v_cmp_ne_u16_e32 vcc, s91, v12
	v_bfrev_b32_e32 v28, 1
	s_and_saveexec_b64 s[66:67], vcc
	s_cbranch_execz .LBB4_493
; %bb.490:                              ;   in Loop: Header=BB4_348 Depth=4
	v_and_b32_e32 v1, 0x7f, v25
	v_cmp_ne_u32_e32 vcc, s92, v1
	v_mov_b32_e32 v28, 0x7f800001
	s_and_saveexec_b64 s[68:69], vcc
	s_cbranch_execz .LBB4_492
; %bb.491:                              ;   in Loop: Header=BB4_348 Depth=4
	v_and_b32_e32 v30, 7, v12
	v_ffbh_u32_e32 v28, v30
	v_min_u32_e32 v32, 32, v28
	v_subrev_u32_e32 v28, 28, v32
	v_lshlrev_b64 v[28:29], v28, v[12:13]
	v_lshrrev_b32_e32 v31, 3, v1
	v_sub_u32_e32 v12, 29, v32
	v_and_b32_e32 v28, 7, v28
	v_cmp_gt_u32_e32 vcc, 8, v1
	v_cndmask_b32_e32 v1, v31, v12, vcc
	v_cndmask_b32_e32 v12, v30, v28, vcc
	v_lshlrev_b32_e32 v25, 24, v25
	v_bfrev_b32_e32 v28, 60
	v_lshlrev_b32_e32 v12, 20, v12
	v_and_b32_e32 v25, 0x80000000, v25
	v_lshl_add_u32 v1, v1, 23, v28
	v_or3_b32 v28, v25, v1, v12
.LBB4_492:                              ;   in Loop: Header=BB4_348 Depth=4
	s_or_b64 exec, exec, s[68:69]
.LBB4_493:                              ;   in Loop: Header=BB4_348 Depth=4
	s_or_b64 exec, exec, s[66:67]
.LBB4_494:                              ;   in Loop: Header=BB4_348 Depth=4
	s_or_b64 exec, exec, s[28:29]
	v_and_b32_e32 v12, 0xff, v24
	v_cmp_ne_u16_e32 vcc, 0, v12
	s_and_saveexec_b64 s[28:29], vcc
	s_cbranch_execz .LBB4_500
; %bb.495:                              ;   in Loop: Header=BB4_348 Depth=4
	v_cmp_ne_u16_e32 vcc, s91, v12
	v_bfrev_b32_e32 v13, 1
	s_and_saveexec_b64 s[66:67], vcc
	s_cbranch_execz .LBB4_499
; %bb.496:                              ;   in Loop: Header=BB4_348 Depth=4
	v_and_b32_e32 v1, 0x7f, v24
	v_cmp_ne_u32_e32 vcc, s92, v1
	v_mov_b32_e32 v13, 0x7f800001
	s_and_saveexec_b64 s[68:69], vcc
	s_cbranch_execz .LBB4_498
; %bb.497:                              ;   in Loop: Header=BB4_348 Depth=4
	v_and_b32_e32 v25, 7, v12
	v_ffbh_u32_e32 v13, v25
	v_min_u32_e32 v30, 32, v13
	v_subrev_u32_e32 v13, 28, v30
	v_lshlrev_b64 v[12:13], v13, v[12:13]
	v_lshrrev_b32_e32 v29, 3, v1
	v_sub_u32_e32 v13, 29, v30
	v_and_b32_e32 v12, 7, v12
	v_cmp_gt_u32_e32 vcc, 8, v1
	v_cndmask_b32_e32 v1, v29, v13, vcc
	v_cndmask_b32_e32 v12, v25, v12, vcc
	v_lshlrev_b32_e32 v13, 24, v24
	v_bfrev_b32_e32 v24, 60
	v_lshlrev_b32_e32 v12, 20, v12
	v_and_b32_e32 v13, 0x80000000, v13
	v_lshl_add_u32 v1, v1, 23, v24
	v_or3_b32 v13, v13, v1, v12
.LBB4_498:                              ;   in Loop: Header=BB4_348 Depth=4
	s_or_b64 exec, exec, s[68:69]
.LBB4_499:                              ;   in Loop: Header=BB4_348 Depth=4
	s_or_b64 exec, exec, s[66:67]
.LBB4_500:                              ;   in Loop: Header=BB4_348 Depth=4
	s_or_b64 exec, exec, s[28:29]
	v_add_f32_e32 v12, v28, v13
	v_and_b32_sdwa v25, v12, s91 dst_sel:DWORD dst_unused:UNUSED_PAD src0_sel:BYTE_3 src1_sel:DWORD
	v_and_b32_e32 v28, 0x7f800000, v12
	v_mov_b32_e32 v29, v59
	v_and_b32_e32 v58, 0x7fffff, v12
	v_or_b32_e32 v24, 0x7e, v25
	v_cmp_ne_u64_e32 vcc, s[54:55], v[28:29]
	s_and_saveexec_b64 s[28:29], vcc
	s_xor_b64 s[66:67], exec, s[28:29]
	s_cbranch_execz .LBB4_514
; %bb.501:                              ;   in Loop: Header=BB4_348 Depth=4
	v_and_b32_e32 v28, 0x7fffffff, v12
	v_mov_b32_e32 v29, v59
	v_cmp_gt_u64_e32 vcc, s[56:57], v[28:29]
	s_and_saveexec_b64 s[28:29], vcc
	s_xor_b64 s[68:69], exec, s[28:29]
	s_cbranch_execz .LBB4_513
; %bb.502:                              ;   in Loop: Header=BB4_348 Depth=4
	v_cmp_ne_u32_e32 vcc, 0, v12
	v_mov_b32_e32 v24, 0
	s_and_saveexec_b64 s[70:71], vcc
	s_cbranch_execz .LBB4_512
; %bb.503:                              ;   in Loop: Header=BB4_348 Depth=4
	v_bfe_u32 v1, v12, 23, 8
	v_sub_u32_e32 v13, 0x79, v1
	v_cmp_gt_u32_e32 vcc, s93, v1
	v_add_u32_e32 v12, 0xffffff81, v1
	v_cndmask_b32_e32 v13, 0, v13, vcc
	v_cmp_eq_u32_e32 vcc, 0, v1
	v_mov_b32_e32 v1, 0xffffff82
	v_cndmask_b32_e32 v1, v12, v1, vcc
	v_mov_b32_e32 v12, 0x78
	v_or_b32_e32 v24, 0x800000, v58
	v_cndmask_b32_e32 v32, v13, v12, vcc
	v_cndmask_b32_e32 v58, v24, v58, vcc
	v_add_u32_e32 v12, 20, v32
	v_lshlrev_b64 v[12:13], v12, -1
	v_add_u32_e32 v24, 19, v32
	v_lshrrev_b64 v[30:31], v32, v[58:59]
	v_not_b32_e32 v13, v13
	v_not_b32_e32 v12, v12
	v_lshlrev_b64 v[28:29], v24, 1
	v_lshrrev_b32_e32 v24, 23, v30
	v_and_b32_e32 v13, 0, v13
	v_and_b32_e32 v12, v58, v12
	v_add3_u32 v1, v32, v1, v24
	v_bfe_u32 v32, v30, 20, 1
	v_add_u32_e32 v32, -1, v32
	v_cmp_eq_u64_e32 vcc, v[12:13], v[28:29]
	v_cndmask_b32_e32 v12, 0, v32, vcc
	v_add_u32_e32 v12, v12, v30
	v_and_b32_e32 v12, 0xfffff, v12
	v_add_co_u32_e32 v12, vcc, v12, v30
	v_add_u32_e32 v24, 6, v1
	v_addc_co_u32_e32 v13, vcc, 0, v31, vcc
	v_cmp_ne_u32_e32 vcc, 0, v24
                                        ; implicit-def: $vgpr28
	s_and_saveexec_b64 s[28:29], vcc
	s_xor_b64 s[28:29], exec, s[28:29]
; %bb.504:                              ;   in Loop: Header=BB4_348 Depth=4
	v_add_u32_e32 v1, 7, v1
	v_cmp_lt_u64_e32 vcc, s[58:59], v[12:13]
	v_cndmask_b32_e32 v28, v24, v1, vcc
	v_cndmask_b32_e64 v1, 0, 1, vcc
	v_lshrrev_b64 v[12:13], v1, v[12:13]
; %bb.505:                              ;   in Loop: Header=BB4_348 Depth=4
	s_andn2_saveexec_b64 s[28:29], s[28:29]
; %bb.506:                              ;   in Loop: Header=BB4_348 Depth=4
	v_bfe_u32 v28, v12, 23, 1
; %bb.507:                              ;   in Loop: Header=BB4_348 Depth=4
	s_or_b64 exec, exec, s[28:29]
	v_lshrrev_b64 v[12:13], 20, v[12:13]
	v_cmp_gt_i32_e32 vcc, 16, v28
	v_cndmask_b32_e32 v13, 0, v13, vcc
	v_cndmask_b32_e32 v12, 7, v12, vcc
	v_cmp_ne_u32_e32 vcc, 0, v28
	v_cmp_ne_u64_e64 s[28:29], 0, v[12:13]
	s_or_b64 s[28:29], vcc, s[28:29]
                                        ; implicit-def: $vgpr24
	s_and_saveexec_b64 vcc, s[28:29]
	s_xor_b64 s[28:29], exec, vcc
; %bb.508:                              ;   in Loop: Header=BB4_348 Depth=4
	v_min_i32_e32 v1, 15, v28
	v_lshl_or_b32 v1, v1, 3, v25
	v_and_or_b32 v24, v12, 7, v1
                                        ; implicit-def: $vgpr25
; %bb.509:                              ;   in Loop: Header=BB4_348 Depth=4
	s_andn2_saveexec_b64 s[28:29], s[28:29]
; %bb.510:                              ;   in Loop: Header=BB4_348 Depth=4
	v_mov_b32_e32 v24, v25
; %bb.511:                              ;   in Loop: Header=BB4_348 Depth=4
	s_or_b64 exec, exec, s[28:29]
.LBB4_512:                              ;   in Loop: Header=BB4_348 Depth=4
	s_or_b64 exec, exec, s[70:71]
.LBB4_513:                              ;   in Loop: Header=BB4_348 Depth=4
	s_andn2_saveexec_b64 s[28:29], s[68:69]
	s_or_b64 exec, exec, s[28:29]
                                        ; implicit-def: $vgpr12
.LBB4_514:                              ;   in Loop: Header=BB4_348 Depth=4
	s_andn2_saveexec_b64 s[28:29], s[66:67]
; %bb.515:                              ;   in Loop: Header=BB4_348 Depth=4
	v_or_b32_sdwa v1, v12, s92 dst_sel:DWORD dst_unused:UNUSED_PAD src0_sel:BYTE_3 src1_sel:DWORD
	v_cmp_eq_u64_e32 vcc, 0, v[58:59]
	v_cndmask_b32_e32 v24, v1, v24, vcc
; %bb.516:                              ;   in Loop: Header=BB4_348 Depth=4
	s_or_b64 exec, exec, s[28:29]
	v_and_b32_e32 v12, 0xff, v22
	v_cmp_ne_u16_e32 vcc, 0, v12
	v_mov_b32_e32 v13, 0
	v_mov_b32_e32 v25, 0
	s_and_saveexec_b64 s[28:29], vcc
	s_cbranch_execz .LBB4_522
; %bb.517:                              ;   in Loop: Header=BB4_348 Depth=4
	v_cmp_ne_u16_e32 vcc, s91, v12
	v_bfrev_b32_e32 v25, 1
	s_and_saveexec_b64 s[66:67], vcc
	s_cbranch_execz .LBB4_521
; %bb.518:                              ;   in Loop: Header=BB4_348 Depth=4
	v_and_b32_e32 v1, 0x7f, v22
	v_cmp_ne_u32_e32 vcc, s92, v1
	v_mov_b32_e32 v25, 0x7f800001
	s_and_saveexec_b64 s[68:69], vcc
	s_cbranch_execz .LBB4_520
; %bb.519:                              ;   in Loop: Header=BB4_348 Depth=4
	v_and_b32_e32 v25, 7, v12
	v_ffbh_u32_e32 v28, v25
	v_min_u32_e32 v31, 32, v28
	v_subrev_u32_e32 v28, 28, v31
	v_lshlrev_b64 v[28:29], v28, v[12:13]
	v_lshrrev_b32_e32 v30, 3, v1
	v_sub_u32_e32 v12, 29, v31
	v_and_b32_e32 v28, 7, v28
	v_cmp_gt_u32_e32 vcc, 8, v1
	v_cndmask_b32_e32 v1, v30, v12, vcc
	v_cndmask_b32_e32 v12, v25, v28, vcc
	v_lshlrev_b32_e32 v22, 24, v22
	v_bfrev_b32_e32 v25, 60
	v_lshlrev_b32_e32 v12, 20, v12
	v_and_b32_e32 v22, 0x80000000, v22
	v_lshl_add_u32 v1, v1, 23, v25
	v_or3_b32 v25, v22, v1, v12
.LBB4_520:                              ;   in Loop: Header=BB4_348 Depth=4
	s_or_b64 exec, exec, s[68:69]
.LBB4_521:                              ;   in Loop: Header=BB4_348 Depth=4
	s_or_b64 exec, exec, s[66:67]
.LBB4_522:                              ;   in Loop: Header=BB4_348 Depth=4
	s_or_b64 exec, exec, s[28:29]
	v_and_b32_e32 v12, 0xff, v21
	v_cmp_ne_u16_e32 vcc, 0, v12
	s_and_saveexec_b64 s[28:29], vcc
	s_cbranch_execz .LBB4_528
; %bb.523:                              ;   in Loop: Header=BB4_348 Depth=4
	v_cmp_ne_u16_e32 vcc, s91, v12
	v_bfrev_b32_e32 v13, 1
	s_and_saveexec_b64 s[66:67], vcc
	s_cbranch_execz .LBB4_527
; %bb.524:                              ;   in Loop: Header=BB4_348 Depth=4
	v_and_b32_e32 v1, 0x7f, v21
	v_cmp_ne_u32_e32 vcc, s92, v1
	v_mov_b32_e32 v13, 0x7f800001
	s_and_saveexec_b64 s[68:69], vcc
	s_cbranch_execz .LBB4_526
; %bb.525:                              ;   in Loop: Header=BB4_348 Depth=4
	v_and_b32_e32 v22, 7, v12
	v_ffbh_u32_e32 v13, v22
	v_min_u32_e32 v29, 32, v13
	v_subrev_u32_e32 v13, 28, v29
	v_lshlrev_b64 v[12:13], v13, v[12:13]
	v_lshrrev_b32_e32 v28, 3, v1
	v_sub_u32_e32 v13, 29, v29
	v_and_b32_e32 v12, 7, v12
	v_cmp_gt_u32_e32 vcc, 8, v1
	v_cndmask_b32_e32 v1, v28, v13, vcc
	v_cndmask_b32_e32 v12, v22, v12, vcc
	v_lshlrev_b32_e32 v13, 24, v21
	v_bfrev_b32_e32 v21, 60
	v_lshlrev_b32_e32 v12, 20, v12
	v_and_b32_e32 v13, 0x80000000, v13
	v_lshl_add_u32 v1, v1, 23, v21
	v_or3_b32 v13, v13, v1, v12
.LBB4_526:                              ;   in Loop: Header=BB4_348 Depth=4
	s_or_b64 exec, exec, s[68:69]
.LBB4_527:                              ;   in Loop: Header=BB4_348 Depth=4
	s_or_b64 exec, exec, s[66:67]
.LBB4_528:                              ;   in Loop: Header=BB4_348 Depth=4
	s_or_b64 exec, exec, s[28:29]
	v_add_f32_e32 v12, v25, v13
	v_and_b32_sdwa v22, v12, s91 dst_sel:DWORD dst_unused:UNUSED_PAD src0_sel:BYTE_3 src1_sel:DWORD
	v_and_b32_e32 v28, 0x7f800000, v12
	v_mov_b32_e32 v29, v59
	v_and_b32_e32 v58, 0x7fffff, v12
	v_or_b32_e32 v21, 0x7e, v22
	v_cmp_ne_u64_e32 vcc, s[54:55], v[28:29]
	s_and_saveexec_b64 s[28:29], vcc
	s_xor_b64 s[66:67], exec, s[28:29]
	s_cbranch_execz .LBB4_542
; %bb.529:                              ;   in Loop: Header=BB4_348 Depth=4
	v_and_b32_e32 v28, 0x7fffffff, v12
	v_mov_b32_e32 v29, v59
	v_cmp_gt_u64_e32 vcc, s[56:57], v[28:29]
	s_and_saveexec_b64 s[28:29], vcc
	s_xor_b64 s[68:69], exec, s[28:29]
	s_cbranch_execz .LBB4_541
; %bb.530:                              ;   in Loop: Header=BB4_348 Depth=4
	v_cmp_ne_u32_e32 vcc, 0, v12
	v_mov_b32_e32 v21, 0
	s_and_saveexec_b64 s[70:71], vcc
	s_cbranch_execz .LBB4_540
; %bb.531:                              ;   in Loop: Header=BB4_348 Depth=4
	v_bfe_u32 v1, v12, 23, 8
	v_sub_u32_e32 v13, 0x79, v1
	v_cmp_gt_u32_e32 vcc, s93, v1
	v_add_u32_e32 v12, 0xffffff81, v1
	v_cndmask_b32_e32 v13, 0, v13, vcc
	v_cmp_eq_u32_e32 vcc, 0, v1
	v_mov_b32_e32 v1, 0xffffff82
	v_cndmask_b32_e32 v1, v12, v1, vcc
	v_mov_b32_e32 v12, 0x78
	v_or_b32_e32 v21, 0x800000, v58
	v_cndmask_b32_e32 v25, v13, v12, vcc
	v_cndmask_b32_e32 v58, v21, v58, vcc
	v_add_u32_e32 v12, 20, v25
	v_lshlrev_b64 v[12:13], v12, -1
	v_add_u32_e32 v21, 19, v25
	v_lshrrev_b64 v[30:31], v25, v[58:59]
	v_not_b32_e32 v13, v13
	v_not_b32_e32 v12, v12
	v_lshlrev_b64 v[28:29], v21, 1
	v_lshrrev_b32_e32 v21, 23, v30
	v_and_b32_e32 v13, 0, v13
	v_and_b32_e32 v12, v58, v12
	v_add3_u32 v1, v25, v1, v21
	v_bfe_u32 v25, v30, 20, 1
	v_add_u32_e32 v25, -1, v25
	v_cmp_eq_u64_e32 vcc, v[12:13], v[28:29]
	v_cndmask_b32_e32 v12, 0, v25, vcc
	v_add_u32_e32 v12, v12, v30
	v_and_b32_e32 v12, 0xfffff, v12
	v_add_co_u32_e32 v12, vcc, v12, v30
	v_add_u32_e32 v21, 6, v1
	v_addc_co_u32_e32 v13, vcc, 0, v31, vcc
	v_cmp_ne_u32_e32 vcc, 0, v21
                                        ; implicit-def: $vgpr25
	s_and_saveexec_b64 s[28:29], vcc
	s_xor_b64 s[28:29], exec, s[28:29]
; %bb.532:                              ;   in Loop: Header=BB4_348 Depth=4
	v_add_u32_e32 v1, 7, v1
	v_cmp_lt_u64_e32 vcc, s[58:59], v[12:13]
	v_cndmask_b32_e32 v25, v21, v1, vcc
	v_cndmask_b32_e64 v1, 0, 1, vcc
	v_lshrrev_b64 v[12:13], v1, v[12:13]
; %bb.533:                              ;   in Loop: Header=BB4_348 Depth=4
	s_andn2_saveexec_b64 s[28:29], s[28:29]
; %bb.534:                              ;   in Loop: Header=BB4_348 Depth=4
	v_bfe_u32 v25, v12, 23, 1
; %bb.535:                              ;   in Loop: Header=BB4_348 Depth=4
	s_or_b64 exec, exec, s[28:29]
	v_lshrrev_b64 v[12:13], 20, v[12:13]
	v_cmp_gt_i32_e32 vcc, 16, v25
	v_cndmask_b32_e32 v13, 0, v13, vcc
	v_cndmask_b32_e32 v12, 7, v12, vcc
	v_cmp_ne_u32_e32 vcc, 0, v25
	v_cmp_ne_u64_e64 s[28:29], 0, v[12:13]
	s_or_b64 s[28:29], vcc, s[28:29]
                                        ; implicit-def: $vgpr21
	s_and_saveexec_b64 vcc, s[28:29]
	s_xor_b64 s[28:29], exec, vcc
; %bb.536:                              ;   in Loop: Header=BB4_348 Depth=4
	v_min_i32_e32 v1, 15, v25
	v_lshl_or_b32 v1, v1, 3, v22
	v_and_or_b32 v21, v12, 7, v1
                                        ; implicit-def: $vgpr22
; %bb.537:                              ;   in Loop: Header=BB4_348 Depth=4
	s_andn2_saveexec_b64 s[28:29], s[28:29]
; %bb.538:                              ;   in Loop: Header=BB4_348 Depth=4
	v_mov_b32_e32 v21, v22
; %bb.539:                              ;   in Loop: Header=BB4_348 Depth=4
	s_or_b64 exec, exec, s[28:29]
.LBB4_540:                              ;   in Loop: Header=BB4_348 Depth=4
	s_or_b64 exec, exec, s[70:71]
.LBB4_541:                              ;   in Loop: Header=BB4_348 Depth=4
	s_andn2_saveexec_b64 s[28:29], s[68:69]
	s_or_b64 exec, exec, s[28:29]
                                        ; implicit-def: $vgpr12
.LBB4_542:                              ;   in Loop: Header=BB4_348 Depth=4
	s_andn2_saveexec_b64 s[28:29], s[66:67]
; %bb.543:                              ;   in Loop: Header=BB4_348 Depth=4
	v_or_b32_sdwa v1, v12, s92 dst_sel:DWORD dst_unused:UNUSED_PAD src0_sel:BYTE_3 src1_sel:DWORD
	v_cmp_eq_u64_e32 vcc, 0, v[58:59]
	v_cndmask_b32_e32 v21, v1, v21, vcc
; %bb.544:                              ;   in Loop: Header=BB4_348 Depth=4
	s_or_b64 exec, exec, s[28:29]
	v_and_b32_e32 v12, 0xff, v19
	v_cmp_ne_u16_e32 vcc, 0, v12
	v_mov_b32_e32 v13, 0
	v_mov_b32_e32 v22, 0
	s_and_saveexec_b64 s[28:29], vcc
	s_cbranch_execz .LBB4_550
; %bb.545:                              ;   in Loop: Header=BB4_348 Depth=4
	v_cmp_ne_u16_e32 vcc, s91, v12
	v_bfrev_b32_e32 v22, 1
	s_and_saveexec_b64 s[66:67], vcc
	s_cbranch_execz .LBB4_549
; %bb.546:                              ;   in Loop: Header=BB4_348 Depth=4
	v_and_b32_e32 v1, 0x7f, v19
	v_cmp_ne_u32_e32 vcc, s92, v1
	v_mov_b32_e32 v22, 0x7f800001
	s_and_saveexec_b64 s[68:69], vcc
	s_cbranch_execz .LBB4_548
; %bb.547:                              ;   in Loop: Header=BB4_348 Depth=4
	v_and_b32_e32 v22, 7, v12
	v_ffbh_u32_e32 v28, v22
	v_min_u32_e32 v30, 32, v28
	v_subrev_u32_e32 v28, 28, v30
	v_lshlrev_b64 v[28:29], v28, v[12:13]
	v_lshrrev_b32_e32 v25, 3, v1
	v_sub_u32_e32 v12, 29, v30
	v_and_b32_e32 v28, 7, v28
	v_cmp_gt_u32_e32 vcc, 8, v1
	v_cndmask_b32_e32 v1, v25, v12, vcc
	v_cndmask_b32_e32 v12, v22, v28, vcc
	v_lshlrev_b32_e32 v19, 24, v19
	v_bfrev_b32_e32 v22, 60
	v_lshlrev_b32_e32 v12, 20, v12
	v_and_b32_e32 v19, 0x80000000, v19
	v_lshl_add_u32 v1, v1, 23, v22
	v_or3_b32 v22, v19, v1, v12
.LBB4_548:                              ;   in Loop: Header=BB4_348 Depth=4
	s_or_b64 exec, exec, s[68:69]
.LBB4_549:                              ;   in Loop: Header=BB4_348 Depth=4
	s_or_b64 exec, exec, s[66:67]
.LBB4_550:                              ;   in Loop: Header=BB4_348 Depth=4
	s_or_b64 exec, exec, s[28:29]
	v_and_b32_e32 v12, 0xff, v18
	v_cmp_ne_u16_e32 vcc, 0, v12
	s_and_saveexec_b64 s[28:29], vcc
	s_cbranch_execz .LBB4_556
; %bb.551:                              ;   in Loop: Header=BB4_348 Depth=4
	v_cmp_ne_u16_e32 vcc, s91, v12
	v_bfrev_b32_e32 v13, 1
	s_and_saveexec_b64 s[66:67], vcc
	s_cbranch_execz .LBB4_555
; %bb.552:                              ;   in Loop: Header=BB4_348 Depth=4
	v_and_b32_e32 v1, 0x7f, v18
	v_cmp_ne_u32_e32 vcc, s92, v1
	v_mov_b32_e32 v13, 0x7f800001
	s_and_saveexec_b64 s[68:69], vcc
	s_cbranch_execz .LBB4_554
; %bb.553:                              ;   in Loop: Header=BB4_348 Depth=4
	v_and_b32_e32 v19, 7, v12
	v_ffbh_u32_e32 v13, v19
	v_min_u32_e32 v28, 32, v13
	v_subrev_u32_e32 v13, 28, v28
	v_lshlrev_b64 v[12:13], v13, v[12:13]
	v_lshrrev_b32_e32 v25, 3, v1
	v_sub_u32_e32 v13, 29, v28
	v_and_b32_e32 v12, 7, v12
	v_cmp_gt_u32_e32 vcc, 8, v1
	v_cndmask_b32_e32 v1, v25, v13, vcc
	v_cndmask_b32_e32 v12, v19, v12, vcc
	v_lshlrev_b32_e32 v13, 24, v18
	v_bfrev_b32_e32 v18, 60
	v_lshlrev_b32_e32 v12, 20, v12
	v_and_b32_e32 v13, 0x80000000, v13
	v_lshl_add_u32 v1, v1, 23, v18
	v_or3_b32 v13, v13, v1, v12
.LBB4_554:                              ;   in Loop: Header=BB4_348 Depth=4
	s_or_b64 exec, exec, s[68:69]
.LBB4_555:                              ;   in Loop: Header=BB4_348 Depth=4
	s_or_b64 exec, exec, s[66:67]
.LBB4_556:                              ;   in Loop: Header=BB4_348 Depth=4
	s_or_b64 exec, exec, s[28:29]
	v_add_f32_e32 v12, v22, v13
	v_and_b32_sdwa v18, v12, s91 dst_sel:DWORD dst_unused:UNUSED_PAD src0_sel:BYTE_3 src1_sel:DWORD
	v_and_b32_e32 v28, 0x7f800000, v12
	v_mov_b32_e32 v29, v59
	v_and_b32_e32 v58, 0x7fffff, v12
	v_or_b32_e32 v13, 0x7e, v18
	v_cmp_ne_u64_e32 vcc, s[54:55], v[28:29]
	s_and_saveexec_b64 s[28:29], vcc
	s_xor_b64 s[66:67], exec, s[28:29]
	s_cbranch_execz .LBB4_570
; %bb.557:                              ;   in Loop: Header=BB4_348 Depth=4
	v_and_b32_e32 v28, 0x7fffffff, v12
	v_mov_b32_e32 v29, v59
	v_cmp_gt_u64_e32 vcc, s[56:57], v[28:29]
	s_and_saveexec_b64 s[28:29], vcc
	s_xor_b64 s[68:69], exec, s[28:29]
	s_cbranch_execz .LBB4_569
; %bb.558:                              ;   in Loop: Header=BB4_348 Depth=4
	v_cmp_ne_u32_e32 vcc, 0, v12
	v_mov_b32_e32 v13, 0
	s_and_saveexec_b64 s[70:71], vcc
	s_cbranch_execz .LBB4_568
; %bb.559:                              ;   in Loop: Header=BB4_348 Depth=4
	v_bfe_u32 v1, v12, 23, 8
	v_sub_u32_e32 v13, 0x79, v1
	v_cmp_gt_u32_e32 vcc, s93, v1
	v_add_u32_e32 v12, 0xffffff81, v1
	v_cndmask_b32_e32 v13, 0, v13, vcc
	v_cmp_eq_u32_e32 vcc, 0, v1
	v_mov_b32_e32 v1, 0xffffff82
	v_cndmask_b32_e32 v1, v12, v1, vcc
	v_mov_b32_e32 v12, 0x78
	v_or_b32_e32 v19, 0x800000, v58
	v_cndmask_b32_e32 v22, v13, v12, vcc
	v_cndmask_b32_e32 v58, v19, v58, vcc
	v_add_u32_e32 v12, 20, v22
	v_lshlrev_b64 v[12:13], v12, -1
	v_add_u32_e32 v19, 19, v22
	v_lshrrev_b64 v[30:31], v22, v[58:59]
	v_not_b32_e32 v13, v13
	v_not_b32_e32 v12, v12
	v_lshlrev_b64 v[28:29], v19, 1
	v_lshrrev_b32_e32 v19, 23, v30
	v_and_b32_e32 v13, 0, v13
	v_and_b32_e32 v12, v58, v12
	v_add3_u32 v1, v22, v1, v19
	v_bfe_u32 v19, v30, 20, 1
	v_add_u32_e32 v19, -1, v19
	v_cmp_eq_u64_e32 vcc, v[12:13], v[28:29]
	v_cndmask_b32_e32 v12, 0, v19, vcc
	v_add_u32_e32 v12, v12, v30
	v_and_b32_e32 v12, 0xfffff, v12
	v_add_co_u32_e32 v12, vcc, v12, v30
	v_add_u32_e32 v22, 6, v1
	v_addc_co_u32_e32 v13, vcc, 0, v31, vcc
	v_cmp_ne_u32_e32 vcc, 0, v22
                                        ; implicit-def: $vgpr19
	s_and_saveexec_b64 s[28:29], vcc
	s_xor_b64 s[28:29], exec, s[28:29]
; %bb.560:                              ;   in Loop: Header=BB4_348 Depth=4
	v_add_u32_e32 v1, 7, v1
	v_cmp_lt_u64_e32 vcc, s[58:59], v[12:13]
	v_cndmask_b32_e32 v19, v22, v1, vcc
	v_cndmask_b32_e64 v1, 0, 1, vcc
	v_lshrrev_b64 v[12:13], v1, v[12:13]
; %bb.561:                              ;   in Loop: Header=BB4_348 Depth=4
	s_andn2_saveexec_b64 s[28:29], s[28:29]
; %bb.562:                              ;   in Loop: Header=BB4_348 Depth=4
	v_bfe_u32 v19, v12, 23, 1
; %bb.563:                              ;   in Loop: Header=BB4_348 Depth=4
	s_or_b64 exec, exec, s[28:29]
	v_lshrrev_b64 v[12:13], 20, v[12:13]
	v_cmp_gt_i32_e32 vcc, 16, v19
	v_cndmask_b32_e32 v13, 0, v13, vcc
	v_cndmask_b32_e32 v12, 7, v12, vcc
	v_cmp_ne_u32_e32 vcc, 0, v19
	v_cmp_ne_u64_e64 s[28:29], 0, v[12:13]
	s_or_b64 s[28:29], vcc, s[28:29]
                                        ; implicit-def: $vgpr13
	s_and_saveexec_b64 vcc, s[28:29]
	s_xor_b64 s[28:29], exec, vcc
; %bb.564:                              ;   in Loop: Header=BB4_348 Depth=4
	v_min_i32_e32 v1, 15, v19
	v_lshl_or_b32 v1, v1, 3, v18
	v_and_or_b32 v13, v12, 7, v1
                                        ; implicit-def: $vgpr18
; %bb.565:                              ;   in Loop: Header=BB4_348 Depth=4
	s_andn2_saveexec_b64 s[28:29], s[28:29]
; %bb.566:                              ;   in Loop: Header=BB4_348 Depth=4
	v_mov_b32_e32 v13, v18
; %bb.567:                              ;   in Loop: Header=BB4_348 Depth=4
	s_or_b64 exec, exec, s[28:29]
.LBB4_568:                              ;   in Loop: Header=BB4_348 Depth=4
	s_or_b64 exec, exec, s[70:71]
.LBB4_569:                              ;   in Loop: Header=BB4_348 Depth=4
	s_andn2_saveexec_b64 s[28:29], s[68:69]
	s_or_b64 exec, exec, s[28:29]
                                        ; implicit-def: $vgpr12
.LBB4_570:                              ;   in Loop: Header=BB4_348 Depth=4
	s_andn2_saveexec_b64 s[28:29], s[66:67]
	s_cbranch_execz .LBB4_347
; %bb.571:                              ;   in Loop: Header=BB4_348 Depth=4
	v_or_b32_sdwa v1, v12, s92 dst_sel:DWORD dst_unused:UNUSED_PAD src0_sel:BYTE_3 src1_sel:DWORD
	v_cmp_eq_u64_e32 vcc, 0, v[58:59]
	v_cndmask_b32_e32 v13, v1, v13, vcc
	s_branch .LBB4_347
.LBB4_572:                              ;   in Loop: Header=BB4_274 Depth=3
	s_and_saveexec_b64 s[28:29], s[10:11]
	s_cbranch_execnz .LBB4_1777
.LBB4_573:                              ;   in Loop: Header=BB4_274 Depth=3
	s_or_b64 exec, exec, s[28:29]
                                        ; implicit-def: $vgpr0
	s_and_saveexec_b64 s[28:29], s[24:25]
	s_xor_b64 s[30:31], exec, s[28:29]
	s_cbranch_execz .LBB4_1795
.LBB4_574:                              ;   in Loop: Header=BB4_274 Depth=3
	v_and_b32_e32 v1, 16, v60
	v_cmp_lt_i32_e32 vcc, 0, v19
	v_cmp_ne_u32_e64 s[28:29], 0, v1
	v_and_b32_e32 v0, 16, v60
	s_and_b64 vcc, s[28:29], vcc
	s_and_saveexec_b64 s[28:29], vcc
	s_cbranch_execz .LBB4_576
; %bb.575:                              ;   in Loop: Header=BB4_274 Depth=3
	v_mov_b32_e32 v0, 1
	s_waitcnt vmcnt(0) lgkmcnt(0)
	buffer_wbinvl1_vol
.LBB4_576:                              ;   in Loop: Header=BB4_274 Depth=3
	s_or_b64 exec, exec, s[28:29]
	s_andn2_saveexec_b64 s[28:29], s[30:31]
	s_cbranch_execz .LBB4_1814
	s_branch .LBB4_1796
.LBB4_577:                              ;   in Loop: Header=BB4_274 Depth=3
	v_ashrrev_i32_e32 v0, 31, v19
	v_lshrrev_b32_e32 v0, 21, v0
	v_add_u32_e32 v0, v19, v0
	v_ashrrev_i32_e32 v1, 11, v0
	v_accvgpr_read_b32 v0, a29
	v_accvgpr_write_b32 a51, v38
	v_sub_u32_e32 v38, v1, v0
	v_cmp_lt_i32_e32 vcc, 0, v38
	s_mov_b64 s[30:31], exec
	s_and_b64 s[28:29], s[30:31], vcc
	v_accvgpr_write_b32 a54, v19
	s_mov_b64 exec, s[28:29]
	s_cbranch_execz .LBB4_1383
; %bb.578:                              ;   in Loop: Header=BB4_274 Depth=3
	v_accvgpr_write_b32 a55, v1
	s_trap 2
	ds_read_b128 v[4:7], v0
	ds_read_b64 v[0:1], v0
	v_accvgpr_read_b32 v8, a42
	v_accvgpr_read_b32 v9, a43
	s_mov_b64 s[62:63], 0
	s_waitcnt lgkmcnt(0)
	v_add_co_u32_e32 v24, vcc, v4, v8
	v_addc_co_u32_e32 v25, vcc, v5, v9, vcc
	v_add_co_u32_e32 v40, vcc, v6, v8
	v_addc_co_u32_e32 v41, vcc, v7, v9, vcc
	;; [unrolled: 2-line block ×3, first 2 shown]
	s_branch .LBB4_580
.LBB4_579:                              ;   in Loop: Header=BB4_580 Depth=4
	s_or_b64 exec, exec, s[28:29]
	v_lshlrev_b32_e32 v1, 8, v36
	v_perm_b32 v1, v1, v26, s94
	v_lshl_or_b32 v1, v37, 16, v1
	v_lshl_or_b32 v33, v21, 24, v1
	v_and_b32_e32 v1, 0xff, v7
	v_lshlrev_b32_e32 v6, 8, v6
	v_lshlrev_b32_e32 v7, 24, v30
	;; [unrolled: 1-line block ×3, first 2 shown]
	v_perm_b32 v6, v6, v39, s94
	v_or3_b32 v32, v7, v1, v6
	v_and_b32_e32 v1, 0xff, v28
	v_lshlrev_b32_e32 v7, 8, v53
	v_lshlrev_b32_e32 v6, 24, v29
	v_lshlrev_b32_e32 v1, 16, v1
	v_perm_b32 v7, v7, v52, s94
	v_or3_b32 v34, v6, v1, v7
	v_lshlrev_b32_e32 v1, 8, v20
	v_perm_b32 v1, v1, v43, s94
	v_lshl_or_b32 v1, v56, 16, v1
	v_lshl_or_b32 v35, v19, 24, v1
	v_lshlrev_b32_e32 v1, 8, v18
	v_perm_b32 v1, v1, v42, s94
	v_lshl_or_b32 v1, v16, 16, v1
	v_lshl_or_b32 v15, v13, 24, v1
	v_and_b32_e32 v1, 0xff, v57
	v_lshlrev_b32_e32 v6, 8, v23
	v_lshlrev_b32_e32 v0, 24, v0
	;; [unrolled: 1-line block ×3, first 2 shown]
	v_perm_b32 v6, v6, v22, s94
	v_or3_b32 v14, v0, v1, v6
	v_and_b32_e32 v0, 0xff, v3
	v_lshlrev_b32_e32 v3, 8, v54
	v_lshlrev_b32_e32 v1, 24, v46
	;; [unrolled: 1-line block ×3, first 2 shown]
	v_perm_b32 v3, v3, v17, s94
	v_or3_b32 v16, v1, v0, v3
	v_lshlrev_b32_e32 v0, 8, v12
	v_accvgpr_read_b32 v1, a31
	v_perm_b32 v0, v0, v31, s94
	v_add_co_u32_e32 v24, vcc, v24, v1
	v_accvgpr_read_b32 v3, a32
	v_lshl_or_b32 v0, v47, 16, v0
	v_addc_co_u32_e32 v25, vcc, v25, v3, vcc
	v_lshl_or_b32 v17, v8, 24, v0
	v_add_co_u32_e32 v40, vcc, v40, v1
	v_accvgpr_read_b32 v0, a22
	v_addc_co_u32_e32 v41, vcc, v41, v3, vcc
	v_sub_u32_e32 v38, v38, v0
	v_cmp_gt_i32_e32 vcc, 1, v38
	global_store_dwordx4 v[4:5], v[32:35], off glc slc
	global_store_dwordx4 v[4:5], v[14:17], off offset:1024 glc slc
	s_or_b64 s[62:63], vcc, s[62:63]
	v_add_co_u32_e32 v4, vcc, v4, v1
	v_addc_co_u32_e32 v5, vcc, v5, v3, vcc
	s_andn2_b64 exec, exec, s[62:63]
	s_cbranch_execz .LBB4_1382
.LBB4_580:                              ;   Parent Loop BB4_47 Depth=1
                                        ;     Parent Loop BB4_271 Depth=2
                                        ;       Parent Loop BB4_274 Depth=3
                                        ; =>      This Inner Loop Header: Depth=4
	global_load_dwordx4 v[20:23], v[24:25], off glc slc
	global_load_dwordx4 v[12:15], v[24:25], off offset:1024 glc slc
	global_load_dwordx4 v[16:19], v[40:41], off glc slc
	global_load_dwordx4 v[8:11], v[40:41], off offset:1024 glc slc
	v_mov_b32_e32 v0, 0
	v_mov_b32_e32 v3, 0
	s_waitcnt vmcnt(0)
	v_cmp_ne_u16_sdwa vcc, v20, v59 src0_sel:BYTE_0 src1_sel:DWORD
	s_and_saveexec_b64 s[28:29], vcc
	s_cbranch_execz .LBB4_586
; %bb.581:                              ;   in Loop: Header=BB4_580 Depth=4
	v_cmp_ne_u16_sdwa vcc, v20, s91 src0_sel:BYTE_0 src1_sel:DWORD
	v_bfrev_b32_e32 v3, 1
	s_and_saveexec_b64 s[64:65], vcc
	s_cbranch_execz .LBB4_585
; %bb.582:                              ;   in Loop: Header=BB4_580 Depth=4
	v_and_b32_e32 v1, 0x7f, v20
	v_cmp_ne_u32_e32 vcc, s92, v1
	v_mov_b32_e32 v3, 0x7f800001
	s_and_saveexec_b64 s[66:67], vcc
	s_cbranch_execz .LBB4_584
; %bb.583:                              ;   in Loop: Header=BB4_580 Depth=4
	v_and_b32_e32 v3, 7, v20
	v_ffbh_u32_e32 v3, v3
	v_min_u32_e32 v3, 32, v3
	v_lshrrev_b32_e32 v6, 3, v1
	v_subrev_u32_e32 v7, 28, v3
	v_sub_u32_e32 v3, 29, v3
	v_cmp_gt_u32_e32 vcc, 8, v1
	v_cndmask_b32_e32 v1, v6, v3, vcc
	v_cndmask_b32_e32 v3, 0, v7, vcc
	v_lshlrev_b64 v[6:7], v3, v[20:21]
	v_lshlrev_b32_e32 v3, 20, v6
	v_lshlrev_b32_e32 v6, 24, v20
	v_bfrev_b32_e32 v7, 60
	v_and_b32_e32 v3, 0x700000, v3
	v_and_b32_e32 v6, 0x80000000, v6
	v_lshl_add_u32 v1, v1, 23, v7
	v_or3_b32 v3, v6, v1, v3
.LBB4_584:                              ;   in Loop: Header=BB4_580 Depth=4
	s_or_b64 exec, exec, s[66:67]
.LBB4_585:                              ;   in Loop: Header=BB4_580 Depth=4
	s_or_b64 exec, exec, s[64:65]
.LBB4_586:                              ;   in Loop: Header=BB4_580 Depth=4
	s_or_b64 exec, exec, s[28:29]
	v_cmp_ne_u16_sdwa vcc, v16, v59 src0_sel:BYTE_0 src1_sel:DWORD
	s_and_saveexec_b64 s[28:29], vcc
	s_cbranch_execz .LBB4_592
; %bb.587:                              ;   in Loop: Header=BB4_580 Depth=4
	v_cmp_ne_u16_sdwa vcc, v16, s91 src0_sel:BYTE_0 src1_sel:DWORD
	v_bfrev_b32_e32 v0, 1
	s_and_saveexec_b64 s[64:65], vcc
	s_cbranch_execz .LBB4_591
; %bb.588:                              ;   in Loop: Header=BB4_580 Depth=4
	v_and_b32_e32 v1, 0x7f, v16
	v_cmp_ne_u32_e32 vcc, s92, v1
	v_mov_b32_e32 v0, 0x7f800001
	s_and_saveexec_b64 s[66:67], vcc
	s_cbranch_execz .LBB4_590
; %bb.589:                              ;   in Loop: Header=BB4_580 Depth=4
	v_and_b32_e32 v0, 7, v16
	v_ffbh_u32_e32 v0, v0
	v_min_u32_e32 v0, 32, v0
	v_lshrrev_b32_e32 v6, 3, v1
	v_subrev_u32_e32 v7, 28, v0
	v_sub_u32_e32 v0, 29, v0
	v_cmp_gt_u32_e32 vcc, 8, v1
	v_cndmask_b32_e32 v6, v6, v0, vcc
	v_cndmask_b32_e32 v0, 0, v7, vcc
	v_lshlrev_b64 v[0:1], v0, v[16:17]
	v_lshlrev_b32_e32 v0, 20, v0
	v_lshlrev_b32_e32 v1, 24, v16
	v_bfrev_b32_e32 v7, 60
	v_and_b32_e32 v0, 0x700000, v0
	v_and_b32_e32 v1, 0x80000000, v1
	v_lshl_add_u32 v6, v6, 23, v7
	v_or3_b32 v0, v1, v6, v0
.LBB4_590:                              ;   in Loop: Header=BB4_580 Depth=4
	s_or_b64 exec, exec, s[66:67]
.LBB4_591:                              ;   in Loop: Header=BB4_580 Depth=4
	s_or_b64 exec, exec, s[64:65]
.LBB4_592:                              ;   in Loop: Header=BB4_580 Depth=4
	s_or_b64 exec, exec, s[28:29]
	v_add_f32_e32 v3, v3, v0
	v_and_b32_sdwa v0, v3, s91 dst_sel:DWORD dst_unused:UNUSED_PAD src0_sel:BYTE_3 src1_sel:DWORD
	v_and_b32_e32 v6, 0x7f800000, v3
	v_mov_b32_e32 v7, v59
	v_and_b32_e32 v58, 0x7fffff, v3
	v_or_b32_e32 v39, 0x7e, v0
	v_cmp_ne_u64_e32 vcc, s[54:55], v[6:7]
	s_and_saveexec_b64 s[28:29], vcc
	s_xor_b64 s[64:65], exec, s[28:29]
	s_cbranch_execz .LBB4_602
; %bb.593:                              ;   in Loop: Header=BB4_580 Depth=4
	v_and_b32_e32 v6, 0x7fffffff, v3
	v_mov_b32_e32 v7, v59
	v_cmp_gt_u64_e32 vcc, s[56:57], v[6:7]
	s_and_saveexec_b64 s[66:67], vcc
	s_cbranch_execz .LBB4_601
; %bb.594:                              ;   in Loop: Header=BB4_580 Depth=4
	v_cmp_ne_u32_e32 vcc, 0, v3
	v_mov_b32_e32 v39, 0
	s_and_saveexec_b64 s[68:69], vcc
	s_cbranch_execz .LBB4_600
; %bb.595:                              ;   in Loop: Header=BB4_580 Depth=4
	v_bfe_u32 v1, v3, 23, 8
	v_sub_u32_e32 v6, 0x79, v1
	v_cmp_gt_u32_e32 vcc, s93, v1
	v_add_u32_e32 v3, 0xffffff81, v1
	v_cndmask_b32_e32 v6, 0, v6, vcc
	v_cmp_eq_u32_e32 vcc, 0, v1
	v_mov_b32_e32 v1, 0xffffff82
	v_cndmask_b32_e32 v1, v3, v1, vcc
	v_mov_b32_e32 v3, 0x78
	v_cndmask_b32_e32 v3, v6, v3, vcc
	v_or_b32_e32 v7, 0x800000, v58
	v_add_u32_e32 v6, 20, v3
	v_cndmask_b32_e32 v58, v7, v58, vcc
	v_lshlrev_b64 v[6:7], v6, -1
	v_not_b32_e32 v6, v6
	v_and_b32_e32 v28, v58, v6
	v_add_u32_e32 v6, 19, v3
	v_lshrrev_b64 v[32:33], v3, v[58:59]
	v_not_b32_e32 v7, v7
	v_lshlrev_b64 v[30:31], v6, 1
	v_lshrrev_b32_e32 v6, 23, v32
	v_and_b32_e32 v29, 0, v7
	v_add3_u32 v7, v3, v1, v6
	v_bfe_u32 v1, v32, 20, 1
	v_add_u32_e32 v1, -1, v1
	v_cmp_eq_u64_e32 vcc, v[28:29], v[30:31]
	v_cndmask_b32_e32 v1, 0, v1, vcc
	v_add_u32_e32 v1, v1, v32
	v_and_b32_e32 v1, 0xfffff, v1
	v_add_co_u32_e32 v52, vcc, v1, v32
	v_add_u32_e32 v6, 6, v7
	v_addc_co_u32_e32 v53, vcc, 0, v33, vcc
	v_cmp_ne_u32_e32 vcc, 0, v6
                                        ; implicit-def: $vgpr3
	s_and_saveexec_b64 s[28:29], vcc
	s_xor_b64 s[28:29], exec, s[28:29]
; %bb.596:                              ;   in Loop: Header=BB4_580 Depth=4
	v_add_u32_e32 v1, 7, v7
	v_cmp_lt_u64_e32 vcc, s[58:59], v[52:53]
	v_cndmask_b32_e32 v3, v6, v1, vcc
	v_cndmask_b32_e64 v1, 0, 1, vcc
	v_lshrrev_b64 v[52:53], v1, v[52:53]
; %bb.597:                              ;   in Loop: Header=BB4_580 Depth=4
	s_andn2_saveexec_b64 s[28:29], s[28:29]
; %bb.598:                              ;   in Loop: Header=BB4_580 Depth=4
	v_bfe_u32 v3, v52, 23, 1
; %bb.599:                              ;   in Loop: Header=BB4_580 Depth=4
	s_or_b64 exec, exec, s[28:29]
	v_lshrrev_b64 v[6:7], 20, v[52:53]
	v_cmp_gt_i32_e32 vcc, 16, v3
	v_cndmask_b32_e32 v7, 0, v7, vcc
	v_cndmask_b32_e32 v6, 7, v6, vcc
	v_min_i32_e32 v1, 15, v3
	v_cmp_eq_u32_e32 vcc, 0, v3
	v_cmp_eq_u64_e64 s[28:29], 0, v[6:7]
	v_lshlrev_b32_e32 v1, 3, v1
	v_and_or_b32 v1, v6, 7, v1
	s_and_b64 s[28:29], vcc, s[28:29]
	v_cndmask_b32_e64 v1, v1, 0, s[28:29]
	v_or_b32_e32 v39, v1, v0
.LBB4_600:                              ;   in Loop: Header=BB4_580 Depth=4
	s_or_b64 exec, exec, s[68:69]
.LBB4_601:                              ;   in Loop: Header=BB4_580 Depth=4
	s_or_b64 exec, exec, s[66:67]
                                        ; implicit-def: $vgpr3
.LBB4_602:                              ;   in Loop: Header=BB4_580 Depth=4
	s_andn2_saveexec_b64 s[28:29], s[64:65]
; %bb.603:                              ;   in Loop: Header=BB4_580 Depth=4
	v_or_b32_sdwa v0, v3, s92 dst_sel:DWORD dst_unused:UNUSED_PAD src0_sel:BYTE_3 src1_sel:DWORD
	v_cmp_eq_u64_e32 vcc, 0, v[58:59]
	v_cndmask_b32_e32 v39, v0, v39, vcc
; %bb.604:                              ;   in Loop: Header=BB4_580 Depth=4
	s_or_b64 exec, exec, s[28:29]
	v_lshrrev_b16_e32 v52, 8, v20
	v_cmp_ne_u16_e32 vcc, 0, v52
	v_mov_b32_e32 v0, 0
	v_mov_b32_e32 v3, 0
	s_and_saveexec_b64 s[28:29], vcc
	s_cbranch_execz .LBB4_610
; %bb.605:                              ;   in Loop: Header=BB4_580 Depth=4
	v_cmp_ne_u16_e32 vcc, s91, v52
	v_bfrev_b32_e32 v3, 1
	s_and_saveexec_b64 s[64:65], vcc
	s_cbranch_execz .LBB4_609
; %bb.606:                              ;   in Loop: Header=BB4_580 Depth=4
	v_and_b32_e32 v1, 0x7f, v52
	v_cmp_ne_u32_e32 vcc, s92, v1
	v_mov_b32_e32 v3, 0x7f800001
	s_and_saveexec_b64 s[66:67], vcc
	s_cbranch_execz .LBB4_608
; %bb.607:                              ;   in Loop: Header=BB4_580 Depth=4
	v_and_b32_e32 v3, 7, v52
	v_ffbh_u32_e32 v6, v3
	v_min_u32_e32 v28, 32, v6
	v_subrev_u32_e32 v6, 28, v28
	v_lshlrev_b64 v[6:7], v6, v[52:53]
	v_lshrrev_b32_e32 v26, 3, v1
	v_sub_u32_e32 v7, 29, v28
	v_and_b32_e32 v6, 7, v6
	v_cmp_gt_u32_e32 vcc, 8, v1
	v_cndmask_b32_e32 v1, v26, v7, vcc
	v_cndmask_b32_e32 v3, v3, v6, vcc
	v_lshlrev_b32_e32 v6, 16, v20
	v_bfrev_b32_e32 v7, 60
	v_lshlrev_b32_e32 v3, 20, v3
	v_and_b32_e32 v6, 0x80000000, v6
	v_lshl_add_u32 v1, v1, 23, v7
	v_or3_b32 v3, v6, v1, v3
.LBB4_608:                              ;   in Loop: Header=BB4_580 Depth=4
	s_or_b64 exec, exec, s[66:67]
.LBB4_609:                              ;   in Loop: Header=BB4_580 Depth=4
	s_or_b64 exec, exec, s[64:65]
.LBB4_610:                              ;   in Loop: Header=BB4_580 Depth=4
	s_or_b64 exec, exec, s[28:29]
	v_lshrrev_b16_e32 v52, 8, v16
	v_cmp_ne_u16_e32 vcc, 0, v52
	s_and_saveexec_b64 s[28:29], vcc
	s_cbranch_execz .LBB4_616
; %bb.611:                              ;   in Loop: Header=BB4_580 Depth=4
	v_cmp_ne_u16_e32 vcc, s91, v52
	v_bfrev_b32_e32 v0, 1
	s_and_saveexec_b64 s[64:65], vcc
	s_cbranch_execz .LBB4_615
; %bb.612:                              ;   in Loop: Header=BB4_580 Depth=4
	v_and_b32_e32 v1, 0x7f, v52
	v_cmp_ne_u32_e32 vcc, s92, v1
	v_mov_b32_e32 v0, 0x7f800001
	s_and_saveexec_b64 s[66:67], vcc
	s_cbranch_execz .LBB4_614
; %bb.613:                              ;   in Loop: Header=BB4_580 Depth=4
	v_and_b32_e32 v0, 7, v52
	v_ffbh_u32_e32 v6, v0
	v_min_u32_e32 v28, 32, v6
	v_subrev_u32_e32 v6, 28, v28
	v_lshlrev_b64 v[6:7], v6, v[52:53]
	v_lshrrev_b32_e32 v26, 3, v1
	v_sub_u32_e32 v7, 29, v28
	v_and_b32_e32 v6, 7, v6
	v_cmp_gt_u32_e32 vcc, 8, v1
	v_cndmask_b32_e32 v1, v26, v7, vcc
	v_cndmask_b32_e32 v0, v0, v6, vcc
	v_lshlrev_b32_e32 v6, 16, v16
	v_bfrev_b32_e32 v7, 60
	v_lshlrev_b32_e32 v0, 20, v0
	v_and_b32_e32 v6, 0x80000000, v6
	v_lshl_add_u32 v1, v1, 23, v7
	v_or3_b32 v0, v6, v1, v0
.LBB4_614:                              ;   in Loop: Header=BB4_580 Depth=4
	s_or_b64 exec, exec, s[66:67]
.LBB4_615:                              ;   in Loop: Header=BB4_580 Depth=4
	s_or_b64 exec, exec, s[64:65]
.LBB4_616:                              ;   in Loop: Header=BB4_580 Depth=4
	s_or_b64 exec, exec, s[28:29]
	v_add_f32_e32 v3, v3, v0
	v_and_b32_sdwa v0, v3, s91 dst_sel:DWORD dst_unused:UNUSED_PAD src0_sel:BYTE_3 src1_sel:DWORD
	v_and_b32_e32 v28, 0x7f800000, v3
	v_mov_b32_e32 v29, v59
	v_and_b32_e32 v58, 0x7fffff, v3
	v_or_b32_e32 v6, 0x7e, v0
	v_cmp_ne_u64_e32 vcc, s[54:55], v[28:29]
	s_and_saveexec_b64 s[28:29], vcc
	s_xor_b64 s[64:65], exec, s[28:29]
	s_cbranch_execz .LBB4_626
; %bb.617:                              ;   in Loop: Header=BB4_580 Depth=4
	v_and_b32_e32 v28, 0x7fffffff, v3
	v_mov_b32_e32 v29, v59
	v_cmp_gt_u64_e32 vcc, s[56:57], v[28:29]
	s_and_saveexec_b64 s[66:67], vcc
	s_cbranch_execz .LBB4_625
; %bb.618:                              ;   in Loop: Header=BB4_580 Depth=4
	v_cmp_ne_u32_e32 vcc, 0, v3
	v_mov_b32_e32 v6, 0
	s_and_saveexec_b64 s[68:69], vcc
	s_cbranch_execz .LBB4_624
; %bb.619:                              ;   in Loop: Header=BB4_580 Depth=4
	v_bfe_u32 v1, v3, 23, 8
	v_sub_u32_e32 v6, 0x79, v1
	v_cmp_gt_u32_e32 vcc, s93, v1
	v_add_u32_e32 v3, 0xffffff81, v1
	v_cndmask_b32_e32 v6, 0, v6, vcc
	v_cmp_eq_u32_e32 vcc, 0, v1
	v_mov_b32_e32 v1, 0xffffff82
	v_cndmask_b32_e32 v1, v3, v1, vcc
	v_mov_b32_e32 v3, 0x78
	v_cndmask_b32_e32 v3, v6, v3, vcc
	v_or_b32_e32 v7, 0x800000, v58
	v_add_u32_e32 v6, 20, v3
	v_cndmask_b32_e32 v58, v7, v58, vcc
	v_lshlrev_b64 v[6:7], v6, -1
	v_not_b32_e32 v6, v6
	v_and_b32_e32 v28, v58, v6
	v_add_u32_e32 v6, 19, v3
	v_lshrrev_b64 v[32:33], v3, v[58:59]
	v_not_b32_e32 v7, v7
	v_lshlrev_b64 v[30:31], v6, 1
	v_lshrrev_b32_e32 v6, 23, v32
	v_and_b32_e32 v29, 0, v7
	v_add3_u32 v7, v3, v1, v6
	v_bfe_u32 v1, v32, 20, 1
	v_add_u32_e32 v1, -1, v1
	v_cmp_eq_u64_e32 vcc, v[28:29], v[30:31]
	v_cndmask_b32_e32 v1, 0, v1, vcc
	v_add_u32_e32 v1, v1, v32
	v_and_b32_e32 v1, 0xfffff, v1
	v_add_co_u32_e32 v52, vcc, v1, v32
	v_add_u32_e32 v6, 6, v7
	v_addc_co_u32_e32 v53, vcc, 0, v33, vcc
	v_cmp_ne_u32_e32 vcc, 0, v6
                                        ; implicit-def: $vgpr3
	s_and_saveexec_b64 s[28:29], vcc
	s_xor_b64 s[28:29], exec, s[28:29]
; %bb.620:                              ;   in Loop: Header=BB4_580 Depth=4
	v_add_u32_e32 v1, 7, v7
	v_cmp_lt_u64_e32 vcc, s[58:59], v[52:53]
	v_cndmask_b32_e32 v3, v6, v1, vcc
	v_cndmask_b32_e64 v1, 0, 1, vcc
	v_lshrrev_b64 v[52:53], v1, v[52:53]
; %bb.621:                              ;   in Loop: Header=BB4_580 Depth=4
	s_andn2_saveexec_b64 s[28:29], s[28:29]
; %bb.622:                              ;   in Loop: Header=BB4_580 Depth=4
	v_bfe_u32 v3, v52, 23, 1
; %bb.623:                              ;   in Loop: Header=BB4_580 Depth=4
	s_or_b64 exec, exec, s[28:29]
	v_lshrrev_b64 v[6:7], 20, v[52:53]
	v_cmp_gt_i32_e32 vcc, 16, v3
	v_cndmask_b32_e32 v7, 0, v7, vcc
	v_cndmask_b32_e32 v6, 7, v6, vcc
	v_min_i32_e32 v1, 15, v3
	v_cmp_eq_u32_e32 vcc, 0, v3
	v_cmp_eq_u64_e64 s[28:29], 0, v[6:7]
	v_lshlrev_b32_e32 v1, 3, v1
	v_and_or_b32 v1, v6, 7, v1
	s_and_b64 s[28:29], vcc, s[28:29]
	v_cndmask_b32_e64 v1, v1, 0, s[28:29]
	v_or_b32_e32 v6, v1, v0
.LBB4_624:                              ;   in Loop: Header=BB4_580 Depth=4
	s_or_b64 exec, exec, s[68:69]
.LBB4_625:                              ;   in Loop: Header=BB4_580 Depth=4
	s_or_b64 exec, exec, s[66:67]
                                        ; implicit-def: $vgpr3
.LBB4_626:                              ;   in Loop: Header=BB4_580 Depth=4
	s_andn2_saveexec_b64 s[28:29], s[64:65]
; %bb.627:                              ;   in Loop: Header=BB4_580 Depth=4
	v_or_b32_sdwa v0, v3, s92 dst_sel:DWORD dst_unused:UNUSED_PAD src0_sel:BYTE_3 src1_sel:DWORD
	v_cmp_eq_u64_e32 vcc, 0, v[58:59]
	v_cndmask_b32_e32 v6, v0, v6, vcc
; %bb.628:                              ;   in Loop: Header=BB4_580 Depth=4
	s_or_b64 exec, exec, s[28:29]
	v_lshrrev_b32_e32 v52, 16, v20
	v_cmp_ne_u16_sdwa vcc, v52, v59 src0_sel:BYTE_0 src1_sel:DWORD
	v_mov_b32_e32 v0, 0
	v_mov_b32_e32 v3, 0
	s_and_saveexec_b64 s[28:29], vcc
	s_cbranch_execz .LBB4_634
; %bb.629:                              ;   in Loop: Header=BB4_580 Depth=4
	v_cmp_ne_u16_sdwa vcc, v52, s91 src0_sel:BYTE_0 src1_sel:DWORD
	v_bfrev_b32_e32 v3, 1
	s_and_saveexec_b64 s[64:65], vcc
	s_cbranch_execz .LBB4_633
; %bb.630:                              ;   in Loop: Header=BB4_580 Depth=4
	v_bfe_u32 v1, v20, 16, 7
	v_cmp_ne_u32_e32 vcc, s92, v1
	v_mov_b32_e32 v3, 0x7f800001
	s_and_saveexec_b64 s[66:67], vcc
	s_cbranch_execz .LBB4_632
; %bb.631:                              ;   in Loop: Header=BB4_580 Depth=4
	v_and_b32_e32 v3, 7, v52
	v_ffbh_u32_e32 v26, v3
	v_min_u32_e32 v26, 32, v26
	v_subrev_u32_e32 v28, 28, v26
	v_lshlrev_b64 v[28:29], v28, v[52:53]
	v_lshrrev_b32_e32 v7, 3, v1
	v_sub_u32_e32 v26, 29, v26
	v_and_b32_e32 v28, 7, v28
	v_cmp_gt_u32_e32 vcc, 8, v1
	v_cndmask_b32_e32 v1, v7, v26, vcc
	v_cndmask_b32_e32 v3, v3, v28, vcc
	v_lshlrev_b32_e32 v7, 24, v52
	v_bfrev_b32_e32 v26, 60
	v_lshlrev_b32_e32 v3, 20, v3
	v_and_b32_e32 v7, 0x80000000, v7
	v_lshl_add_u32 v1, v1, 23, v26
	v_or3_b32 v3, v7, v1, v3
.LBB4_632:                              ;   in Loop: Header=BB4_580 Depth=4
	s_or_b64 exec, exec, s[66:67]
.LBB4_633:                              ;   in Loop: Header=BB4_580 Depth=4
	s_or_b64 exec, exec, s[64:65]
.LBB4_634:                              ;   in Loop: Header=BB4_580 Depth=4
	s_or_b64 exec, exec, s[28:29]
	v_lshrrev_b32_e32 v52, 16, v16
	v_cmp_ne_u16_sdwa vcc, v52, v59 src0_sel:BYTE_0 src1_sel:DWORD
	s_and_saveexec_b64 s[28:29], vcc
	s_cbranch_execz .LBB4_640
; %bb.635:                              ;   in Loop: Header=BB4_580 Depth=4
	v_cmp_ne_u16_sdwa vcc, v52, s91 src0_sel:BYTE_0 src1_sel:DWORD
	v_bfrev_b32_e32 v0, 1
	s_and_saveexec_b64 s[64:65], vcc
	s_cbranch_execz .LBB4_639
; %bb.636:                              ;   in Loop: Header=BB4_580 Depth=4
	v_bfe_u32 v1, v16, 16, 7
	v_cmp_ne_u32_e32 vcc, s92, v1
	v_mov_b32_e32 v0, 0x7f800001
	s_and_saveexec_b64 s[66:67], vcc
	s_cbranch_execz .LBB4_638
; %bb.637:                              ;   in Loop: Header=BB4_580 Depth=4
	v_and_b32_e32 v0, 7, v52
	v_ffbh_u32_e32 v26, v0
	v_min_u32_e32 v26, 32, v26
	v_subrev_u32_e32 v28, 28, v26
	v_lshlrev_b64 v[28:29], v28, v[52:53]
	v_lshrrev_b32_e32 v7, 3, v1
	v_sub_u32_e32 v26, 29, v26
	v_and_b32_e32 v28, 7, v28
	v_cmp_gt_u32_e32 vcc, 8, v1
	v_cndmask_b32_e32 v1, v7, v26, vcc
	v_cndmask_b32_e32 v0, v0, v28, vcc
	v_lshlrev_b32_e32 v7, 8, v16
	v_bfrev_b32_e32 v26, 60
	v_lshlrev_b32_e32 v0, 20, v0
	v_and_b32_e32 v7, 0x80000000, v7
	v_lshl_add_u32 v1, v1, 23, v26
	v_or3_b32 v0, v7, v1, v0
.LBB4_638:                              ;   in Loop: Header=BB4_580 Depth=4
	s_or_b64 exec, exec, s[66:67]
.LBB4_639:                              ;   in Loop: Header=BB4_580 Depth=4
	s_or_b64 exec, exec, s[64:65]
.LBB4_640:                              ;   in Loop: Header=BB4_580 Depth=4
	s_or_b64 exec, exec, s[28:29]
	v_add_f32_e32 v3, v3, v0
	v_and_b32_sdwa v0, v3, s91 dst_sel:DWORD dst_unused:UNUSED_PAD src0_sel:BYTE_3 src1_sel:DWORD
	v_and_b32_e32 v28, 0x7f800000, v3
	v_mov_b32_e32 v29, v59
	v_and_b32_e32 v58, 0x7fffff, v3
	v_or_b32_e32 v7, 0x7e, v0
	v_cmp_ne_u64_e32 vcc, s[54:55], v[28:29]
	s_and_saveexec_b64 s[28:29], vcc
	s_xor_b64 s[64:65], exec, s[28:29]
	s_cbranch_execz .LBB4_650
; %bb.641:                              ;   in Loop: Header=BB4_580 Depth=4
	v_and_b32_e32 v28, 0x7fffffff, v3
	v_mov_b32_e32 v29, v59
	v_cmp_gt_u64_e32 vcc, s[56:57], v[28:29]
	s_and_saveexec_b64 s[66:67], vcc
	s_cbranch_execz .LBB4_649
; %bb.642:                              ;   in Loop: Header=BB4_580 Depth=4
	v_cmp_ne_u32_e32 vcc, 0, v3
	v_mov_b32_e32 v7, 0
	s_and_saveexec_b64 s[68:69], vcc
	s_cbranch_execz .LBB4_648
; %bb.643:                              ;   in Loop: Header=BB4_580 Depth=4
	v_bfe_u32 v1, v3, 23, 8
	v_sub_u32_e32 v7, 0x79, v1
	v_cmp_gt_u32_e32 vcc, s93, v1
	v_add_u32_e32 v3, 0xffffff81, v1
	v_cndmask_b32_e32 v7, 0, v7, vcc
	v_cmp_eq_u32_e32 vcc, 0, v1
	v_mov_b32_e32 v1, 0xffffff82
	v_cndmask_b32_e32 v1, v3, v1, vcc
	v_mov_b32_e32 v3, 0x78
	v_cndmask_b32_e32 v3, v7, v3, vcc
	v_add_u32_e32 v7, 20, v3
	v_or_b32_e32 v26, 0x800000, v58
	v_lshlrev_b64 v[28:29], v7, -1
	v_cndmask_b32_e32 v58, v26, v58, vcc
	v_not_b32_e32 v7, v29
	v_and_b32_e32 v29, 0, v7
	v_add_u32_e32 v7, 19, v3
	v_lshrrev_b64 v[32:33], v3, v[58:59]
	v_not_b32_e32 v26, v28
	v_lshlrev_b64 v[30:31], v7, 1
	v_lshrrev_b32_e32 v7, 23, v32
	v_and_b32_e32 v28, v58, v26
	v_add3_u32 v26, v3, v1, v7
	v_bfe_u32 v1, v32, 20, 1
	v_add_u32_e32 v1, -1, v1
	v_cmp_eq_u64_e32 vcc, v[28:29], v[30:31]
	v_cndmask_b32_e32 v1, 0, v1, vcc
	v_add_u32_e32 v1, v1, v32
	v_and_b32_e32 v1, 0xfffff, v1
	v_add_co_u32_e32 v52, vcc, v1, v32
	v_add_u32_e32 v7, 6, v26
	v_addc_co_u32_e32 v53, vcc, 0, v33, vcc
	v_cmp_ne_u32_e32 vcc, 0, v7
                                        ; implicit-def: $vgpr3
	s_and_saveexec_b64 s[28:29], vcc
	s_xor_b64 s[28:29], exec, s[28:29]
; %bb.644:                              ;   in Loop: Header=BB4_580 Depth=4
	v_add_u32_e32 v1, 7, v26
	v_cmp_lt_u64_e32 vcc, s[58:59], v[52:53]
	v_cndmask_b32_e32 v3, v7, v1, vcc
	v_cndmask_b32_e64 v1, 0, 1, vcc
	v_lshrrev_b64 v[52:53], v1, v[52:53]
; %bb.645:                              ;   in Loop: Header=BB4_580 Depth=4
	s_andn2_saveexec_b64 s[28:29], s[28:29]
; %bb.646:                              ;   in Loop: Header=BB4_580 Depth=4
	v_bfe_u32 v3, v52, 23, 1
; %bb.647:                              ;   in Loop: Header=BB4_580 Depth=4
	s_or_b64 exec, exec, s[28:29]
	v_lshrrev_b64 v[28:29], 20, v[52:53]
	v_cmp_gt_i32_e32 vcc, 16, v3
	v_cndmask_b32_e32 v29, 0, v29, vcc
	v_cndmask_b32_e32 v28, 7, v28, vcc
	v_min_i32_e32 v1, 15, v3
	v_cmp_eq_u32_e32 vcc, 0, v3
	v_cmp_eq_u64_e64 s[28:29], 0, v[28:29]
	v_lshlrev_b32_e32 v1, 3, v1
	v_and_or_b32 v1, v28, 7, v1
	s_and_b64 s[28:29], vcc, s[28:29]
	v_cndmask_b32_e64 v1, v1, 0, s[28:29]
	v_or_b32_e32 v7, v1, v0
.LBB4_648:                              ;   in Loop: Header=BB4_580 Depth=4
	s_or_b64 exec, exec, s[68:69]
.LBB4_649:                              ;   in Loop: Header=BB4_580 Depth=4
	s_or_b64 exec, exec, s[66:67]
                                        ; implicit-def: $vgpr3
.LBB4_650:                              ;   in Loop: Header=BB4_580 Depth=4
	s_andn2_saveexec_b64 s[28:29], s[64:65]
; %bb.651:                              ;   in Loop: Header=BB4_580 Depth=4
	v_or_b32_sdwa v0, v3, s92 dst_sel:DWORD dst_unused:UNUSED_PAD src0_sel:BYTE_3 src1_sel:DWORD
	v_cmp_eq_u64_e32 vcc, 0, v[58:59]
	v_cndmask_b32_e32 v7, v0, v7, vcc
; %bb.652:                              ;   in Loop: Header=BB4_580 Depth=4
	s_or_b64 exec, exec, s[28:29]
	v_cmp_lt_u32_e32 vcc, s45, v20
	v_mov_b32_e32 v0, 0
	v_mov_b32_e32 v3, 0
	s_and_saveexec_b64 s[28:29], vcc
	s_cbranch_execz .LBB4_658
; %bb.653:                              ;   in Loop: Header=BB4_580 Depth=4
	v_lshrrev_b32_e32 v52, 24, v20
	v_cmp_ne_u32_e32 vcc, s91, v52
	v_bfrev_b32_e32 v3, 1
	s_and_saveexec_b64 s[64:65], vcc
	s_cbranch_execz .LBB4_657
; %bb.654:                              ;   in Loop: Header=BB4_580 Depth=4
	v_bfe_u32 v1, v20, 24, 7
	v_cmp_ne_u32_e32 vcc, s92, v1
	v_mov_b32_e32 v3, 0x7f800001
	s_and_saveexec_b64 s[66:67], vcc
	s_cbranch_execz .LBB4_656
; %bb.655:                              ;   in Loop: Header=BB4_580 Depth=4
	v_and_b32_e32 v3, 7, v52
	v_ffbh_u32_e32 v28, v3
	v_min_u32_e32 v30, 32, v28
	v_subrev_u32_e32 v28, 28, v30
	v_lshlrev_b64 v[28:29], v28, v[52:53]
	v_lshrrev_b32_e32 v26, 3, v1
	v_sub_u32_e32 v29, 29, v30
	v_and_b32_e32 v28, 7, v28
	v_cmp_gt_u32_e32 vcc, 8, v1
	v_cndmask_b32_e32 v1, v26, v29, vcc
	v_cndmask_b32_e32 v3, v3, v28, vcc
	v_lshlrev_b32_e32 v26, 24, v52
	v_bfrev_b32_e32 v28, 60
	v_lshlrev_b32_e32 v3, 20, v3
	v_and_b32_e32 v26, 0x80000000, v26
	v_lshl_add_u32 v1, v1, 23, v28
	v_or3_b32 v3, v26, v1, v3
.LBB4_656:                              ;   in Loop: Header=BB4_580 Depth=4
	s_or_b64 exec, exec, s[66:67]
.LBB4_657:                              ;   in Loop: Header=BB4_580 Depth=4
	s_or_b64 exec, exec, s[64:65]
.LBB4_658:                              ;   in Loop: Header=BB4_580 Depth=4
	s_or_b64 exec, exec, s[28:29]
	v_cmp_lt_u32_e32 vcc, s45, v16
	s_and_saveexec_b64 s[28:29], vcc
	s_cbranch_execz .LBB4_664
; %bb.659:                              ;   in Loop: Header=BB4_580 Depth=4
	v_lshrrev_b32_e32 v52, 24, v16
	v_cmp_ne_u32_e32 vcc, s91, v52
	v_bfrev_b32_e32 v0, 1
	s_and_saveexec_b64 s[64:65], vcc
	s_cbranch_execz .LBB4_663
; %bb.660:                              ;   in Loop: Header=BB4_580 Depth=4
	v_bfe_u32 v1, v16, 24, 7
	v_cmp_ne_u32_e32 vcc, s92, v1
	v_mov_b32_e32 v0, 0x7f800001
	s_and_saveexec_b64 s[66:67], vcc
	s_cbranch_execz .LBB4_662
; %bb.661:                              ;   in Loop: Header=BB4_580 Depth=4
	v_and_b32_e32 v0, 7, v52
	v_ffbh_u32_e32 v28, v0
	v_min_u32_e32 v30, 32, v28
	v_subrev_u32_e32 v28, 28, v30
	v_lshlrev_b64 v[28:29], v28, v[52:53]
	v_lshrrev_b32_e32 v26, 3, v1
	v_sub_u32_e32 v29, 29, v30
	v_and_b32_e32 v28, 7, v28
	v_cmp_gt_u32_e32 vcc, 8, v1
	v_cndmask_b32_e32 v1, v26, v29, vcc
	v_cndmask_b32_e32 v0, v0, v28, vcc
	v_lshlrev_b32_e32 v26, 24, v52
	v_bfrev_b32_e32 v28, 60
	v_lshlrev_b32_e32 v0, 20, v0
	v_and_b32_e32 v26, 0x80000000, v26
	v_lshl_add_u32 v1, v1, 23, v28
	v_or3_b32 v0, v26, v1, v0
.LBB4_662:                              ;   in Loop: Header=BB4_580 Depth=4
	s_or_b64 exec, exec, s[66:67]
.LBB4_663:                              ;   in Loop: Header=BB4_580 Depth=4
	s_or_b64 exec, exec, s[64:65]
.LBB4_664:                              ;   in Loop: Header=BB4_580 Depth=4
	s_or_b64 exec, exec, s[28:29]
	v_add_f32_e32 v3, v3, v0
	v_and_b32_sdwa v0, v3, s91 dst_sel:DWORD dst_unused:UNUSED_PAD src0_sel:BYTE_3 src1_sel:DWORD
	v_and_b32_e32 v28, 0x7f800000, v3
	v_mov_b32_e32 v29, v59
	v_and_b32_e32 v58, 0x7fffff, v3
	v_or_b32_e32 v30, 0x7e, v0
	v_cmp_ne_u64_e32 vcc, s[54:55], v[28:29]
	s_and_saveexec_b64 s[28:29], vcc
	s_xor_b64 s[64:65], exec, s[28:29]
	s_cbranch_execz .LBB4_674
; %bb.665:                              ;   in Loop: Header=BB4_580 Depth=4
	v_and_b32_e32 v28, 0x7fffffff, v3
	v_mov_b32_e32 v29, v59
	v_cmp_gt_u64_e32 vcc, s[56:57], v[28:29]
	s_and_saveexec_b64 s[66:67], vcc
	s_cbranch_execz .LBB4_673
; %bb.666:                              ;   in Loop: Header=BB4_580 Depth=4
	v_cmp_ne_u32_e32 vcc, 0, v3
	v_mov_b32_e32 v30, 0
	s_and_saveexec_b64 s[68:69], vcc
	s_cbranch_execz .LBB4_672
; %bb.667:                              ;   in Loop: Header=BB4_580 Depth=4
	v_bfe_u32 v1, v3, 23, 8
	v_sub_u32_e32 v26, 0x79, v1
	v_cmp_gt_u32_e32 vcc, s93, v1
	v_add_u32_e32 v3, 0xffffff81, v1
	v_cndmask_b32_e32 v26, 0, v26, vcc
	v_cmp_eq_u32_e32 vcc, 0, v1
	v_mov_b32_e32 v1, 0xffffff82
	v_cndmask_b32_e32 v1, v3, v1, vcc
	v_mov_b32_e32 v3, 0x78
	v_cndmask_b32_e32 v3, v26, v3, vcc
	v_or_b32_e32 v28, 0x800000, v58
	v_add_u32_e32 v26, 20, v3
	v_cndmask_b32_e32 v58, v28, v58, vcc
	v_lshlrev_b64 v[28:29], v26, -1
	v_not_b32_e32 v26, v29
	v_and_b32_e32 v31, 0, v26
	v_add_u32_e32 v26, 19, v3
	v_lshrrev_b64 v[34:35], v3, v[58:59]
	v_not_b32_e32 v28, v28
	v_lshlrev_b64 v[32:33], v26, 1
	v_lshrrev_b32_e32 v26, 23, v34
	v_and_b32_e32 v30, v58, v28
	v_add3_u32 v28, v3, v1, v26
	v_bfe_u32 v1, v34, 20, 1
	v_add_u32_e32 v1, -1, v1
	v_cmp_eq_u64_e32 vcc, v[30:31], v[32:33]
	v_cndmask_b32_e32 v1, 0, v1, vcc
	v_add_u32_e32 v1, v1, v34
	v_and_b32_e32 v1, 0xfffff, v1
	v_add_co_u32_e32 v52, vcc, v1, v34
	v_add_u32_e32 v26, 6, v28
	v_addc_co_u32_e32 v53, vcc, 0, v35, vcc
	v_cmp_ne_u32_e32 vcc, 0, v26
                                        ; implicit-def: $vgpr3
	s_and_saveexec_b64 s[28:29], vcc
	s_xor_b64 s[28:29], exec, s[28:29]
; %bb.668:                              ;   in Loop: Header=BB4_580 Depth=4
	v_add_u32_e32 v1, 7, v28
	v_cmp_lt_u64_e32 vcc, s[58:59], v[52:53]
	v_cndmask_b32_e32 v3, v26, v1, vcc
	v_cndmask_b32_e64 v1, 0, 1, vcc
	v_lshrrev_b64 v[52:53], v1, v[52:53]
; %bb.669:                              ;   in Loop: Header=BB4_580 Depth=4
	s_andn2_saveexec_b64 s[28:29], s[28:29]
; %bb.670:                              ;   in Loop: Header=BB4_580 Depth=4
	v_bfe_u32 v3, v52, 23, 1
; %bb.671:                              ;   in Loop: Header=BB4_580 Depth=4
	s_or_b64 exec, exec, s[28:29]
	v_lshrrev_b64 v[28:29], 20, v[52:53]
	v_cmp_gt_i32_e32 vcc, 16, v3
	v_cndmask_b32_e32 v29, 0, v29, vcc
	v_cndmask_b32_e32 v28, 7, v28, vcc
	v_min_i32_e32 v1, 15, v3
	v_cmp_eq_u32_e32 vcc, 0, v3
	v_cmp_eq_u64_e64 s[28:29], 0, v[28:29]
	v_lshlrev_b32_e32 v1, 3, v1
	v_and_or_b32 v1, v28, 7, v1
	s_and_b64 s[28:29], vcc, s[28:29]
	v_cndmask_b32_e64 v1, v1, 0, s[28:29]
	v_or_b32_e32 v30, v1, v0
.LBB4_672:                              ;   in Loop: Header=BB4_580 Depth=4
	s_or_b64 exec, exec, s[68:69]
.LBB4_673:                              ;   in Loop: Header=BB4_580 Depth=4
	s_or_b64 exec, exec, s[66:67]
                                        ; implicit-def: $vgpr3
.LBB4_674:                              ;   in Loop: Header=BB4_580 Depth=4
	s_andn2_saveexec_b64 s[28:29], s[64:65]
; %bb.675:                              ;   in Loop: Header=BB4_580 Depth=4
	v_or_b32_sdwa v0, v3, s92 dst_sel:DWORD dst_unused:UNUSED_PAD src0_sel:BYTE_3 src1_sel:DWORD
	v_cmp_eq_u64_e32 vcc, 0, v[58:59]
	v_cndmask_b32_e32 v30, v0, v30, vcc
; %bb.676:                              ;   in Loop: Header=BB4_580 Depth=4
	s_or_b64 exec, exec, s[28:29]
	v_mov_b32_e32 v58, v21
	v_cmp_ne_u16_sdwa vcc, v21, v59 src0_sel:BYTE_0 src1_sel:DWORD
	v_mov_b32_e32 v3, 0
	v_mov_b32_e32 v0, 0
	s_and_saveexec_b64 s[28:29], vcc
	s_cbranch_execz .LBB4_682
; %bb.677:                              ;   in Loop: Header=BB4_580 Depth=4
	v_cmp_ne_u16_sdwa vcc, v21, s91 src0_sel:BYTE_0 src1_sel:DWORD
	v_bfrev_b32_e32 v0, 1
	s_and_saveexec_b64 s[64:65], vcc
	s_cbranch_execz .LBB4_681
; %bb.678:                              ;   in Loop: Header=BB4_580 Depth=4
	v_and_b32_e32 v1, 0x7f, v21
	v_cmp_ne_u32_e32 vcc, s92, v1
	v_mov_b32_e32 v0, 0x7f800001
	s_and_saveexec_b64 s[66:67], vcc
	s_cbranch_execz .LBB4_680
; %bb.679:                              ;   in Loop: Header=BB4_580 Depth=4
	v_and_b32_e32 v0, 7, v21
	v_ffbh_u32_e32 v0, v0
	v_min_u32_e32 v0, 32, v0
	v_lshrrev_b32_e32 v26, 3, v1
	v_subrev_u32_e32 v28, 28, v0
	v_sub_u32_e32 v0, 29, v0
	v_cmp_gt_u32_e32 vcc, 8, v1
	v_cndmask_b32_e32 v26, v26, v0, vcc
	v_cndmask_b32_e32 v0, 0, v28, vcc
	v_lshlrev_b64 v[0:1], v0, v[58:59]
	v_lshlrev_b32_e32 v0, 20, v0
	v_lshlrev_b32_e32 v1, 24, v58
	v_bfrev_b32_e32 v28, 60
	v_and_b32_e32 v0, 0x700000, v0
	v_and_b32_e32 v1, 0x80000000, v1
	v_lshl_add_u32 v26, v26, 23, v28
	v_or3_b32 v0, v1, v26, v0
.LBB4_680:                              ;   in Loop: Header=BB4_580 Depth=4
	s_or_b64 exec, exec, s[66:67]
.LBB4_681:                              ;   in Loop: Header=BB4_580 Depth=4
	s_or_b64 exec, exec, s[64:65]
.LBB4_682:                              ;   in Loop: Header=BB4_580 Depth=4
	s_or_b64 exec, exec, s[28:29]
	v_cmp_ne_u16_sdwa vcc, v17, v59 src0_sel:BYTE_0 src1_sel:DWORD
	s_and_saveexec_b64 s[28:29], vcc
	s_cbranch_execz .LBB4_688
; %bb.683:                              ;   in Loop: Header=BB4_580 Depth=4
	v_cmp_ne_u16_sdwa vcc, v17, s91 src0_sel:BYTE_0 src1_sel:DWORD
	v_bfrev_b32_e32 v3, 1
	s_and_saveexec_b64 s[64:65], vcc
	s_cbranch_execz .LBB4_687
; %bb.684:                              ;   in Loop: Header=BB4_580 Depth=4
	v_and_b32_e32 v1, 0x7f, v17
	v_cmp_ne_u32_e32 vcc, s92, v1
	v_mov_b32_e32 v3, 0x7f800001
	s_and_saveexec_b64 s[66:67], vcc
	s_cbranch_execz .LBB4_686
; %bb.685:                              ;   in Loop: Header=BB4_580 Depth=4
	v_and_b32_e32 v3, 7, v17
	v_ffbh_u32_e32 v3, v3
	v_min_u32_e32 v3, 32, v3
	v_lshrrev_b32_e32 v26, 3, v1
	v_subrev_u32_e32 v31, 28, v3
	v_sub_u32_e32 v3, 29, v3
	v_cmp_gt_u32_e32 vcc, 8, v1
	v_mov_b32_e32 v28, v17
	v_mov_b32_e32 v29, v59
	v_cndmask_b32_e32 v1, v26, v3, vcc
	v_cndmask_b32_e32 v3, 0, v31, vcc
	v_lshlrev_b64 v[32:33], v3, v[28:29]
	v_lshlrev_b32_e32 v3, 20, v32
	v_lshlrev_b32_e32 v26, 24, v28
	v_bfrev_b32_e32 v28, 60
	v_and_b32_e32 v3, 0x700000, v3
	v_and_b32_e32 v26, 0x80000000, v26
	v_lshl_add_u32 v1, v1, 23, v28
	v_or3_b32 v3, v26, v1, v3
.LBB4_686:                              ;   in Loop: Header=BB4_580 Depth=4
	s_or_b64 exec, exec, s[66:67]
.LBB4_687:                              ;   in Loop: Header=BB4_580 Depth=4
	s_or_b64 exec, exec, s[64:65]
.LBB4_688:                              ;   in Loop: Header=BB4_580 Depth=4
	s_or_b64 exec, exec, s[28:29]
	v_add_f32_e32 v3, v0, v3
	v_and_b32_sdwa v0, v3, s91 dst_sel:DWORD dst_unused:UNUSED_PAD src0_sel:BYTE_3 src1_sel:DWORD
	v_and_b32_e32 v28, 0x7f800000, v3
	v_mov_b32_e32 v29, v59
	v_and_b32_e32 v52, 0x7fffff, v3
	v_mov_b32_e32 v53, v59
	v_or_b32_e32 v26, 0x7e, v0
	v_cmp_ne_u64_e32 vcc, s[54:55], v[28:29]
	s_and_saveexec_b64 s[28:29], vcc
	s_xor_b64 s[64:65], exec, s[28:29]
	s_cbranch_execz .LBB4_698
; %bb.689:                              ;   in Loop: Header=BB4_580 Depth=4
	v_and_b32_e32 v28, 0x7fffffff, v3
	v_mov_b32_e32 v29, v59
	v_cmp_gt_u64_e32 vcc, s[56:57], v[28:29]
	s_and_saveexec_b64 s[66:67], vcc
	s_cbranch_execz .LBB4_697
; %bb.690:                              ;   in Loop: Header=BB4_580 Depth=4
	v_cmp_ne_u32_e32 vcc, 0, v3
	v_mov_b32_e32 v26, 0
	s_and_saveexec_b64 s[68:69], vcc
	s_cbranch_execz .LBB4_696
; %bb.691:                              ;   in Loop: Header=BB4_580 Depth=4
	v_bfe_u32 v1, v3, 23, 8
	v_sub_u32_e32 v26, 0x79, v1
	v_cmp_gt_u32_e32 vcc, s93, v1
	v_add_u32_e32 v3, 0xffffff81, v1
	v_cndmask_b32_e32 v26, 0, v26, vcc
	v_cmp_eq_u32_e32 vcc, 0, v1
	v_mov_b32_e32 v1, 0xffffff82
	v_cndmask_b32_e32 v1, v3, v1, vcc
	v_mov_b32_e32 v3, 0x78
	v_cndmask_b32_e32 v3, v26, v3, vcc
	v_or_b32_e32 v28, 0x800000, v52
	v_add_u32_e32 v26, 20, v3
	v_cndmask_b32_e32 v52, v28, v52, vcc
	v_lshlrev_b64 v[28:29], v26, -1
	v_not_b32_e32 v26, v29
	v_and_b32_e32 v33, 0, v26
	v_add_u32_e32 v26, 19, v3
	v_lshrrev_b64 v[36:37], v3, v[52:53]
	v_not_b32_e32 v28, v28
	v_lshlrev_b64 v[34:35], v26, 1
	v_lshrrev_b32_e32 v26, 23, v36
	v_and_b32_e32 v32, v52, v28
	v_add3_u32 v28, v3, v1, v26
	v_bfe_u32 v1, v36, 20, 1
	v_add_u32_e32 v1, -1, v1
	v_cmp_eq_u64_e32 vcc, v[32:33], v[34:35]
	v_cndmask_b32_e32 v1, 0, v1, vcc
	v_add_u32_e32 v1, v1, v36
	v_and_b32_e32 v1, 0xfffff, v1
	v_add_co_u32_e32 v52, vcc, v1, v36
	v_add_u32_e32 v26, 6, v28
	v_addc_co_u32_e32 v53, vcc, 0, v37, vcc
	v_cmp_ne_u32_e32 vcc, 0, v26
                                        ; implicit-def: $vgpr3
	s_and_saveexec_b64 s[28:29], vcc
	s_xor_b64 s[28:29], exec, s[28:29]
; %bb.692:                              ;   in Loop: Header=BB4_580 Depth=4
	v_add_u32_e32 v1, 7, v28
	v_cmp_lt_u64_e32 vcc, s[58:59], v[52:53]
	v_cndmask_b32_e32 v3, v26, v1, vcc
	v_cndmask_b32_e64 v1, 0, 1, vcc
	v_lshrrev_b64 v[52:53], v1, v[52:53]
; %bb.693:                              ;   in Loop: Header=BB4_580 Depth=4
	s_andn2_saveexec_b64 s[28:29], s[28:29]
; %bb.694:                              ;   in Loop: Header=BB4_580 Depth=4
	v_bfe_u32 v3, v52, 23, 1
; %bb.695:                              ;   in Loop: Header=BB4_580 Depth=4
	s_or_b64 exec, exec, s[28:29]
	v_lshrrev_b64 v[28:29], 20, v[52:53]
	v_cmp_gt_i32_e32 vcc, 16, v3
	v_cndmask_b32_e32 v29, 0, v29, vcc
	v_cndmask_b32_e32 v28, 7, v28, vcc
	v_min_i32_e32 v1, 15, v3
	v_cmp_eq_u32_e32 vcc, 0, v3
	v_cmp_eq_u64_e64 s[28:29], 0, v[28:29]
	v_lshlrev_b32_e32 v1, 3, v1
	v_and_or_b32 v1, v28, 7, v1
	s_and_b64 s[28:29], vcc, s[28:29]
	v_cndmask_b32_e64 v1, v1, 0, s[28:29]
	v_or_b32_e32 v26, v1, v0
.LBB4_696:                              ;   in Loop: Header=BB4_580 Depth=4
	s_or_b64 exec, exec, s[68:69]
.LBB4_697:                              ;   in Loop: Header=BB4_580 Depth=4
	s_or_b64 exec, exec, s[66:67]
                                        ; implicit-def: $vgpr3
                                        ; implicit-def: $vgpr52_vgpr53
.LBB4_698:                              ;   in Loop: Header=BB4_580 Depth=4
	s_andn2_saveexec_b64 s[28:29], s[64:65]
; %bb.699:                              ;   in Loop: Header=BB4_580 Depth=4
	v_or_b32_sdwa v0, v3, s92 dst_sel:DWORD dst_unused:UNUSED_PAD src0_sel:BYTE_3 src1_sel:DWORD
	v_cmp_eq_u64_e32 vcc, 0, v[52:53]
	v_cndmask_b32_e32 v26, v0, v26, vcc
; %bb.700:                              ;   in Loop: Header=BB4_580 Depth=4
	s_or_b64 exec, exec, s[28:29]
	v_lshrrev_b16_e32 v52, 8, v58
	v_cmp_ne_u16_e32 vcc, 0, v52
	v_mov_b32_e32 v0, 0
	v_mov_b32_e32 v3, 0
	s_and_saveexec_b64 s[28:29], vcc
	s_cbranch_execz .LBB4_706
; %bb.701:                              ;   in Loop: Header=BB4_580 Depth=4
	v_cmp_ne_u16_e32 vcc, s91, v52
	v_bfrev_b32_e32 v3, 1
	s_and_saveexec_b64 s[64:65], vcc
	s_cbranch_execz .LBB4_705
; %bb.702:                              ;   in Loop: Header=BB4_580 Depth=4
	v_and_b32_e32 v1, 0x7f, v52
	v_cmp_ne_u32_e32 vcc, s92, v1
	v_mov_b32_e32 v3, 0x7f800001
	s_and_saveexec_b64 s[66:67], vcc
	s_cbranch_execz .LBB4_704
; %bb.703:                              ;   in Loop: Header=BB4_580 Depth=4
	v_and_b32_e32 v3, 7, v52
	v_ffbh_u32_e32 v28, v3
	v_min_u32_e32 v32, 32, v28
	v_subrev_u32_e32 v28, 28, v32
	v_lshlrev_b64 v[28:29], v28, v[52:53]
	v_lshrrev_b32_e32 v31, 3, v1
	v_sub_u32_e32 v29, 29, v32
	v_and_b32_e32 v28, 7, v28
	v_cmp_gt_u32_e32 vcc, 8, v1
	v_cndmask_b32_e32 v1, v31, v29, vcc
	v_cndmask_b32_e32 v3, v3, v28, vcc
	v_lshlrev_b32_e32 v28, 16, v58
	v_bfrev_b32_e32 v29, 60
	v_lshlrev_b32_e32 v3, 20, v3
	v_and_b32_e32 v28, 0x80000000, v28
	v_lshl_add_u32 v1, v1, 23, v29
	v_or3_b32 v3, v28, v1, v3
.LBB4_704:                              ;   in Loop: Header=BB4_580 Depth=4
	s_or_b64 exec, exec, s[66:67]
.LBB4_705:                              ;   in Loop: Header=BB4_580 Depth=4
	s_or_b64 exec, exec, s[64:65]
.LBB4_706:                              ;   in Loop: Header=BB4_580 Depth=4
	s_or_b64 exec, exec, s[28:29]
	v_mov_b32_e32 v52, v17
	v_lshrrev_b16_e32 v58, 8, v52
	v_cmp_ne_u16_e32 vcc, 0, v58
	s_and_saveexec_b64 s[28:29], vcc
	s_cbranch_execz .LBB4_712
; %bb.707:                              ;   in Loop: Header=BB4_580 Depth=4
	v_cmp_ne_u16_e32 vcc, s91, v58
	v_bfrev_b32_e32 v0, 1
	s_and_saveexec_b64 s[64:65], vcc
	s_cbranch_execz .LBB4_711
; %bb.708:                              ;   in Loop: Header=BB4_580 Depth=4
	v_and_b32_e32 v1, 0x7f, v58
	v_cmp_ne_u32_e32 vcc, s92, v1
	v_mov_b32_e32 v0, 0x7f800001
	s_and_saveexec_b64 s[66:67], vcc
	s_cbranch_execz .LBB4_710
; %bb.709:                              ;   in Loop: Header=BB4_580 Depth=4
	v_and_b32_e32 v0, 7, v58
	v_ffbh_u32_e32 v28, v0
	v_min_u32_e32 v32, 32, v28
	v_subrev_u32_e32 v28, 28, v32
	v_lshlrev_b64 v[28:29], v28, v[58:59]
	v_lshrrev_b32_e32 v31, 3, v1
	v_sub_u32_e32 v29, 29, v32
	v_and_b32_e32 v28, 7, v28
	v_cmp_gt_u32_e32 vcc, 8, v1
	v_cndmask_b32_e32 v1, v31, v29, vcc
	v_cndmask_b32_e32 v0, v0, v28, vcc
	v_lshlrev_b32_e32 v28, 16, v52
	v_bfrev_b32_e32 v29, 60
	v_lshlrev_b32_e32 v0, 20, v0
	v_and_b32_e32 v28, 0x80000000, v28
	v_lshl_add_u32 v1, v1, 23, v29
	v_or3_b32 v0, v28, v1, v0
.LBB4_710:                              ;   in Loop: Header=BB4_580 Depth=4
	s_or_b64 exec, exec, s[66:67]
.LBB4_711:                              ;   in Loop: Header=BB4_580 Depth=4
	s_or_b64 exec, exec, s[64:65]
.LBB4_712:                              ;   in Loop: Header=BB4_580 Depth=4
	s_or_b64 exec, exec, s[28:29]
	v_add_f32_e32 v3, v3, v0
	v_and_b32_sdwa v0, v3, s91 dst_sel:DWORD dst_unused:UNUSED_PAD src0_sel:BYTE_3 src1_sel:DWORD
	v_and_b32_e32 v28, 0x7f800000, v3
	v_mov_b32_e32 v29, v59
	v_and_b32_e32 v58, 0x7fffff, v3
	v_or_b32_e32 v36, 0x7e, v0
	v_cmp_ne_u64_e32 vcc, s[54:55], v[28:29]
	s_and_saveexec_b64 s[28:29], vcc
	s_xor_b64 s[64:65], exec, s[28:29]
	s_cbranch_execz .LBB4_722
; %bb.713:                              ;   in Loop: Header=BB4_580 Depth=4
	v_and_b32_e32 v28, 0x7fffffff, v3
	v_mov_b32_e32 v29, v59
	v_cmp_gt_u64_e32 vcc, s[56:57], v[28:29]
	s_and_saveexec_b64 s[66:67], vcc
	s_cbranch_execz .LBB4_721
; %bb.714:                              ;   in Loop: Header=BB4_580 Depth=4
	v_cmp_ne_u32_e32 vcc, 0, v3
	v_mov_b32_e32 v36, 0
	s_and_saveexec_b64 s[68:69], vcc
	s_cbranch_execz .LBB4_720
; %bb.715:                              ;   in Loop: Header=BB4_580 Depth=4
	v_bfe_u32 v1, v3, 23, 8
	v_sub_u32_e32 v28, 0x79, v1
	v_cmp_gt_u32_e32 vcc, s93, v1
	v_add_u32_e32 v3, 0xffffff81, v1
	v_cndmask_b32_e32 v28, 0, v28, vcc
	v_cmp_eq_u32_e32 vcc, 0, v1
	v_mov_b32_e32 v1, 0xffffff82
	v_cndmask_b32_e32 v1, v3, v1, vcc
	v_mov_b32_e32 v3, 0x78
	v_cndmask_b32_e32 v3, v28, v3, vcc
	v_or_b32_e32 v29, 0x800000, v58
	v_add_u32_e32 v28, 20, v3
	v_cndmask_b32_e32 v58, v29, v58, vcc
	v_lshlrev_b64 v[28:29], v28, -1
	v_not_b32_e32 v28, v28
	v_and_b32_e32 v32, v58, v28
	v_add_u32_e32 v28, 19, v3
	v_lshrrev_b64 v[36:37], v3, v[58:59]
	v_not_b32_e32 v29, v29
	v_lshlrev_b64 v[34:35], v28, 1
	v_lshrrev_b32_e32 v28, 23, v36
	v_and_b32_e32 v33, 0, v29
	v_add3_u32 v29, v3, v1, v28
	v_bfe_u32 v1, v36, 20, 1
	v_add_u32_e32 v1, -1, v1
	v_cmp_eq_u64_e32 vcc, v[32:33], v[34:35]
	v_cndmask_b32_e32 v1, 0, v1, vcc
	v_add_u32_e32 v1, v1, v36
	v_and_b32_e32 v1, 0xfffff, v1
	v_add_co_u32_e32 v52, vcc, v1, v36
	v_add_u32_e32 v28, 6, v29
	v_addc_co_u32_e32 v53, vcc, 0, v37, vcc
	v_cmp_ne_u32_e32 vcc, 0, v28
                                        ; implicit-def: $vgpr3
	s_and_saveexec_b64 s[28:29], vcc
	s_xor_b64 s[28:29], exec, s[28:29]
; %bb.716:                              ;   in Loop: Header=BB4_580 Depth=4
	v_add_u32_e32 v1, 7, v29
	v_cmp_lt_u64_e32 vcc, s[58:59], v[52:53]
	v_cndmask_b32_e32 v3, v28, v1, vcc
	v_cndmask_b32_e64 v1, 0, 1, vcc
	v_lshrrev_b64 v[52:53], v1, v[52:53]
; %bb.717:                              ;   in Loop: Header=BB4_580 Depth=4
	s_andn2_saveexec_b64 s[28:29], s[28:29]
; %bb.718:                              ;   in Loop: Header=BB4_580 Depth=4
	v_bfe_u32 v3, v52, 23, 1
; %bb.719:                              ;   in Loop: Header=BB4_580 Depth=4
	s_or_b64 exec, exec, s[28:29]
	v_lshrrev_b64 v[28:29], 20, v[52:53]
	v_cmp_gt_i32_e32 vcc, 16, v3
	v_cndmask_b32_e32 v29, 0, v29, vcc
	v_cndmask_b32_e32 v28, 7, v28, vcc
	v_min_i32_e32 v1, 15, v3
	v_cmp_eq_u32_e32 vcc, 0, v3
	v_cmp_eq_u64_e64 s[28:29], 0, v[28:29]
	v_lshlrev_b32_e32 v1, 3, v1
	v_and_or_b32 v1, v28, 7, v1
	s_and_b64 s[28:29], vcc, s[28:29]
	v_cndmask_b32_e64 v1, v1, 0, s[28:29]
	v_or_b32_e32 v36, v1, v0
.LBB4_720:                              ;   in Loop: Header=BB4_580 Depth=4
	s_or_b64 exec, exec, s[68:69]
.LBB4_721:                              ;   in Loop: Header=BB4_580 Depth=4
	s_or_b64 exec, exec, s[66:67]
                                        ; implicit-def: $vgpr3
.LBB4_722:                              ;   in Loop: Header=BB4_580 Depth=4
	s_andn2_saveexec_b64 s[28:29], s[64:65]
; %bb.723:                              ;   in Loop: Header=BB4_580 Depth=4
	v_or_b32_sdwa v0, v3, s92 dst_sel:DWORD dst_unused:UNUSED_PAD src0_sel:BYTE_3 src1_sel:DWORD
	v_cmp_eq_u64_e32 vcc, 0, v[58:59]
	v_cndmask_b32_e32 v36, v0, v36, vcc
; %bb.724:                              ;   in Loop: Header=BB4_580 Depth=4
	s_or_b64 exec, exec, s[28:29]
	v_lshrrev_b32_e32 v52, 16, v21
	v_cmp_ne_u16_sdwa vcc, v52, v59 src0_sel:BYTE_0 src1_sel:DWORD
	v_mov_b32_e32 v0, 0
	v_mov_b32_e32 v3, 0
	s_and_saveexec_b64 s[28:29], vcc
	s_cbranch_execz .LBB4_730
; %bb.725:                              ;   in Loop: Header=BB4_580 Depth=4
	v_cmp_ne_u16_sdwa vcc, v52, s91 src0_sel:BYTE_0 src1_sel:DWORD
	v_bfrev_b32_e32 v3, 1
	s_and_saveexec_b64 s[64:65], vcc
	s_cbranch_execz .LBB4_729
; %bb.726:                              ;   in Loop: Header=BB4_580 Depth=4
	v_bfe_u32 v1, v21, 16, 7
	v_cmp_ne_u32_e32 vcc, s92, v1
	v_mov_b32_e32 v3, 0x7f800001
	s_and_saveexec_b64 s[66:67], vcc
	s_cbranch_execz .LBB4_728
; %bb.727:                              ;   in Loop: Header=BB4_580 Depth=4
	v_and_b32_e32 v3, 7, v52
	v_ffbh_u32_e32 v28, v3
	v_min_u32_e32 v32, 32, v28
	v_subrev_u32_e32 v28, 28, v32
	v_lshlrev_b64 v[28:29], v28, v[52:53]
	v_lshrrev_b32_e32 v31, 3, v1
	v_sub_u32_e32 v29, 29, v32
	v_and_b32_e32 v28, 7, v28
	v_cmp_gt_u32_e32 vcc, 8, v1
	v_cndmask_b32_e32 v1, v31, v29, vcc
	v_cndmask_b32_e32 v3, v3, v28, vcc
	v_lshlrev_b32_e32 v28, 24, v52
	v_bfrev_b32_e32 v29, 60
	v_lshlrev_b32_e32 v3, 20, v3
	v_and_b32_e32 v28, 0x80000000, v28
	v_lshl_add_u32 v1, v1, 23, v29
	v_or3_b32 v3, v28, v1, v3
.LBB4_728:                              ;   in Loop: Header=BB4_580 Depth=4
	s_or_b64 exec, exec, s[66:67]
.LBB4_729:                              ;   in Loop: Header=BB4_580 Depth=4
	s_or_b64 exec, exec, s[64:65]
.LBB4_730:                              ;   in Loop: Header=BB4_580 Depth=4
	s_or_b64 exec, exec, s[28:29]
	v_lshrrev_b32_e32 v52, 16, v17
	v_cmp_ne_u16_sdwa vcc, v52, v59 src0_sel:BYTE_0 src1_sel:DWORD
	s_and_saveexec_b64 s[28:29], vcc
	s_cbranch_execz .LBB4_736
; %bb.731:                              ;   in Loop: Header=BB4_580 Depth=4
	v_cmp_ne_u16_sdwa vcc, v52, s91 src0_sel:BYTE_0 src1_sel:DWORD
	v_bfrev_b32_e32 v0, 1
	s_and_saveexec_b64 s[64:65], vcc
	s_cbranch_execz .LBB4_735
; %bb.732:                              ;   in Loop: Header=BB4_580 Depth=4
	v_bfe_u32 v1, v17, 16, 7
	v_cmp_ne_u32_e32 vcc, s92, v1
	v_mov_b32_e32 v0, 0x7f800001
	s_and_saveexec_b64 s[66:67], vcc
	s_cbranch_execz .LBB4_734
; %bb.733:                              ;   in Loop: Header=BB4_580 Depth=4
	v_and_b32_e32 v0, 7, v52
	v_ffbh_u32_e32 v28, v0
	v_min_u32_e32 v32, 32, v28
	v_subrev_u32_e32 v28, 28, v32
	v_lshlrev_b64 v[28:29], v28, v[52:53]
	v_lshrrev_b32_e32 v31, 3, v1
	v_sub_u32_e32 v29, 29, v32
	v_and_b32_e32 v28, 7, v28
	v_cmp_gt_u32_e32 vcc, 8, v1
	v_cndmask_b32_e32 v1, v31, v29, vcc
	v_cndmask_b32_e32 v0, v0, v28, vcc
	v_lshlrev_b32_e32 v28, 8, v17
	v_bfrev_b32_e32 v29, 60
	v_lshlrev_b32_e32 v0, 20, v0
	v_and_b32_e32 v28, 0x80000000, v28
	v_lshl_add_u32 v1, v1, 23, v29
	v_or3_b32 v0, v28, v1, v0
.LBB4_734:                              ;   in Loop: Header=BB4_580 Depth=4
	s_or_b64 exec, exec, s[66:67]
.LBB4_735:                              ;   in Loop: Header=BB4_580 Depth=4
	s_or_b64 exec, exec, s[64:65]
.LBB4_736:                              ;   in Loop: Header=BB4_580 Depth=4
	s_or_b64 exec, exec, s[28:29]
	v_add_f32_e32 v3, v3, v0
	v_and_b32_sdwa v0, v3, s91 dst_sel:DWORD dst_unused:UNUSED_PAD src0_sel:BYTE_3 src1_sel:DWORD
	v_and_b32_e32 v28, 0x7f800000, v3
	v_mov_b32_e32 v29, v59
	v_and_b32_e32 v58, 0x7fffff, v3
	v_or_b32_e32 v37, 0x7e, v0
	v_cmp_ne_u64_e32 vcc, s[54:55], v[28:29]
	s_and_saveexec_b64 s[28:29], vcc
	s_xor_b64 s[64:65], exec, s[28:29]
	s_cbranch_execz .LBB4_746
; %bb.737:                              ;   in Loop: Header=BB4_580 Depth=4
	v_and_b32_e32 v28, 0x7fffffff, v3
	v_mov_b32_e32 v29, v59
	v_cmp_gt_u64_e32 vcc, s[56:57], v[28:29]
	s_and_saveexec_b64 s[66:67], vcc
	s_cbranch_execz .LBB4_745
; %bb.738:                              ;   in Loop: Header=BB4_580 Depth=4
	v_cmp_ne_u32_e32 vcc, 0, v3
	v_mov_b32_e32 v37, 0
	s_and_saveexec_b64 s[68:69], vcc
	s_cbranch_execz .LBB4_744
; %bb.739:                              ;   in Loop: Header=BB4_580 Depth=4
	v_bfe_u32 v1, v3, 23, 8
	v_sub_u32_e32 v28, 0x79, v1
	v_cmp_gt_u32_e32 vcc, s93, v1
	v_add_u32_e32 v3, 0xffffff81, v1
	v_cndmask_b32_e32 v28, 0, v28, vcc
	v_cmp_eq_u32_e32 vcc, 0, v1
	v_mov_b32_e32 v1, 0xffffff82
	v_cndmask_b32_e32 v1, v3, v1, vcc
	v_mov_b32_e32 v3, 0x78
	v_cndmask_b32_e32 v3, v28, v3, vcc
	v_or_b32_e32 v29, 0x800000, v58
	v_add_u32_e32 v28, 20, v3
	v_cndmask_b32_e32 v58, v29, v58, vcc
	v_lshlrev_b64 v[28:29], v28, -1
	v_not_b32_e32 v28, v28
	v_and_b32_e32 v32, v58, v28
	v_add_u32_e32 v28, 19, v3
	v_lshrrev_b64 v[52:53], v3, v[58:59]
	v_not_b32_e32 v29, v29
	v_lshlrev_b64 v[34:35], v28, 1
	v_lshrrev_b32_e32 v28, 23, v52
	v_and_b32_e32 v33, 0, v29
	v_add3_u32 v29, v3, v1, v28
	v_bfe_u32 v1, v52, 20, 1
	v_add_u32_e32 v1, -1, v1
	v_cmp_eq_u64_e32 vcc, v[32:33], v[34:35]
	v_cndmask_b32_e32 v1, 0, v1, vcc
	v_add_u32_e32 v1, v1, v52
	v_and_b32_e32 v1, 0xfffff, v1
	v_add_co_u32_e32 v52, vcc, v1, v52
	v_add_u32_e32 v28, 6, v29
	v_addc_co_u32_e32 v53, vcc, 0, v53, vcc
	v_cmp_ne_u32_e32 vcc, 0, v28
                                        ; implicit-def: $vgpr3
	s_and_saveexec_b64 s[28:29], vcc
	s_xor_b64 s[28:29], exec, s[28:29]
; %bb.740:                              ;   in Loop: Header=BB4_580 Depth=4
	v_add_u32_e32 v1, 7, v29
	v_cmp_lt_u64_e32 vcc, s[58:59], v[52:53]
	v_cndmask_b32_e32 v3, v28, v1, vcc
	v_cndmask_b32_e64 v1, 0, 1, vcc
	v_lshrrev_b64 v[52:53], v1, v[52:53]
; %bb.741:                              ;   in Loop: Header=BB4_580 Depth=4
	s_andn2_saveexec_b64 s[28:29], s[28:29]
; %bb.742:                              ;   in Loop: Header=BB4_580 Depth=4
	v_bfe_u32 v3, v52, 23, 1
; %bb.743:                              ;   in Loop: Header=BB4_580 Depth=4
	s_or_b64 exec, exec, s[28:29]
	v_lshrrev_b64 v[28:29], 20, v[52:53]
	v_cmp_gt_i32_e32 vcc, 16, v3
	v_min_i32_e32 v1, 15, v3
	v_cndmask_b32_e32 v29, 0, v29, vcc
	v_cndmask_b32_e32 v28, 7, v28, vcc
	v_lshlrev_b32_e32 v1, 3, v1
	v_cmp_eq_u32_e32 vcc, 0, v3
	v_cmp_eq_u64_e64 s[28:29], 0, v[28:29]
	v_and_b32_e32 v1, 0xf8, v1
	v_and_or_b32 v1, v28, 7, v1
	s_and_b64 s[28:29], vcc, s[28:29]
	v_cndmask_b32_e64 v1, v1, 0, s[28:29]
	v_or_b32_e32 v37, v1, v0
.LBB4_744:                              ;   in Loop: Header=BB4_580 Depth=4
	s_or_b64 exec, exec, s[68:69]
.LBB4_745:                              ;   in Loop: Header=BB4_580 Depth=4
	s_or_b64 exec, exec, s[66:67]
                                        ; implicit-def: $vgpr3
.LBB4_746:                              ;   in Loop: Header=BB4_580 Depth=4
	s_andn2_saveexec_b64 s[28:29], s[64:65]
; %bb.747:                              ;   in Loop: Header=BB4_580 Depth=4
	v_or_b32_sdwa v0, v3, s92 dst_sel:DWORD dst_unused:UNUSED_PAD src0_sel:BYTE_3 src1_sel:DWORD
	v_cmp_eq_u64_e32 vcc, 0, v[58:59]
	v_cndmask_b32_e32 v37, v0, v37, vcc
; %bb.748:                              ;   in Loop: Header=BB4_580 Depth=4
	s_or_b64 exec, exec, s[28:29]
	v_cmp_lt_u64_e32 vcc, s[44:45], v[20:21]
	v_mov_b32_e32 v0, 0
	v_mov_b32_e32 v3, 0
	s_and_saveexec_b64 s[28:29], vcc
	s_cbranch_execz .LBB4_754
; %bb.749:                              ;   in Loop: Header=BB4_580 Depth=4
	v_lshrrev_b32_e32 v20, 24, v21
	v_cmp_ne_u32_e32 vcc, s91, v20
	v_bfrev_b32_e32 v3, 1
	s_and_saveexec_b64 s[64:65], vcc
	s_cbranch_execz .LBB4_753
; %bb.750:                              ;   in Loop: Header=BB4_580 Depth=4
	v_bfe_u32 v1, v21, 24, 7
	v_cmp_ne_u32_e32 vcc, s92, v1
	v_mov_b32_e32 v3, 0x7f800001
	s_and_saveexec_b64 s[66:67], vcc
	s_cbranch_execz .LBB4_752
; %bb.751:                              ;   in Loop: Header=BB4_580 Depth=4
	v_and_b32_e32 v3, 7, v20
	v_ffbh_u32_e32 v28, v3
	v_min_u32_e32 v31, 32, v28
	v_lshrrev_b32_e32 v21, 3, v1
	v_subrev_u32_e32 v28, 28, v31
	v_lshlrev_b64 v[28:29], v28, v[20:21]
	v_sub_u32_e32 v29, 29, v31
	v_and_b32_e32 v28, 7, v28
	v_cmp_gt_u32_e32 vcc, 8, v1
	v_cndmask_b32_e32 v1, v21, v29, vcc
	v_cndmask_b32_e32 v3, v3, v28, vcc
	v_lshlrev_b32_e32 v20, 24, v20
	v_bfrev_b32_e32 v21, 60
	v_lshlrev_b32_e32 v3, 20, v3
	v_and_b32_e32 v20, 0x80000000, v20
	v_lshl_add_u32 v1, v1, 23, v21
	v_or3_b32 v3, v20, v1, v3
.LBB4_752:                              ;   in Loop: Header=BB4_580 Depth=4
	s_or_b64 exec, exec, s[66:67]
.LBB4_753:                              ;   in Loop: Header=BB4_580 Depth=4
	s_or_b64 exec, exec, s[64:65]
.LBB4_754:                              ;   in Loop: Header=BB4_580 Depth=4
	s_or_b64 exec, exec, s[28:29]
	v_cmp_lt_u64_e32 vcc, s[44:45], v[16:17]
	s_and_saveexec_b64 s[28:29], vcc
	s_cbranch_execz .LBB4_760
; %bb.755:                              ;   in Loop: Header=BB4_580 Depth=4
	v_lshrrev_b32_e32 v16, 24, v17
	v_cmp_ne_u32_e32 vcc, s91, v16
	v_bfrev_b32_e32 v0, 1
	s_and_saveexec_b64 s[64:65], vcc
	s_cbranch_execz .LBB4_759
; %bb.756:                              ;   in Loop: Header=BB4_580 Depth=4
	v_bfe_u32 v1, v17, 24, 7
	v_cmp_ne_u32_e32 vcc, s92, v1
	v_mov_b32_e32 v0, 0x7f800001
	s_and_saveexec_b64 s[66:67], vcc
	s_cbranch_execz .LBB4_758
; %bb.757:                              ;   in Loop: Header=BB4_580 Depth=4
	v_and_b32_e32 v0, 7, v16
	v_ffbh_u32_e32 v20, v0
	v_min_u32_e32 v28, 32, v20
	v_lshrrev_b32_e32 v17, 3, v1
	v_subrev_u32_e32 v20, 28, v28
	v_lshlrev_b64 v[20:21], v20, v[16:17]
	v_sub_u32_e32 v21, 29, v28
	v_and_b32_e32 v20, 7, v20
	v_cmp_gt_u32_e32 vcc, 8, v1
	v_cndmask_b32_e32 v1, v17, v21, vcc
	v_cndmask_b32_e32 v0, v0, v20, vcc
	v_lshlrev_b32_e32 v16, 24, v16
	v_bfrev_b32_e32 v17, 60
	v_lshlrev_b32_e32 v0, 20, v0
	v_and_b32_e32 v16, 0x80000000, v16
	v_lshl_add_u32 v1, v1, 23, v17
	v_or3_b32 v0, v16, v1, v0
.LBB4_758:                              ;   in Loop: Header=BB4_580 Depth=4
	s_or_b64 exec, exec, s[66:67]
.LBB4_759:                              ;   in Loop: Header=BB4_580 Depth=4
	s_or_b64 exec, exec, s[64:65]
.LBB4_760:                              ;   in Loop: Header=BB4_580 Depth=4
	s_or_b64 exec, exec, s[28:29]
	v_add_f32_e32 v3, v3, v0
	v_and_b32_sdwa v0, v3, s91 dst_sel:DWORD dst_unused:UNUSED_PAD src0_sel:BYTE_3 src1_sel:DWORD
	v_and_b32_e32 v16, 0x7f800000, v3
	v_mov_b32_e32 v17, v59
	v_and_b32_e32 v58, 0x7fffff, v3
	v_or_b32_e32 v21, 0x7e, v0
	v_cmp_ne_u64_e32 vcc, s[54:55], v[16:17]
	s_and_saveexec_b64 s[28:29], vcc
	s_xor_b64 s[64:65], exec, s[28:29]
	s_cbranch_execz .LBB4_770
; %bb.761:                              ;   in Loop: Header=BB4_580 Depth=4
	v_and_b32_e32 v16, 0x7fffffff, v3
	v_mov_b32_e32 v17, v59
	v_cmp_gt_u64_e32 vcc, s[56:57], v[16:17]
	s_and_saveexec_b64 s[66:67], vcc
	s_cbranch_execz .LBB4_769
; %bb.762:                              ;   in Loop: Header=BB4_580 Depth=4
	v_cmp_ne_u32_e32 vcc, 0, v3
	v_mov_b32_e32 v21, 0
	s_and_saveexec_b64 s[68:69], vcc
	s_cbranch_execz .LBB4_768
; %bb.763:                              ;   in Loop: Header=BB4_580 Depth=4
	v_bfe_u32 v1, v3, 23, 8
	v_sub_u32_e32 v16, 0x79, v1
	v_cmp_gt_u32_e32 vcc, s93, v1
	v_add_u32_e32 v3, 0xffffff81, v1
	v_cndmask_b32_e32 v16, 0, v16, vcc
	v_cmp_eq_u32_e32 vcc, 0, v1
	v_mov_b32_e32 v1, 0xffffff82
	v_cndmask_b32_e32 v1, v3, v1, vcc
	v_mov_b32_e32 v3, 0x78
	v_or_b32_e32 v17, 0x800000, v58
	v_cndmask_b32_e32 v3, v16, v3, vcc
	v_cndmask_b32_e32 v58, v17, v58, vcc
	v_add_u32_e32 v16, 20, v3
	v_lshlrev_b64 v[16:17], v16, -1
	v_add_u32_e32 v20, 19, v3
	v_lshrrev_b64 v[32:33], v3, v[58:59]
	v_not_b32_e32 v17, v17
	v_not_b32_e32 v16, v16
	v_lshlrev_b64 v[28:29], v20, 1
	v_lshrrev_b32_e32 v20, 23, v32
	v_and_b32_e32 v17, 0, v17
	v_and_b32_e32 v16, v58, v16
	v_add3_u32 v21, v3, v1, v20
	v_bfe_u32 v1, v32, 20, 1
	v_add_u32_e32 v1, -1, v1
	v_cmp_eq_u64_e32 vcc, v[16:17], v[28:29]
	v_cndmask_b32_e32 v1, 0, v1, vcc
	v_add_u32_e32 v1, v1, v32
	v_and_b32_e32 v1, 0xfffff, v1
	v_add_co_u32_e32 v16, vcc, v1, v32
	v_add_u32_e32 v20, 6, v21
	v_addc_co_u32_e32 v17, vcc, 0, v33, vcc
	v_cmp_ne_u32_e32 vcc, 0, v20
                                        ; implicit-def: $vgpr3
	s_and_saveexec_b64 s[28:29], vcc
	s_xor_b64 s[28:29], exec, s[28:29]
; %bb.764:                              ;   in Loop: Header=BB4_580 Depth=4
	v_add_u32_e32 v1, 7, v21
	v_cmp_lt_u64_e32 vcc, s[58:59], v[16:17]
	v_cndmask_b32_e32 v3, v20, v1, vcc
	v_cndmask_b32_e64 v1, 0, 1, vcc
	v_lshrrev_b64 v[16:17], v1, v[16:17]
; %bb.765:                              ;   in Loop: Header=BB4_580 Depth=4
	s_andn2_saveexec_b64 s[28:29], s[28:29]
; %bb.766:                              ;   in Loop: Header=BB4_580 Depth=4
	v_bfe_u32 v3, v16, 23, 1
; %bb.767:                              ;   in Loop: Header=BB4_580 Depth=4
	s_or_b64 exec, exec, s[28:29]
	v_lshrrev_b64 v[16:17], 20, v[16:17]
	v_cmp_gt_i32_e32 vcc, 16, v3
	v_min_i32_e32 v1, 15, v3
	v_cndmask_b32_e32 v17, 0, v17, vcc
	v_cndmask_b32_e32 v16, 7, v16, vcc
	v_lshlrev_b32_e32 v1, 3, v1
	v_cmp_eq_u32_e32 vcc, 0, v3
	v_cmp_eq_u64_e64 s[28:29], 0, v[16:17]
	v_and_b32_e32 v1, 0xf8, v1
	v_and_or_b32 v1, v16, 7, v1
	s_and_b64 s[28:29], vcc, s[28:29]
	v_cndmask_b32_e64 v1, v1, 0, s[28:29]
	v_or_b32_e32 v21, v1, v0
.LBB4_768:                              ;   in Loop: Header=BB4_580 Depth=4
	s_or_b64 exec, exec, s[68:69]
.LBB4_769:                              ;   in Loop: Header=BB4_580 Depth=4
	s_or_b64 exec, exec, s[66:67]
                                        ; implicit-def: $vgpr3
.LBB4_770:                              ;   in Loop: Header=BB4_580 Depth=4
	s_andn2_saveexec_b64 s[28:29], s[64:65]
; %bb.771:                              ;   in Loop: Header=BB4_580 Depth=4
	v_or_b32_sdwa v0, v3, s92 dst_sel:DWORD dst_unused:UNUSED_PAD src0_sel:BYTE_3 src1_sel:DWORD
	v_cmp_eq_u64_e32 vcc, 0, v[58:59]
	v_cndmask_b32_e32 v21, v0, v21, vcc
; %bb.772:                              ;   in Loop: Header=BB4_580 Depth=4
	s_or_b64 exec, exec, s[28:29]
	v_cmp_ne_u16_sdwa vcc, v22, v59 src0_sel:BYTE_0 src1_sel:DWORD
	v_mov_b32_e32 v0, 0
	v_mov_b32_e32 v3, 0
	s_and_saveexec_b64 s[28:29], vcc
	s_cbranch_execz .LBB4_778
; %bb.773:                              ;   in Loop: Header=BB4_580 Depth=4
	v_cmp_ne_u16_sdwa vcc, v22, s91 src0_sel:BYTE_0 src1_sel:DWORD
	v_bfrev_b32_e32 v3, 1
	s_and_saveexec_b64 s[64:65], vcc
	s_cbranch_execz .LBB4_777
; %bb.774:                              ;   in Loop: Header=BB4_580 Depth=4
	v_and_b32_e32 v1, 0x7f, v22
	v_cmp_ne_u32_e32 vcc, s92, v1
	v_mov_b32_e32 v3, 0x7f800001
	s_and_saveexec_b64 s[66:67], vcc
	s_cbranch_execz .LBB4_776
; %bb.775:                              ;   in Loop: Header=BB4_580 Depth=4
	v_and_b32_e32 v3, 7, v22
	v_ffbh_u32_e32 v3, v3
	v_min_u32_e32 v3, 32, v3
	v_lshrrev_b32_e32 v16, 3, v1
	v_subrev_u32_e32 v17, 28, v3
	v_sub_u32_e32 v3, 29, v3
	v_cmp_gt_u32_e32 vcc, 8, v1
	v_cndmask_b32_e32 v1, v16, v3, vcc
	v_cndmask_b32_e32 v3, 0, v17, vcc
	v_lshlrev_b64 v[16:17], v3, v[22:23]
	v_lshlrev_b32_e32 v3, 20, v16
	v_lshlrev_b32_e32 v16, 24, v22
	v_bfrev_b32_e32 v17, 60
	v_and_b32_e32 v3, 0x700000, v3
	v_and_b32_e32 v16, 0x80000000, v16
	v_lshl_add_u32 v1, v1, 23, v17
	v_or3_b32 v3, v16, v1, v3
.LBB4_776:                              ;   in Loop: Header=BB4_580 Depth=4
	s_or_b64 exec, exec, s[66:67]
.LBB4_777:                              ;   in Loop: Header=BB4_580 Depth=4
	s_or_b64 exec, exec, s[64:65]
.LBB4_778:                              ;   in Loop: Header=BB4_580 Depth=4
	s_or_b64 exec, exec, s[28:29]
	v_cmp_ne_u16_sdwa vcc, v18, v59 src0_sel:BYTE_0 src1_sel:DWORD
	s_and_saveexec_b64 s[28:29], vcc
	s_cbranch_execz .LBB4_784
; %bb.779:                              ;   in Loop: Header=BB4_580 Depth=4
	v_cmp_ne_u16_sdwa vcc, v18, s91 src0_sel:BYTE_0 src1_sel:DWORD
	v_bfrev_b32_e32 v0, 1
	s_and_saveexec_b64 s[64:65], vcc
	s_cbranch_execz .LBB4_783
; %bb.780:                              ;   in Loop: Header=BB4_580 Depth=4
	v_and_b32_e32 v1, 0x7f, v18
	v_cmp_ne_u32_e32 vcc, s92, v1
	v_mov_b32_e32 v0, 0x7f800001
	s_and_saveexec_b64 s[66:67], vcc
	s_cbranch_execz .LBB4_782
; %bb.781:                              ;   in Loop: Header=BB4_580 Depth=4
	v_and_b32_e32 v0, 7, v18
	v_ffbh_u32_e32 v0, v0
	v_min_u32_e32 v0, 32, v0
	v_lshrrev_b32_e32 v16, 3, v1
	v_subrev_u32_e32 v17, 28, v0
	v_sub_u32_e32 v0, 29, v0
	v_cmp_gt_u32_e32 vcc, 8, v1
	v_cndmask_b32_e32 v16, v16, v0, vcc
	v_cndmask_b32_e32 v0, 0, v17, vcc
	v_lshlrev_b64 v[0:1], v0, v[18:19]
	v_lshlrev_b32_e32 v0, 20, v0
	v_lshlrev_b32_e32 v1, 24, v18
	v_bfrev_b32_e32 v17, 60
	v_and_b32_e32 v0, 0x700000, v0
	v_and_b32_e32 v1, 0x80000000, v1
	v_lshl_add_u32 v16, v16, 23, v17
	v_or3_b32 v0, v1, v16, v0
.LBB4_782:                              ;   in Loop: Header=BB4_580 Depth=4
	s_or_b64 exec, exec, s[66:67]
.LBB4_783:                              ;   in Loop: Header=BB4_580 Depth=4
	s_or_b64 exec, exec, s[64:65]
.LBB4_784:                              ;   in Loop: Header=BB4_580 Depth=4
	s_or_b64 exec, exec, s[28:29]
	v_add_f32_e32 v3, v3, v0
	v_and_b32_sdwa v0, v3, s91 dst_sel:DWORD dst_unused:UNUSED_PAD src0_sel:BYTE_3 src1_sel:DWORD
	v_and_b32_e32 v16, 0x7f800000, v3
	v_mov_b32_e32 v17, v59
	v_and_b32_e32 v58, 0x7fffff, v3
	v_or_b32_e32 v52, 0x7e, v0
	v_cmp_ne_u64_e32 vcc, s[54:55], v[16:17]
	s_and_saveexec_b64 s[28:29], vcc
	s_xor_b64 s[64:65], exec, s[28:29]
	s_cbranch_execz .LBB4_794
; %bb.785:                              ;   in Loop: Header=BB4_580 Depth=4
	v_and_b32_e32 v16, 0x7fffffff, v3
	v_mov_b32_e32 v17, v59
	v_cmp_gt_u64_e32 vcc, s[56:57], v[16:17]
	s_and_saveexec_b64 s[66:67], vcc
	s_cbranch_execz .LBB4_793
; %bb.786:                              ;   in Loop: Header=BB4_580 Depth=4
	v_cmp_ne_u32_e32 vcc, 0, v3
	v_mov_b32_e32 v52, 0
	s_and_saveexec_b64 s[68:69], vcc
	s_cbranch_execz .LBB4_792
; %bb.787:                              ;   in Loop: Header=BB4_580 Depth=4
	v_bfe_u32 v1, v3, 23, 8
	v_sub_u32_e32 v16, 0x79, v1
	v_cmp_gt_u32_e32 vcc, s93, v1
	v_add_u32_e32 v3, 0xffffff81, v1
	v_cndmask_b32_e32 v16, 0, v16, vcc
	v_cmp_eq_u32_e32 vcc, 0, v1
	v_mov_b32_e32 v1, 0xffffff82
	v_cndmask_b32_e32 v1, v3, v1, vcc
	v_mov_b32_e32 v3, 0x78
	v_or_b32_e32 v17, 0x800000, v58
	v_cndmask_b32_e32 v3, v16, v3, vcc
	v_cndmask_b32_e32 v58, v17, v58, vcc
	v_add_u32_e32 v16, 20, v3
	v_lshlrev_b64 v[16:17], v16, -1
	v_add_u32_e32 v20, 19, v3
	v_lshrrev_b64 v[34:35], v3, v[58:59]
	v_not_b32_e32 v17, v17
	v_not_b32_e32 v16, v16
	v_lshlrev_b64 v[32:33], v20, 1
	v_lshrrev_b32_e32 v20, 23, v34
	v_and_b32_e32 v17, 0, v17
	v_and_b32_e32 v16, v58, v16
	v_add3_u32 v28, v3, v1, v20
	v_bfe_u32 v1, v34, 20, 1
	v_add_u32_e32 v1, -1, v1
	v_cmp_eq_u64_e32 vcc, v[16:17], v[32:33]
	v_cndmask_b32_e32 v1, 0, v1, vcc
	v_add_u32_e32 v1, v1, v34
	v_and_b32_e32 v1, 0xfffff, v1
	v_add_co_u32_e32 v16, vcc, v1, v34
	v_add_u32_e32 v20, 6, v28
	v_addc_co_u32_e32 v17, vcc, 0, v35, vcc
	v_cmp_ne_u32_e32 vcc, 0, v20
                                        ; implicit-def: $vgpr3
	s_and_saveexec_b64 s[28:29], vcc
	s_xor_b64 s[28:29], exec, s[28:29]
; %bb.788:                              ;   in Loop: Header=BB4_580 Depth=4
	v_add_u32_e32 v1, 7, v28
	v_cmp_lt_u64_e32 vcc, s[58:59], v[16:17]
	v_cndmask_b32_e32 v3, v20, v1, vcc
	v_cndmask_b32_e64 v1, 0, 1, vcc
	v_lshrrev_b64 v[16:17], v1, v[16:17]
; %bb.789:                              ;   in Loop: Header=BB4_580 Depth=4
	s_andn2_saveexec_b64 s[28:29], s[28:29]
; %bb.790:                              ;   in Loop: Header=BB4_580 Depth=4
	v_bfe_u32 v3, v16, 23, 1
; %bb.791:                              ;   in Loop: Header=BB4_580 Depth=4
	s_or_b64 exec, exec, s[28:29]
	v_lshrrev_b64 v[16:17], 20, v[16:17]
	v_cmp_gt_i32_e32 vcc, 16, v3
	v_cndmask_b32_e32 v17, 0, v17, vcc
	v_cndmask_b32_e32 v16, 7, v16, vcc
	v_min_i32_e32 v1, 15, v3
	v_cmp_eq_u32_e32 vcc, 0, v3
	v_cmp_eq_u64_e64 s[28:29], 0, v[16:17]
	v_lshlrev_b32_e32 v1, 3, v1
	v_and_or_b32 v1, v16, 7, v1
	s_and_b64 s[28:29], vcc, s[28:29]
	v_cndmask_b32_e64 v1, v1, 0, s[28:29]
	v_or_b32_e32 v52, v1, v0
.LBB4_792:                              ;   in Loop: Header=BB4_580 Depth=4
	s_or_b64 exec, exec, s[68:69]
.LBB4_793:                              ;   in Loop: Header=BB4_580 Depth=4
	s_or_b64 exec, exec, s[66:67]
                                        ; implicit-def: $vgpr3
.LBB4_794:                              ;   in Loop: Header=BB4_580 Depth=4
	s_andn2_saveexec_b64 s[28:29], s[64:65]
; %bb.795:                              ;   in Loop: Header=BB4_580 Depth=4
	v_or_b32_sdwa v0, v3, s92 dst_sel:DWORD dst_unused:UNUSED_PAD src0_sel:BYTE_3 src1_sel:DWORD
	v_cmp_eq_u64_e32 vcc, 0, v[58:59]
	v_cndmask_b32_e32 v52, v0, v52, vcc
; %bb.796:                              ;   in Loop: Header=BB4_580 Depth=4
	s_or_b64 exec, exec, s[28:29]
	v_lshrrev_b16_e32 v16, 8, v22
	v_cmp_ne_u16_e32 vcc, 0, v16
	v_mov_b32_e32 v0, 0
	v_mov_b32_e32 v3, 0
	s_and_saveexec_b64 s[28:29], vcc
	s_cbranch_execz .LBB4_802
; %bb.797:                              ;   in Loop: Header=BB4_580 Depth=4
	v_cmp_ne_u16_e32 vcc, s91, v16
	v_bfrev_b32_e32 v3, 1
	s_and_saveexec_b64 s[64:65], vcc
	s_cbranch_execz .LBB4_801
; %bb.798:                              ;   in Loop: Header=BB4_580 Depth=4
	v_and_b32_e32 v1, 0x7f, v16
	v_cmp_ne_u32_e32 vcc, s92, v1
	v_mov_b32_e32 v3, 0x7f800001
	s_and_saveexec_b64 s[66:67], vcc
	s_cbranch_execz .LBB4_800
; %bb.799:                              ;   in Loop: Header=BB4_580 Depth=4
	v_and_b32_e32 v3, 7, v16
	v_ffbh_u32_e32 v17, v3
	v_min_u32_e32 v28, 32, v17
	v_subrev_u32_e32 v17, 28, v28
	v_lshlrev_b64 v[16:17], v17, v[16:17]
	v_lshrrev_b32_e32 v20, 3, v1
	v_sub_u32_e32 v17, 29, v28
	v_and_b32_e32 v16, 7, v16
	v_cmp_gt_u32_e32 vcc, 8, v1
	v_cndmask_b32_e32 v1, v20, v17, vcc
	v_cndmask_b32_e32 v3, v3, v16, vcc
	v_lshlrev_b32_e32 v16, 16, v22
	v_bfrev_b32_e32 v17, 60
	v_lshlrev_b32_e32 v3, 20, v3
	v_and_b32_e32 v16, 0x80000000, v16
	v_lshl_add_u32 v1, v1, 23, v17
	v_or3_b32 v3, v16, v1, v3
.LBB4_800:                              ;   in Loop: Header=BB4_580 Depth=4
	s_or_b64 exec, exec, s[66:67]
.LBB4_801:                              ;   in Loop: Header=BB4_580 Depth=4
	s_or_b64 exec, exec, s[64:65]
.LBB4_802:                              ;   in Loop: Header=BB4_580 Depth=4
	s_or_b64 exec, exec, s[28:29]
	v_lshrrev_b16_e32 v16, 8, v18
	v_cmp_ne_u16_e32 vcc, 0, v16
	s_and_saveexec_b64 s[28:29], vcc
	s_cbranch_execz .LBB4_808
; %bb.803:                              ;   in Loop: Header=BB4_580 Depth=4
	v_cmp_ne_u16_e32 vcc, s91, v16
	v_bfrev_b32_e32 v0, 1
	s_and_saveexec_b64 s[64:65], vcc
	s_cbranch_execz .LBB4_807
; %bb.804:                              ;   in Loop: Header=BB4_580 Depth=4
	v_and_b32_e32 v1, 0x7f, v16
	v_cmp_ne_u32_e32 vcc, s92, v1
	v_mov_b32_e32 v0, 0x7f800001
	s_and_saveexec_b64 s[66:67], vcc
	s_cbranch_execz .LBB4_806
; %bb.805:                              ;   in Loop: Header=BB4_580 Depth=4
	v_and_b32_e32 v0, 7, v16
	v_ffbh_u32_e32 v17, v0
	v_min_u32_e32 v28, 32, v17
	v_subrev_u32_e32 v17, 28, v28
	v_lshlrev_b64 v[16:17], v17, v[16:17]
	v_lshrrev_b32_e32 v20, 3, v1
	v_sub_u32_e32 v17, 29, v28
	v_and_b32_e32 v16, 7, v16
	v_cmp_gt_u32_e32 vcc, 8, v1
	v_cndmask_b32_e32 v1, v20, v17, vcc
	v_cndmask_b32_e32 v0, v0, v16, vcc
	v_lshlrev_b32_e32 v16, 16, v18
	v_bfrev_b32_e32 v17, 60
	v_lshlrev_b32_e32 v0, 20, v0
	v_and_b32_e32 v16, 0x80000000, v16
	v_lshl_add_u32 v1, v1, 23, v17
	v_or3_b32 v0, v16, v1, v0
.LBB4_806:                              ;   in Loop: Header=BB4_580 Depth=4
	s_or_b64 exec, exec, s[66:67]
.LBB4_807:                              ;   in Loop: Header=BB4_580 Depth=4
	s_or_b64 exec, exec, s[64:65]
.LBB4_808:                              ;   in Loop: Header=BB4_580 Depth=4
	s_or_b64 exec, exec, s[28:29]
	v_add_f32_e32 v3, v3, v0
	v_and_b32_sdwa v0, v3, s91 dst_sel:DWORD dst_unused:UNUSED_PAD src0_sel:BYTE_3 src1_sel:DWORD
	v_and_b32_e32 v16, 0x7f800000, v3
	v_mov_b32_e32 v17, v59
	v_and_b32_e32 v58, 0x7fffff, v3
	v_or_b32_e32 v53, 0x7e, v0
	v_cmp_ne_u64_e32 vcc, s[54:55], v[16:17]
	s_and_saveexec_b64 s[28:29], vcc
	s_xor_b64 s[64:65], exec, s[28:29]
	s_cbranch_execz .LBB4_818
; %bb.809:                              ;   in Loop: Header=BB4_580 Depth=4
	v_and_b32_e32 v16, 0x7fffffff, v3
	v_mov_b32_e32 v17, v59
	v_cmp_gt_u64_e32 vcc, s[56:57], v[16:17]
	s_and_saveexec_b64 s[66:67], vcc
	s_cbranch_execz .LBB4_817
; %bb.810:                              ;   in Loop: Header=BB4_580 Depth=4
	v_cmp_ne_u32_e32 vcc, 0, v3
	v_mov_b32_e32 v53, 0
	s_and_saveexec_b64 s[68:69], vcc
	s_cbranch_execz .LBB4_816
; %bb.811:                              ;   in Loop: Header=BB4_580 Depth=4
	v_bfe_u32 v1, v3, 23, 8
	v_sub_u32_e32 v16, 0x79, v1
	v_cmp_gt_u32_e32 vcc, s93, v1
	v_add_u32_e32 v3, 0xffffff81, v1
	v_cndmask_b32_e32 v16, 0, v16, vcc
	v_cmp_eq_u32_e32 vcc, 0, v1
	v_mov_b32_e32 v1, 0xffffff82
	v_cndmask_b32_e32 v1, v3, v1, vcc
	v_mov_b32_e32 v3, 0x78
	v_or_b32_e32 v17, 0x800000, v58
	v_cndmask_b32_e32 v3, v16, v3, vcc
	v_cndmask_b32_e32 v58, v17, v58, vcc
	v_add_u32_e32 v16, 20, v3
	v_lshlrev_b64 v[16:17], v16, -1
	v_add_u32_e32 v20, 19, v3
	v_lshrrev_b64 v[34:35], v3, v[58:59]
	v_not_b32_e32 v17, v17
	v_not_b32_e32 v16, v16
	v_lshlrev_b64 v[32:33], v20, 1
	v_lshrrev_b32_e32 v20, 23, v34
	v_and_b32_e32 v17, 0, v17
	v_and_b32_e32 v16, v58, v16
	v_add3_u32 v28, v3, v1, v20
	v_bfe_u32 v1, v34, 20, 1
	v_add_u32_e32 v1, -1, v1
	v_cmp_eq_u64_e32 vcc, v[16:17], v[32:33]
	v_cndmask_b32_e32 v1, 0, v1, vcc
	v_add_u32_e32 v1, v1, v34
	v_and_b32_e32 v1, 0xfffff, v1
	v_add_co_u32_e32 v16, vcc, v1, v34
	v_add_u32_e32 v20, 6, v28
	v_addc_co_u32_e32 v17, vcc, 0, v35, vcc
	v_cmp_ne_u32_e32 vcc, 0, v20
                                        ; implicit-def: $vgpr3
	s_and_saveexec_b64 s[28:29], vcc
	s_xor_b64 s[28:29], exec, s[28:29]
; %bb.812:                              ;   in Loop: Header=BB4_580 Depth=4
	v_add_u32_e32 v1, 7, v28
	v_cmp_lt_u64_e32 vcc, s[58:59], v[16:17]
	v_cndmask_b32_e32 v3, v20, v1, vcc
	v_cndmask_b32_e64 v1, 0, 1, vcc
	v_lshrrev_b64 v[16:17], v1, v[16:17]
; %bb.813:                              ;   in Loop: Header=BB4_580 Depth=4
	s_andn2_saveexec_b64 s[28:29], s[28:29]
; %bb.814:                              ;   in Loop: Header=BB4_580 Depth=4
	v_bfe_u32 v3, v16, 23, 1
; %bb.815:                              ;   in Loop: Header=BB4_580 Depth=4
	s_or_b64 exec, exec, s[28:29]
	v_lshrrev_b64 v[16:17], 20, v[16:17]
	v_cmp_gt_i32_e32 vcc, 16, v3
	v_cndmask_b32_e32 v17, 0, v17, vcc
	v_cndmask_b32_e32 v16, 7, v16, vcc
	v_min_i32_e32 v1, 15, v3
	v_cmp_eq_u32_e32 vcc, 0, v3
	v_cmp_eq_u64_e64 s[28:29], 0, v[16:17]
	v_lshlrev_b32_e32 v1, 3, v1
	v_and_or_b32 v1, v16, 7, v1
	s_and_b64 s[28:29], vcc, s[28:29]
	v_cndmask_b32_e64 v1, v1, 0, s[28:29]
	v_or_b32_e32 v53, v1, v0
.LBB4_816:                              ;   in Loop: Header=BB4_580 Depth=4
	s_or_b64 exec, exec, s[68:69]
.LBB4_817:                              ;   in Loop: Header=BB4_580 Depth=4
	s_or_b64 exec, exec, s[66:67]
                                        ; implicit-def: $vgpr3
.LBB4_818:                              ;   in Loop: Header=BB4_580 Depth=4
	s_andn2_saveexec_b64 s[28:29], s[64:65]
; %bb.819:                              ;   in Loop: Header=BB4_580 Depth=4
	v_or_b32_sdwa v0, v3, s92 dst_sel:DWORD dst_unused:UNUSED_PAD src0_sel:BYTE_3 src1_sel:DWORD
	v_cmp_eq_u64_e32 vcc, 0, v[58:59]
	v_cndmask_b32_e32 v53, v0, v53, vcc
; %bb.820:                              ;   in Loop: Header=BB4_580 Depth=4
	s_or_b64 exec, exec, s[28:29]
	v_lshrrev_b32_e32 v16, 16, v22
	v_cmp_ne_u16_sdwa vcc, v16, v59 src0_sel:BYTE_0 src1_sel:DWORD
	v_mov_b32_e32 v0, 0
	v_mov_b32_e32 v3, 0
	s_and_saveexec_b64 s[28:29], vcc
	s_cbranch_execz .LBB4_826
; %bb.821:                              ;   in Loop: Header=BB4_580 Depth=4
	v_cmp_ne_u16_sdwa vcc, v16, s91 src0_sel:BYTE_0 src1_sel:DWORD
	v_bfrev_b32_e32 v3, 1
	s_and_saveexec_b64 s[64:65], vcc
	s_cbranch_execz .LBB4_825
; %bb.822:                              ;   in Loop: Header=BB4_580 Depth=4
	v_bfe_u32 v1, v22, 16, 7
	v_cmp_ne_u32_e32 vcc, s92, v1
	v_mov_b32_e32 v3, 0x7f800001
	s_and_saveexec_b64 s[66:67], vcc
	s_cbranch_execz .LBB4_824
; %bb.823:                              ;   in Loop: Header=BB4_580 Depth=4
	v_and_b32_e32 v3, 7, v16
	v_ffbh_u32_e32 v20, v3
	v_min_u32_e32 v20, 32, v20
	v_lshrrev_b32_e32 v17, 3, v1
	v_subrev_u32_e32 v28, 28, v20
	v_lshlrev_b64 v[28:29], v28, v[16:17]
	v_sub_u32_e32 v20, 29, v20
	v_and_b32_e32 v28, 7, v28
	v_cmp_gt_u32_e32 vcc, 8, v1
	v_cndmask_b32_e32 v1, v17, v20, vcc
	v_cndmask_b32_e32 v3, v3, v28, vcc
	v_lshlrev_b32_e32 v16, 24, v16
	v_bfrev_b32_e32 v17, 60
	v_lshlrev_b32_e32 v3, 20, v3
	v_and_b32_e32 v16, 0x80000000, v16
	v_lshl_add_u32 v1, v1, 23, v17
	v_or3_b32 v3, v16, v1, v3
.LBB4_824:                              ;   in Loop: Header=BB4_580 Depth=4
	s_or_b64 exec, exec, s[66:67]
.LBB4_825:                              ;   in Loop: Header=BB4_580 Depth=4
	s_or_b64 exec, exec, s[64:65]
.LBB4_826:                              ;   in Loop: Header=BB4_580 Depth=4
	s_or_b64 exec, exec, s[28:29]
	v_lshrrev_b32_e32 v16, 16, v18
	v_cmp_ne_u16_sdwa vcc, v16, v59 src0_sel:BYTE_0 src1_sel:DWORD
	s_and_saveexec_b64 s[28:29], vcc
	s_cbranch_execz .LBB4_832
; %bb.827:                              ;   in Loop: Header=BB4_580 Depth=4
	v_cmp_ne_u16_sdwa vcc, v16, s91 src0_sel:BYTE_0 src1_sel:DWORD
	v_bfrev_b32_e32 v0, 1
	s_and_saveexec_b64 s[64:65], vcc
	s_cbranch_execz .LBB4_831
; %bb.828:                              ;   in Loop: Header=BB4_580 Depth=4
	v_bfe_u32 v1, v18, 16, 7
	v_cmp_ne_u32_e32 vcc, s92, v1
	v_mov_b32_e32 v0, 0x7f800001
	s_and_saveexec_b64 s[66:67], vcc
	s_cbranch_execz .LBB4_830
; %bb.829:                              ;   in Loop: Header=BB4_580 Depth=4
	v_and_b32_e32 v0, 7, v16
	v_ffbh_u32_e32 v17, v0
	v_min_u32_e32 v28, 32, v17
	v_subrev_u32_e32 v17, 28, v28
	v_lshlrev_b64 v[16:17], v17, v[16:17]
	v_lshrrev_b32_e32 v20, 3, v1
	v_sub_u32_e32 v17, 29, v28
	v_and_b32_e32 v16, 7, v16
	v_cmp_gt_u32_e32 vcc, 8, v1
	v_cndmask_b32_e32 v1, v20, v17, vcc
	v_cndmask_b32_e32 v0, v0, v16, vcc
	v_lshlrev_b32_e32 v16, 8, v18
	v_bfrev_b32_e32 v17, 60
	v_lshlrev_b32_e32 v0, 20, v0
	v_and_b32_e32 v16, 0x80000000, v16
	v_lshl_add_u32 v1, v1, 23, v17
	v_or3_b32 v0, v16, v1, v0
.LBB4_830:                              ;   in Loop: Header=BB4_580 Depth=4
	s_or_b64 exec, exec, s[66:67]
.LBB4_831:                              ;   in Loop: Header=BB4_580 Depth=4
	s_or_b64 exec, exec, s[64:65]
.LBB4_832:                              ;   in Loop: Header=BB4_580 Depth=4
	s_or_b64 exec, exec, s[28:29]
	v_add_f32_e32 v3, v3, v0
	v_and_b32_sdwa v0, v3, s91 dst_sel:DWORD dst_unused:UNUSED_PAD src0_sel:BYTE_3 src1_sel:DWORD
	v_and_b32_e32 v16, 0x7f800000, v3
	v_mov_b32_e32 v17, v59
	v_and_b32_e32 v58, 0x7fffff, v3
	v_or_b32_e32 v28, 0x7e, v0
	v_cmp_ne_u64_e32 vcc, s[54:55], v[16:17]
	s_and_saveexec_b64 s[28:29], vcc
	s_xor_b64 s[64:65], exec, s[28:29]
	s_cbranch_execz .LBB4_842
; %bb.833:                              ;   in Loop: Header=BB4_580 Depth=4
	v_and_b32_e32 v16, 0x7fffffff, v3
	v_mov_b32_e32 v17, v59
	v_cmp_gt_u64_e32 vcc, s[56:57], v[16:17]
	s_and_saveexec_b64 s[66:67], vcc
	s_cbranch_execz .LBB4_841
; %bb.834:                              ;   in Loop: Header=BB4_580 Depth=4
	v_cmp_ne_u32_e32 vcc, 0, v3
	v_mov_b32_e32 v28, 0
	s_and_saveexec_b64 s[68:69], vcc
	s_cbranch_execz .LBB4_840
; %bb.835:                              ;   in Loop: Header=BB4_580 Depth=4
	v_bfe_u32 v1, v3, 23, 8
	v_sub_u32_e32 v16, 0x79, v1
	v_cmp_gt_u32_e32 vcc, s93, v1
	v_add_u32_e32 v3, 0xffffff81, v1
	v_cndmask_b32_e32 v16, 0, v16, vcc
	v_cmp_eq_u32_e32 vcc, 0, v1
	v_mov_b32_e32 v1, 0xffffff82
	v_cndmask_b32_e32 v1, v3, v1, vcc
	v_mov_b32_e32 v3, 0x78
	v_or_b32_e32 v17, 0x800000, v58
	v_cndmask_b32_e32 v3, v16, v3, vcc
	v_cndmask_b32_e32 v58, v17, v58, vcc
	v_add_u32_e32 v16, 20, v3
	v_lshlrev_b64 v[16:17], v16, -1
	v_add_u32_e32 v20, 19, v3
	v_lshrrev_b64 v[34:35], v3, v[58:59]
	v_not_b32_e32 v17, v17
	v_not_b32_e32 v16, v16
	v_lshlrev_b64 v[32:33], v20, 1
	v_lshrrev_b32_e32 v20, 23, v34
	v_and_b32_e32 v17, 0, v17
	v_and_b32_e32 v16, v58, v16
	v_add3_u32 v28, v3, v1, v20
	v_bfe_u32 v1, v34, 20, 1
	v_add_u32_e32 v1, -1, v1
	v_cmp_eq_u64_e32 vcc, v[16:17], v[32:33]
	v_cndmask_b32_e32 v1, 0, v1, vcc
	v_add_u32_e32 v1, v1, v34
	v_and_b32_e32 v1, 0xfffff, v1
	v_add_co_u32_e32 v16, vcc, v1, v34
	v_add_u32_e32 v20, 6, v28
	v_addc_co_u32_e32 v17, vcc, 0, v35, vcc
	v_cmp_ne_u32_e32 vcc, 0, v20
                                        ; implicit-def: $vgpr3
	s_and_saveexec_b64 s[28:29], vcc
	s_xor_b64 s[28:29], exec, s[28:29]
; %bb.836:                              ;   in Loop: Header=BB4_580 Depth=4
	v_add_u32_e32 v1, 7, v28
	v_cmp_lt_u64_e32 vcc, s[58:59], v[16:17]
	v_cndmask_b32_e32 v3, v20, v1, vcc
	v_cndmask_b32_e64 v1, 0, 1, vcc
	v_lshrrev_b64 v[16:17], v1, v[16:17]
; %bb.837:                              ;   in Loop: Header=BB4_580 Depth=4
	s_andn2_saveexec_b64 s[28:29], s[28:29]
; %bb.838:                              ;   in Loop: Header=BB4_580 Depth=4
	v_bfe_u32 v3, v16, 23, 1
; %bb.839:                              ;   in Loop: Header=BB4_580 Depth=4
	s_or_b64 exec, exec, s[28:29]
	v_lshrrev_b64 v[16:17], 20, v[16:17]
	v_cmp_gt_i32_e32 vcc, 16, v3
	v_cndmask_b32_e32 v17, 0, v17, vcc
	v_cndmask_b32_e32 v16, 7, v16, vcc
	v_min_i32_e32 v1, 15, v3
	v_cmp_eq_u32_e32 vcc, 0, v3
	v_cmp_eq_u64_e64 s[28:29], 0, v[16:17]
	v_lshlrev_b32_e32 v1, 3, v1
	v_and_or_b32 v1, v16, 7, v1
	s_and_b64 s[28:29], vcc, s[28:29]
	v_cndmask_b32_e64 v1, v1, 0, s[28:29]
	v_or_b32_e32 v28, v1, v0
.LBB4_840:                              ;   in Loop: Header=BB4_580 Depth=4
	s_or_b64 exec, exec, s[68:69]
.LBB4_841:                              ;   in Loop: Header=BB4_580 Depth=4
	s_or_b64 exec, exec, s[66:67]
                                        ; implicit-def: $vgpr3
.LBB4_842:                              ;   in Loop: Header=BB4_580 Depth=4
	s_andn2_saveexec_b64 s[28:29], s[64:65]
; %bb.843:                              ;   in Loop: Header=BB4_580 Depth=4
	v_or_b32_sdwa v0, v3, s92 dst_sel:DWORD dst_unused:UNUSED_PAD src0_sel:BYTE_3 src1_sel:DWORD
	v_cmp_eq_u64_e32 vcc, 0, v[58:59]
	v_cndmask_b32_e32 v28, v0, v28, vcc
; %bb.844:                              ;   in Loop: Header=BB4_580 Depth=4
	s_or_b64 exec, exec, s[28:29]
	v_cmp_lt_u32_e32 vcc, s45, v22
	v_mov_b32_e32 v0, 0
	v_mov_b32_e32 v3, 0
	s_and_saveexec_b64 s[28:29], vcc
	s_cbranch_execz .LBB4_850
; %bb.845:                              ;   in Loop: Header=BB4_580 Depth=4
	v_lshrrev_b32_e32 v16, 24, v22
	v_cmp_ne_u32_e32 vcc, s91, v16
	v_bfrev_b32_e32 v3, 1
	s_and_saveexec_b64 s[64:65], vcc
	s_cbranch_execz .LBB4_849
; %bb.846:                              ;   in Loop: Header=BB4_580 Depth=4
	v_bfe_u32 v1, v22, 24, 7
	v_cmp_ne_u32_e32 vcc, s92, v1
	v_mov_b32_e32 v3, 0x7f800001
	s_and_saveexec_b64 s[66:67], vcc
	s_cbranch_execz .LBB4_848
; %bb.847:                              ;   in Loop: Header=BB4_580 Depth=4
	v_and_b32_e32 v3, 7, v16
	v_ffbh_u32_e32 v20, v3
	v_min_u32_e32 v20, 32, v20
	v_lshrrev_b32_e32 v17, 3, v1
	v_subrev_u32_e32 v29, 28, v20
	v_lshlrev_b64 v[32:33], v29, v[16:17]
	v_sub_u32_e32 v20, 29, v20
	v_and_b32_e32 v29, 7, v32
	v_cmp_gt_u32_e32 vcc, 8, v1
	v_cndmask_b32_e32 v1, v17, v20, vcc
	v_cndmask_b32_e32 v3, v3, v29, vcc
	v_lshlrev_b32_e32 v16, 24, v16
	v_bfrev_b32_e32 v17, 60
	v_lshlrev_b32_e32 v3, 20, v3
	v_and_b32_e32 v16, 0x80000000, v16
	v_lshl_add_u32 v1, v1, 23, v17
	v_or3_b32 v3, v16, v1, v3
.LBB4_848:                              ;   in Loop: Header=BB4_580 Depth=4
	s_or_b64 exec, exec, s[66:67]
.LBB4_849:                              ;   in Loop: Header=BB4_580 Depth=4
	s_or_b64 exec, exec, s[64:65]
.LBB4_850:                              ;   in Loop: Header=BB4_580 Depth=4
	s_or_b64 exec, exec, s[28:29]
	v_cmp_lt_u32_e32 vcc, s45, v18
	s_and_saveexec_b64 s[28:29], vcc
	s_cbranch_execz .LBB4_856
; %bb.851:                              ;   in Loop: Header=BB4_580 Depth=4
	v_lshrrev_b32_e32 v16, 24, v18
	v_cmp_ne_u32_e32 vcc, s91, v16
	v_bfrev_b32_e32 v0, 1
	s_and_saveexec_b64 s[64:65], vcc
	s_cbranch_execz .LBB4_855
; %bb.852:                              ;   in Loop: Header=BB4_580 Depth=4
	v_bfe_u32 v1, v18, 24, 7
	v_cmp_ne_u32_e32 vcc, s92, v1
	v_mov_b32_e32 v0, 0x7f800001
	s_and_saveexec_b64 s[66:67], vcc
	s_cbranch_execz .LBB4_854
; %bb.853:                              ;   in Loop: Header=BB4_580 Depth=4
	v_and_b32_e32 v0, 7, v16
	v_ffbh_u32_e32 v20, v0
	v_min_u32_e32 v20, 32, v20
	v_lshrrev_b32_e32 v17, 3, v1
	v_subrev_u32_e32 v29, 28, v20
	v_lshlrev_b64 v[32:33], v29, v[16:17]
	v_sub_u32_e32 v20, 29, v20
	v_and_b32_e32 v29, 7, v32
	v_cmp_gt_u32_e32 vcc, 8, v1
	v_cndmask_b32_e32 v1, v17, v20, vcc
	v_cndmask_b32_e32 v0, v0, v29, vcc
	v_lshlrev_b32_e32 v16, 24, v16
	v_bfrev_b32_e32 v17, 60
	v_lshlrev_b32_e32 v0, 20, v0
	v_and_b32_e32 v16, 0x80000000, v16
	v_lshl_add_u32 v1, v1, 23, v17
	v_or3_b32 v0, v16, v1, v0
.LBB4_854:                              ;   in Loop: Header=BB4_580 Depth=4
	s_or_b64 exec, exec, s[66:67]
.LBB4_855:                              ;   in Loop: Header=BB4_580 Depth=4
	s_or_b64 exec, exec, s[64:65]
.LBB4_856:                              ;   in Loop: Header=BB4_580 Depth=4
	s_or_b64 exec, exec, s[28:29]
	v_add_f32_e32 v3, v3, v0
	v_and_b32_sdwa v0, v3, s91 dst_sel:DWORD dst_unused:UNUSED_PAD src0_sel:BYTE_3 src1_sel:DWORD
	v_and_b32_e32 v16, 0x7f800000, v3
	v_mov_b32_e32 v17, v59
	v_and_b32_e32 v58, 0x7fffff, v3
	v_or_b32_e32 v29, 0x7e, v0
	v_cmp_ne_u64_e32 vcc, s[54:55], v[16:17]
	s_and_saveexec_b64 s[28:29], vcc
	s_xor_b64 s[64:65], exec, s[28:29]
	s_cbranch_execz .LBB4_866
; %bb.857:                              ;   in Loop: Header=BB4_580 Depth=4
	v_and_b32_e32 v16, 0x7fffffff, v3
	v_mov_b32_e32 v17, v59
	v_cmp_gt_u64_e32 vcc, s[56:57], v[16:17]
	s_and_saveexec_b64 s[66:67], vcc
	s_cbranch_execz .LBB4_865
; %bb.858:                              ;   in Loop: Header=BB4_580 Depth=4
	v_cmp_ne_u32_e32 vcc, 0, v3
	v_mov_b32_e32 v29, 0
	s_and_saveexec_b64 s[68:69], vcc
	s_cbranch_execz .LBB4_864
; %bb.859:                              ;   in Loop: Header=BB4_580 Depth=4
	v_bfe_u32 v1, v3, 23, 8
	v_sub_u32_e32 v16, 0x79, v1
	v_cmp_gt_u32_e32 vcc, s93, v1
	v_add_u32_e32 v3, 0xffffff81, v1
	v_cndmask_b32_e32 v16, 0, v16, vcc
	v_cmp_eq_u32_e32 vcc, 0, v1
	v_mov_b32_e32 v1, 0xffffff82
	v_cndmask_b32_e32 v1, v3, v1, vcc
	v_mov_b32_e32 v3, 0x78
	v_or_b32_e32 v17, 0x800000, v58
	v_cndmask_b32_e32 v3, v16, v3, vcc
	v_cndmask_b32_e32 v58, v17, v58, vcc
	v_add_u32_e32 v16, 20, v3
	v_lshlrev_b64 v[16:17], v16, -1
	v_add_u32_e32 v20, 19, v3
	v_lshrrev_b64 v[34:35], v3, v[58:59]
	v_not_b32_e32 v17, v17
	v_not_b32_e32 v16, v16
	v_lshlrev_b64 v[32:33], v20, 1
	v_lshrrev_b32_e32 v20, 23, v34
	v_and_b32_e32 v17, 0, v17
	v_and_b32_e32 v16, v58, v16
	v_add3_u32 v29, v3, v1, v20
	v_bfe_u32 v1, v34, 20, 1
	v_add_u32_e32 v1, -1, v1
	v_cmp_eq_u64_e32 vcc, v[16:17], v[32:33]
	v_cndmask_b32_e32 v1, 0, v1, vcc
	v_add_u32_e32 v1, v1, v34
	v_and_b32_e32 v1, 0xfffff, v1
	v_add_co_u32_e32 v16, vcc, v1, v34
	v_add_u32_e32 v20, 6, v29
	v_addc_co_u32_e32 v17, vcc, 0, v35, vcc
	v_cmp_ne_u32_e32 vcc, 0, v20
                                        ; implicit-def: $vgpr3
	s_and_saveexec_b64 s[28:29], vcc
	s_xor_b64 s[28:29], exec, s[28:29]
; %bb.860:                              ;   in Loop: Header=BB4_580 Depth=4
	v_add_u32_e32 v1, 7, v29
	v_cmp_lt_u64_e32 vcc, s[58:59], v[16:17]
	v_cndmask_b32_e32 v3, v20, v1, vcc
	v_cndmask_b32_e64 v1, 0, 1, vcc
	v_lshrrev_b64 v[16:17], v1, v[16:17]
; %bb.861:                              ;   in Loop: Header=BB4_580 Depth=4
	s_andn2_saveexec_b64 s[28:29], s[28:29]
; %bb.862:                              ;   in Loop: Header=BB4_580 Depth=4
	v_bfe_u32 v3, v16, 23, 1
; %bb.863:                              ;   in Loop: Header=BB4_580 Depth=4
	s_or_b64 exec, exec, s[28:29]
	v_lshrrev_b64 v[16:17], 20, v[16:17]
	v_cmp_gt_i32_e32 vcc, 16, v3
	v_cndmask_b32_e32 v17, 0, v17, vcc
	v_cndmask_b32_e32 v16, 7, v16, vcc
	v_min_i32_e32 v1, 15, v3
	v_cmp_eq_u32_e32 vcc, 0, v3
	v_cmp_eq_u64_e64 s[28:29], 0, v[16:17]
	v_lshlrev_b32_e32 v1, 3, v1
	v_and_or_b32 v1, v16, 7, v1
	s_and_b64 s[28:29], vcc, s[28:29]
	v_cndmask_b32_e64 v1, v1, 0, s[28:29]
	v_or_b32_e32 v29, v1, v0
.LBB4_864:                              ;   in Loop: Header=BB4_580 Depth=4
	s_or_b64 exec, exec, s[68:69]
.LBB4_865:                              ;   in Loop: Header=BB4_580 Depth=4
	s_or_b64 exec, exec, s[66:67]
                                        ; implicit-def: $vgpr3
.LBB4_866:                              ;   in Loop: Header=BB4_580 Depth=4
	s_andn2_saveexec_b64 s[28:29], s[64:65]
; %bb.867:                              ;   in Loop: Header=BB4_580 Depth=4
	v_or_b32_sdwa v0, v3, s92 dst_sel:DWORD dst_unused:UNUSED_PAD src0_sel:BYTE_3 src1_sel:DWORD
	v_cmp_eq_u64_e32 vcc, 0, v[58:59]
	v_cndmask_b32_e32 v29, v0, v29, vcc
; %bb.868:                              ;   in Loop: Header=BB4_580 Depth=4
	s_or_b64 exec, exec, s[28:29]
	v_mov_b32_e32 v58, v23
	v_cmp_ne_u16_sdwa vcc, v23, v59 src0_sel:BYTE_0 src1_sel:DWORD
	v_mov_b32_e32 v3, 0
	v_mov_b32_e32 v0, 0
	s_and_saveexec_b64 s[28:29], vcc
	s_cbranch_execz .LBB4_874
; %bb.869:                              ;   in Loop: Header=BB4_580 Depth=4
	v_cmp_ne_u16_sdwa vcc, v23, s91 src0_sel:BYTE_0 src1_sel:DWORD
	v_bfrev_b32_e32 v0, 1
	s_and_saveexec_b64 s[64:65], vcc
	s_cbranch_execz .LBB4_873
; %bb.870:                              ;   in Loop: Header=BB4_580 Depth=4
	v_and_b32_e32 v1, 0x7f, v23
	v_cmp_ne_u32_e32 vcc, s92, v1
	v_mov_b32_e32 v0, 0x7f800001
	s_and_saveexec_b64 s[66:67], vcc
	s_cbranch_execz .LBB4_872
; %bb.871:                              ;   in Loop: Header=BB4_580 Depth=4
	v_and_b32_e32 v0, 7, v23
	v_ffbh_u32_e32 v0, v0
	v_min_u32_e32 v0, 32, v0
	v_lshrrev_b32_e32 v16, 3, v1
	v_subrev_u32_e32 v17, 28, v0
	v_sub_u32_e32 v0, 29, v0
	v_cmp_gt_u32_e32 vcc, 8, v1
	v_cndmask_b32_e32 v16, v16, v0, vcc
	v_cndmask_b32_e32 v0, 0, v17, vcc
	v_lshlrev_b64 v[0:1], v0, v[58:59]
	v_lshlrev_b32_e32 v0, 20, v0
	v_lshlrev_b32_e32 v1, 24, v58
	v_bfrev_b32_e32 v17, 60
	v_and_b32_e32 v0, 0x700000, v0
	v_and_b32_e32 v1, 0x80000000, v1
	v_lshl_add_u32 v16, v16, 23, v17
	v_or3_b32 v0, v1, v16, v0
.LBB4_872:                              ;   in Loop: Header=BB4_580 Depth=4
	s_or_b64 exec, exec, s[66:67]
.LBB4_873:                              ;   in Loop: Header=BB4_580 Depth=4
	s_or_b64 exec, exec, s[64:65]
.LBB4_874:                              ;   in Loop: Header=BB4_580 Depth=4
	s_or_b64 exec, exec, s[28:29]
	v_cmp_ne_u16_sdwa vcc, v19, v59 src0_sel:BYTE_0 src1_sel:DWORD
	s_and_saveexec_b64 s[28:29], vcc
	s_cbranch_execz .LBB4_880
; %bb.875:                              ;   in Loop: Header=BB4_580 Depth=4
	v_cmp_ne_u16_sdwa vcc, v19, s91 src0_sel:BYTE_0 src1_sel:DWORD
	v_bfrev_b32_e32 v3, 1
	s_and_saveexec_b64 s[64:65], vcc
	s_cbranch_execz .LBB4_879
; %bb.876:                              ;   in Loop: Header=BB4_580 Depth=4
	v_and_b32_e32 v1, 0x7f, v19
	v_cmp_ne_u32_e32 vcc, s92, v1
	v_mov_b32_e32 v3, 0x7f800001
	s_and_saveexec_b64 s[66:67], vcc
	s_cbranch_execz .LBB4_878
; %bb.877:                              ;   in Loop: Header=BB4_580 Depth=4
	v_and_b32_e32 v3, 7, v19
	v_ffbh_u32_e32 v3, v3
	v_min_u32_e32 v3, 32, v3
	v_lshrrev_b32_e32 v20, 3, v1
	v_subrev_u32_e32 v31, 28, v3
	v_sub_u32_e32 v3, 29, v3
	v_cmp_gt_u32_e32 vcc, 8, v1
	v_mov_b32_e32 v16, v19
	v_mov_b32_e32 v17, v59
	v_cndmask_b32_e32 v1, v20, v3, vcc
	v_cndmask_b32_e32 v3, 0, v31, vcc
	v_lshlrev_b64 v[32:33], v3, v[16:17]
	v_lshlrev_b32_e32 v3, 20, v32
	v_lshlrev_b32_e32 v16, 24, v16
	v_bfrev_b32_e32 v17, 60
	v_and_b32_e32 v3, 0x700000, v3
	v_and_b32_e32 v16, 0x80000000, v16
	v_lshl_add_u32 v1, v1, 23, v17
	v_or3_b32 v3, v16, v1, v3
.LBB4_878:                              ;   in Loop: Header=BB4_580 Depth=4
	s_or_b64 exec, exec, s[66:67]
.LBB4_879:                              ;   in Loop: Header=BB4_580 Depth=4
	s_or_b64 exec, exec, s[64:65]
.LBB4_880:                              ;   in Loop: Header=BB4_580 Depth=4
	s_or_b64 exec, exec, s[28:29]
	v_add_f32_e32 v3, v0, v3
	v_and_b32_sdwa v0, v3, s91 dst_sel:DWORD dst_unused:UNUSED_PAD src0_sel:BYTE_3 src1_sel:DWORD
	v_and_b32_e32 v32, 0x7f800000, v3
	v_mov_b32_e32 v33, v59
	v_and_b32_e32 v16, 0x7fffff, v3
	v_mov_b32_e32 v17, v59
	v_or_b32_e32 v43, 0x7e, v0
	v_cmp_ne_u64_e32 vcc, s[54:55], v[32:33]
	s_and_saveexec_b64 s[28:29], vcc
	s_xor_b64 s[64:65], exec, s[28:29]
	s_cbranch_execz .LBB4_890
; %bb.881:                              ;   in Loop: Header=BB4_580 Depth=4
	v_and_b32_e32 v32, 0x7fffffff, v3
	v_mov_b32_e32 v33, v59
	v_cmp_gt_u64_e32 vcc, s[56:57], v[32:33]
	s_and_saveexec_b64 s[66:67], vcc
	s_cbranch_execz .LBB4_889
; %bb.882:                              ;   in Loop: Header=BB4_580 Depth=4
	v_cmp_ne_u32_e32 vcc, 0, v3
	v_mov_b32_e32 v43, 0
	s_and_saveexec_b64 s[68:69], vcc
	s_cbranch_execz .LBB4_888
; %bb.883:                              ;   in Loop: Header=BB4_580 Depth=4
	v_bfe_u32 v1, v3, 23, 8
	v_sub_u32_e32 v20, 0x79, v1
	v_cmp_gt_u32_e32 vcc, s93, v1
	v_add_u32_e32 v3, 0xffffff81, v1
	v_cndmask_b32_e32 v20, 0, v20, vcc
	v_cmp_eq_u32_e32 vcc, 0, v1
	v_mov_b32_e32 v1, 0xffffff82
	v_cndmask_b32_e32 v1, v3, v1, vcc
	v_mov_b32_e32 v3, 0x78
	v_cndmask_b32_e32 v3, v20, v3, vcc
	v_add_u32_e32 v20, 20, v3
	v_or_b32_e32 v31, 0x800000, v16
	v_lshlrev_b64 v[32:33], v20, -1
	v_cndmask_b32_e32 v16, v31, v16, vcc
	v_not_b32_e32 v20, v33
	v_not_b32_e32 v31, v32
	v_and_b32_e32 v33, 0, v20
	v_and_b32_e32 v32, v16, v31
	v_add_u32_e32 v20, 19, v3
	v_lshrrev_b64 v[16:17], v3, v[16:17]
	v_lshlrev_b64 v[34:35], v20, 1
	v_lshrrev_b32_e32 v20, 23, v16
	v_add3_u32 v31, v3, v1, v20
	v_bfe_u32 v1, v16, 20, 1
	v_add_u32_e32 v1, -1, v1
	v_cmp_eq_u64_e32 vcc, v[32:33], v[34:35]
	v_cndmask_b32_e32 v1, 0, v1, vcc
	v_add_u32_e32 v1, v1, v16
	v_and_b32_e32 v1, 0xfffff, v1
	v_add_co_u32_e32 v16, vcc, v1, v16
	v_add_u32_e32 v20, 6, v31
	v_addc_co_u32_e32 v17, vcc, 0, v17, vcc
	v_cmp_ne_u32_e32 vcc, 0, v20
                                        ; implicit-def: $vgpr3
	s_and_saveexec_b64 s[28:29], vcc
	s_xor_b64 s[28:29], exec, s[28:29]
; %bb.884:                              ;   in Loop: Header=BB4_580 Depth=4
	v_add_u32_e32 v1, 7, v31
	v_cmp_lt_u64_e32 vcc, s[58:59], v[16:17]
	v_cndmask_b32_e32 v3, v20, v1, vcc
	v_cndmask_b32_e64 v1, 0, 1, vcc
	v_lshrrev_b64 v[16:17], v1, v[16:17]
; %bb.885:                              ;   in Loop: Header=BB4_580 Depth=4
	s_andn2_saveexec_b64 s[28:29], s[28:29]
; %bb.886:                              ;   in Loop: Header=BB4_580 Depth=4
	v_bfe_u32 v3, v16, 23, 1
; %bb.887:                              ;   in Loop: Header=BB4_580 Depth=4
	s_or_b64 exec, exec, s[28:29]
	v_lshrrev_b64 v[16:17], 20, v[16:17]
	v_cmp_gt_i32_e32 vcc, 16, v3
	v_cndmask_b32_e32 v17, 0, v17, vcc
	v_cndmask_b32_e32 v16, 7, v16, vcc
	v_min_i32_e32 v1, 15, v3
	v_cmp_eq_u32_e32 vcc, 0, v3
	v_cmp_eq_u64_e64 s[28:29], 0, v[16:17]
	v_lshlrev_b32_e32 v1, 3, v1
	v_and_or_b32 v1, v16, 7, v1
	s_and_b64 s[28:29], vcc, s[28:29]
	v_cndmask_b32_e64 v1, v1, 0, s[28:29]
	v_or_b32_e32 v43, v1, v0
.LBB4_888:                              ;   in Loop: Header=BB4_580 Depth=4
	s_or_b64 exec, exec, s[68:69]
.LBB4_889:                              ;   in Loop: Header=BB4_580 Depth=4
	s_or_b64 exec, exec, s[66:67]
                                        ; implicit-def: $vgpr3
                                        ; implicit-def: $vgpr16_vgpr17
.LBB4_890:                              ;   in Loop: Header=BB4_580 Depth=4
	s_andn2_saveexec_b64 s[28:29], s[64:65]
; %bb.891:                              ;   in Loop: Header=BB4_580 Depth=4
	v_or_b32_sdwa v0, v3, s92 dst_sel:DWORD dst_unused:UNUSED_PAD src0_sel:BYTE_3 src1_sel:DWORD
	v_cmp_eq_u64_e32 vcc, 0, v[16:17]
	v_cndmask_b32_e32 v43, v0, v43, vcc
; %bb.892:                              ;   in Loop: Header=BB4_580 Depth=4
	s_or_b64 exec, exec, s[28:29]
	v_lshrrev_b16_e32 v16, 8, v58
	v_cmp_ne_u16_e32 vcc, 0, v16
	v_mov_b32_e32 v0, 0
	v_mov_b32_e32 v3, 0
	s_and_saveexec_b64 s[28:29], vcc
	s_cbranch_execz .LBB4_898
; %bb.893:                              ;   in Loop: Header=BB4_580 Depth=4
	v_cmp_ne_u16_e32 vcc, s91, v16
	v_bfrev_b32_e32 v3, 1
	s_and_saveexec_b64 s[64:65], vcc
	s_cbranch_execz .LBB4_897
; %bb.894:                              ;   in Loop: Header=BB4_580 Depth=4
	v_and_b32_e32 v1, 0x7f, v16
	v_cmp_ne_u32_e32 vcc, s92, v1
	v_mov_b32_e32 v3, 0x7f800001
	s_and_saveexec_b64 s[66:67], vcc
	s_cbranch_execz .LBB4_896
; %bb.895:                              ;   in Loop: Header=BB4_580 Depth=4
	v_and_b32_e32 v3, 7, v16
	v_ffbh_u32_e32 v17, v3
	v_min_u32_e32 v31, 32, v17
	v_subrev_u32_e32 v17, 28, v31
	v_lshlrev_b64 v[16:17], v17, v[16:17]
	v_lshrrev_b32_e32 v20, 3, v1
	v_sub_u32_e32 v17, 29, v31
	v_and_b32_e32 v16, 7, v16
	v_cmp_gt_u32_e32 vcc, 8, v1
	v_cndmask_b32_e32 v1, v20, v17, vcc
	v_cndmask_b32_e32 v3, v3, v16, vcc
	v_lshlrev_b32_e32 v16, 16, v58
	v_bfrev_b32_e32 v17, 60
	v_lshlrev_b32_e32 v3, 20, v3
	v_and_b32_e32 v16, 0x80000000, v16
	v_lshl_add_u32 v1, v1, 23, v17
	v_or3_b32 v3, v16, v1, v3
.LBB4_896:                              ;   in Loop: Header=BB4_580 Depth=4
	s_or_b64 exec, exec, s[66:67]
.LBB4_897:                              ;   in Loop: Header=BB4_580 Depth=4
	s_or_b64 exec, exec, s[64:65]
.LBB4_898:                              ;   in Loop: Header=BB4_580 Depth=4
	s_or_b64 exec, exec, s[28:29]
	v_mov_b32_e32 v16, v19
	v_lshrrev_b16_e32 v20, 8, v16
	v_cmp_ne_u16_e32 vcc, 0, v20
	s_and_saveexec_b64 s[28:29], vcc
	s_cbranch_execz .LBB4_904
; %bb.899:                              ;   in Loop: Header=BB4_580 Depth=4
	v_cmp_ne_u16_e32 vcc, s91, v20
	v_bfrev_b32_e32 v0, 1
	s_and_saveexec_b64 s[64:65], vcc
	s_cbranch_execz .LBB4_903
; %bb.900:                              ;   in Loop: Header=BB4_580 Depth=4
	v_and_b32_e32 v1, 0x7f, v20
	v_cmp_ne_u32_e32 vcc, s92, v1
	v_mov_b32_e32 v0, 0x7f800001
	s_and_saveexec_b64 s[66:67], vcc
	s_cbranch_execz .LBB4_902
; %bb.901:                              ;   in Loop: Header=BB4_580 Depth=4
	v_and_b32_e32 v0, 7, v20
	v_ffbh_u32_e32 v31, v0
	v_min_u32_e32 v31, 32, v31
	v_subrev_u32_e32 v32, 28, v31
	v_lshlrev_b64 v[32:33], v32, v[20:21]
	v_lshrrev_b32_e32 v17, 3, v1
	v_sub_u32_e32 v20, 29, v31
	v_and_b32_e32 v31, 7, v32
	v_cmp_gt_u32_e32 vcc, 8, v1
	v_cndmask_b32_e32 v1, v17, v20, vcc
	v_cndmask_b32_e32 v0, v0, v31, vcc
	v_lshlrev_b32_e32 v16, 16, v16
	v_bfrev_b32_e32 v17, 60
	v_lshlrev_b32_e32 v0, 20, v0
	v_and_b32_e32 v16, 0x80000000, v16
	v_lshl_add_u32 v1, v1, 23, v17
	v_or3_b32 v0, v16, v1, v0
.LBB4_902:                              ;   in Loop: Header=BB4_580 Depth=4
	s_or_b64 exec, exec, s[66:67]
.LBB4_903:                              ;   in Loop: Header=BB4_580 Depth=4
	s_or_b64 exec, exec, s[64:65]
.LBB4_904:                              ;   in Loop: Header=BB4_580 Depth=4
	s_or_b64 exec, exec, s[28:29]
	v_add_f32_e32 v3, v3, v0
	v_and_b32_sdwa v0, v3, s91 dst_sel:DWORD dst_unused:UNUSED_PAD src0_sel:BYTE_3 src1_sel:DWORD
	v_and_b32_e32 v16, 0x7f800000, v3
	v_mov_b32_e32 v17, v59
	v_and_b32_e32 v58, 0x7fffff, v3
	v_or_b32_e32 v20, 0x7e, v0
	v_cmp_ne_u64_e32 vcc, s[54:55], v[16:17]
	s_and_saveexec_b64 s[28:29], vcc
	s_xor_b64 s[64:65], exec, s[28:29]
	s_cbranch_execz .LBB4_914
; %bb.905:                              ;   in Loop: Header=BB4_580 Depth=4
	v_and_b32_e32 v16, 0x7fffffff, v3
	v_mov_b32_e32 v17, v59
	v_cmp_gt_u64_e32 vcc, s[56:57], v[16:17]
	s_and_saveexec_b64 s[66:67], vcc
	s_cbranch_execz .LBB4_913
; %bb.906:                              ;   in Loop: Header=BB4_580 Depth=4
	v_cmp_ne_u32_e32 vcc, 0, v3
	v_mov_b32_e32 v20, 0
	s_and_saveexec_b64 s[68:69], vcc
	s_cbranch_execz .LBB4_912
; %bb.907:                              ;   in Loop: Header=BB4_580 Depth=4
	v_bfe_u32 v1, v3, 23, 8
	v_sub_u32_e32 v16, 0x79, v1
	v_cmp_gt_u32_e32 vcc, s93, v1
	v_add_u32_e32 v3, 0xffffff81, v1
	v_cndmask_b32_e32 v16, 0, v16, vcc
	v_cmp_eq_u32_e32 vcc, 0, v1
	v_mov_b32_e32 v1, 0xffffff82
	v_cndmask_b32_e32 v1, v3, v1, vcc
	v_mov_b32_e32 v3, 0x78
	v_or_b32_e32 v17, 0x800000, v58
	v_cndmask_b32_e32 v3, v16, v3, vcc
	v_cndmask_b32_e32 v58, v17, v58, vcc
	v_add_u32_e32 v16, 20, v3
	v_lshlrev_b64 v[16:17], v16, -1
	v_add_u32_e32 v20, 19, v3
	v_lshrrev_b64 v[34:35], v3, v[58:59]
	v_not_b32_e32 v17, v17
	v_not_b32_e32 v16, v16
	v_lshlrev_b64 v[32:33], v20, 1
	v_lshrrev_b32_e32 v20, 23, v34
	v_and_b32_e32 v17, 0, v17
	v_and_b32_e32 v16, v58, v16
	v_add3_u32 v31, v3, v1, v20
	v_bfe_u32 v1, v34, 20, 1
	v_add_u32_e32 v1, -1, v1
	v_cmp_eq_u64_e32 vcc, v[16:17], v[32:33]
	v_cndmask_b32_e32 v1, 0, v1, vcc
	v_add_u32_e32 v1, v1, v34
	v_and_b32_e32 v1, 0xfffff, v1
	v_add_co_u32_e32 v16, vcc, v1, v34
	v_add_u32_e32 v20, 6, v31
	v_addc_co_u32_e32 v17, vcc, 0, v35, vcc
	v_cmp_ne_u32_e32 vcc, 0, v20
                                        ; implicit-def: $vgpr3
	s_and_saveexec_b64 s[28:29], vcc
	s_xor_b64 s[28:29], exec, s[28:29]
; %bb.908:                              ;   in Loop: Header=BB4_580 Depth=4
	v_add_u32_e32 v1, 7, v31
	v_cmp_lt_u64_e32 vcc, s[58:59], v[16:17]
	v_cndmask_b32_e32 v3, v20, v1, vcc
	v_cndmask_b32_e64 v1, 0, 1, vcc
	v_lshrrev_b64 v[16:17], v1, v[16:17]
; %bb.909:                              ;   in Loop: Header=BB4_580 Depth=4
	s_andn2_saveexec_b64 s[28:29], s[28:29]
; %bb.910:                              ;   in Loop: Header=BB4_580 Depth=4
	v_bfe_u32 v3, v16, 23, 1
; %bb.911:                              ;   in Loop: Header=BB4_580 Depth=4
	s_or_b64 exec, exec, s[28:29]
	v_lshrrev_b64 v[16:17], 20, v[16:17]
	v_cmp_gt_i32_e32 vcc, 16, v3
	v_cndmask_b32_e32 v17, 0, v17, vcc
	v_cndmask_b32_e32 v16, 7, v16, vcc
	v_min_i32_e32 v1, 15, v3
	v_cmp_eq_u32_e32 vcc, 0, v3
	v_cmp_eq_u64_e64 s[28:29], 0, v[16:17]
	v_lshlrev_b32_e32 v1, 3, v1
	v_and_or_b32 v1, v16, 7, v1
	s_and_b64 s[28:29], vcc, s[28:29]
	v_cndmask_b32_e64 v1, v1, 0, s[28:29]
	v_or_b32_e32 v20, v1, v0
.LBB4_912:                              ;   in Loop: Header=BB4_580 Depth=4
	s_or_b64 exec, exec, s[68:69]
.LBB4_913:                              ;   in Loop: Header=BB4_580 Depth=4
	s_or_b64 exec, exec, s[66:67]
                                        ; implicit-def: $vgpr3
.LBB4_914:                              ;   in Loop: Header=BB4_580 Depth=4
	s_andn2_saveexec_b64 s[28:29], s[64:65]
; %bb.915:                              ;   in Loop: Header=BB4_580 Depth=4
	v_or_b32_sdwa v0, v3, s92 dst_sel:DWORD dst_unused:UNUSED_PAD src0_sel:BYTE_3 src1_sel:DWORD
	v_cmp_eq_u64_e32 vcc, 0, v[58:59]
	v_cndmask_b32_e32 v20, v0, v20, vcc
; %bb.916:                              ;   in Loop: Header=BB4_580 Depth=4
	s_or_b64 exec, exec, s[28:29]
	v_lshrrev_b32_e32 v16, 16, v23
	v_cmp_ne_u16_sdwa vcc, v16, v59 src0_sel:BYTE_0 src1_sel:DWORD
	v_mov_b32_e32 v0, 0
	v_mov_b32_e32 v3, 0
	s_and_saveexec_b64 s[28:29], vcc
	s_cbranch_execz .LBB4_922
; %bb.917:                              ;   in Loop: Header=BB4_580 Depth=4
	v_cmp_ne_u16_sdwa vcc, v16, s91 src0_sel:BYTE_0 src1_sel:DWORD
	v_bfrev_b32_e32 v3, 1
	s_and_saveexec_b64 s[64:65], vcc
	s_cbranch_execz .LBB4_921
; %bb.918:                              ;   in Loop: Header=BB4_580 Depth=4
	v_bfe_u32 v1, v23, 16, 7
	v_cmp_ne_u32_e32 vcc, s92, v1
	v_mov_b32_e32 v3, 0x7f800001
	s_and_saveexec_b64 s[66:67], vcc
	s_cbranch_execz .LBB4_920
; %bb.919:                              ;   in Loop: Header=BB4_580 Depth=4
	v_and_b32_e32 v3, 7, v16
	v_ffbh_u32_e32 v31, v3
	v_min_u32_e32 v31, 32, v31
	v_lshrrev_b32_e32 v17, 3, v1
	v_subrev_u32_e32 v32, 28, v31
	v_lshlrev_b64 v[32:33], v32, v[16:17]
	v_sub_u32_e32 v31, 29, v31
	v_and_b32_e32 v32, 7, v32
	v_cmp_gt_u32_e32 vcc, 8, v1
	v_cndmask_b32_e32 v1, v17, v31, vcc
	v_cndmask_b32_e32 v3, v3, v32, vcc
	v_lshlrev_b32_e32 v16, 24, v16
	v_bfrev_b32_e32 v17, 60
	v_lshlrev_b32_e32 v3, 20, v3
	v_and_b32_e32 v16, 0x80000000, v16
	v_lshl_add_u32 v1, v1, 23, v17
	v_or3_b32 v3, v16, v1, v3
.LBB4_920:                              ;   in Loop: Header=BB4_580 Depth=4
	s_or_b64 exec, exec, s[66:67]
.LBB4_921:                              ;   in Loop: Header=BB4_580 Depth=4
	s_or_b64 exec, exec, s[64:65]
.LBB4_922:                              ;   in Loop: Header=BB4_580 Depth=4
	s_or_b64 exec, exec, s[28:29]
	v_lshrrev_b32_e32 v16, 16, v19
	v_cmp_ne_u16_sdwa vcc, v16, v59 src0_sel:BYTE_0 src1_sel:DWORD
	s_and_saveexec_b64 s[28:29], vcc
	s_cbranch_execz .LBB4_928
; %bb.923:                              ;   in Loop: Header=BB4_580 Depth=4
	v_cmp_ne_u16_sdwa vcc, v16, s91 src0_sel:BYTE_0 src1_sel:DWORD
	v_bfrev_b32_e32 v0, 1
	s_and_saveexec_b64 s[64:65], vcc
	s_cbranch_execz .LBB4_927
; %bb.924:                              ;   in Loop: Header=BB4_580 Depth=4
	v_bfe_u32 v1, v19, 16, 7
	v_cmp_ne_u32_e32 vcc, s92, v1
	v_mov_b32_e32 v0, 0x7f800001
	s_and_saveexec_b64 s[66:67], vcc
	s_cbranch_execz .LBB4_926
; %bb.925:                              ;   in Loop: Header=BB4_580 Depth=4
	v_and_b32_e32 v0, 7, v16
	v_ffbh_u32_e32 v17, v0
	v_min_u32_e32 v32, 32, v17
	v_subrev_u32_e32 v17, 28, v32
	v_lshlrev_b64 v[16:17], v17, v[16:17]
	v_lshrrev_b32_e32 v31, 3, v1
	v_sub_u32_e32 v17, 29, v32
	v_and_b32_e32 v16, 7, v16
	v_cmp_gt_u32_e32 vcc, 8, v1
	v_cndmask_b32_e32 v1, v31, v17, vcc
	v_cndmask_b32_e32 v0, v0, v16, vcc
	v_lshlrev_b32_e32 v16, 8, v19
	v_bfrev_b32_e32 v17, 60
	v_lshlrev_b32_e32 v0, 20, v0
	v_and_b32_e32 v16, 0x80000000, v16
	v_lshl_add_u32 v1, v1, 23, v17
	v_or3_b32 v0, v16, v1, v0
.LBB4_926:                              ;   in Loop: Header=BB4_580 Depth=4
	s_or_b64 exec, exec, s[66:67]
.LBB4_927:                              ;   in Loop: Header=BB4_580 Depth=4
	s_or_b64 exec, exec, s[64:65]
.LBB4_928:                              ;   in Loop: Header=BB4_580 Depth=4
	s_or_b64 exec, exec, s[28:29]
	v_add_f32_e32 v3, v3, v0
	v_and_b32_sdwa v0, v3, s91 dst_sel:DWORD dst_unused:UNUSED_PAD src0_sel:BYTE_3 src1_sel:DWORD
	v_and_b32_e32 v16, 0x7f800000, v3
	v_mov_b32_e32 v17, v59
	v_and_b32_e32 v58, 0x7fffff, v3
	v_or_b32_e32 v56, 0x7e, v0
	v_cmp_ne_u64_e32 vcc, s[54:55], v[16:17]
	s_and_saveexec_b64 s[28:29], vcc
	s_xor_b64 s[64:65], exec, s[28:29]
	s_cbranch_execz .LBB4_938
; %bb.929:                              ;   in Loop: Header=BB4_580 Depth=4
	v_and_b32_e32 v16, 0x7fffffff, v3
	v_mov_b32_e32 v17, v59
	v_cmp_gt_u64_e32 vcc, s[56:57], v[16:17]
	s_and_saveexec_b64 s[66:67], vcc
	s_cbranch_execz .LBB4_937
; %bb.930:                              ;   in Loop: Header=BB4_580 Depth=4
	v_cmp_ne_u32_e32 vcc, 0, v3
	v_mov_b32_e32 v56, 0
	s_and_saveexec_b64 s[68:69], vcc
	s_cbranch_execz .LBB4_936
; %bb.931:                              ;   in Loop: Header=BB4_580 Depth=4
	v_bfe_u32 v1, v3, 23, 8
	v_sub_u32_e32 v16, 0x79, v1
	v_cmp_gt_u32_e32 vcc, s93, v1
	v_add_u32_e32 v3, 0xffffff81, v1
	v_cndmask_b32_e32 v16, 0, v16, vcc
	v_cmp_eq_u32_e32 vcc, 0, v1
	v_mov_b32_e32 v1, 0xffffff82
	v_cndmask_b32_e32 v1, v3, v1, vcc
	v_mov_b32_e32 v3, 0x78
	v_or_b32_e32 v17, 0x800000, v58
	v_cndmask_b32_e32 v3, v16, v3, vcc
	v_cndmask_b32_e32 v58, v17, v58, vcc
	v_add_u32_e32 v16, 20, v3
	v_lshlrev_b64 v[16:17], v16, -1
	v_add_u32_e32 v31, 19, v3
	v_lshrrev_b64 v[34:35], v3, v[58:59]
	v_not_b32_e32 v17, v17
	v_not_b32_e32 v16, v16
	v_lshlrev_b64 v[32:33], v31, 1
	v_lshrrev_b32_e32 v31, 23, v34
	v_and_b32_e32 v17, 0, v17
	v_and_b32_e32 v16, v58, v16
	v_add3_u32 v54, v3, v1, v31
	v_bfe_u32 v1, v34, 20, 1
	v_add_u32_e32 v1, -1, v1
	v_cmp_eq_u64_e32 vcc, v[16:17], v[32:33]
	v_cndmask_b32_e32 v1, 0, v1, vcc
	v_add_u32_e32 v1, v1, v34
	v_and_b32_e32 v1, 0xfffff, v1
	v_add_co_u32_e32 v16, vcc, v1, v34
	v_add_u32_e32 v31, 6, v54
	v_addc_co_u32_e32 v17, vcc, 0, v35, vcc
	v_cmp_ne_u32_e32 vcc, 0, v31
                                        ; implicit-def: $vgpr3
	s_and_saveexec_b64 s[28:29], vcc
	s_xor_b64 s[28:29], exec, s[28:29]
; %bb.932:                              ;   in Loop: Header=BB4_580 Depth=4
	v_add_u32_e32 v1, 7, v54
	v_cmp_lt_u64_e32 vcc, s[58:59], v[16:17]
	v_cndmask_b32_e32 v3, v31, v1, vcc
	v_cndmask_b32_e64 v1, 0, 1, vcc
	v_lshrrev_b64 v[16:17], v1, v[16:17]
; %bb.933:                              ;   in Loop: Header=BB4_580 Depth=4
	s_andn2_saveexec_b64 s[28:29], s[28:29]
; %bb.934:                              ;   in Loop: Header=BB4_580 Depth=4
	v_bfe_u32 v3, v16, 23, 1
; %bb.935:                              ;   in Loop: Header=BB4_580 Depth=4
	s_or_b64 exec, exec, s[28:29]
	v_lshrrev_b64 v[16:17], 20, v[16:17]
	v_cmp_gt_i32_e32 vcc, 16, v3
	v_min_i32_e32 v1, 15, v3
	v_cndmask_b32_e32 v17, 0, v17, vcc
	v_cndmask_b32_e32 v16, 7, v16, vcc
	v_lshlrev_b32_e32 v1, 3, v1
	v_cmp_eq_u32_e32 vcc, 0, v3
	v_cmp_eq_u64_e64 s[28:29], 0, v[16:17]
	v_and_b32_e32 v1, 0xf8, v1
	v_and_or_b32 v1, v16, 7, v1
	s_and_b64 s[28:29], vcc, s[28:29]
	v_cndmask_b32_e64 v1, v1, 0, s[28:29]
	v_or_b32_e32 v56, v1, v0
.LBB4_936:                              ;   in Loop: Header=BB4_580 Depth=4
	s_or_b64 exec, exec, s[68:69]
.LBB4_937:                              ;   in Loop: Header=BB4_580 Depth=4
	s_or_b64 exec, exec, s[66:67]
                                        ; implicit-def: $vgpr3
.LBB4_938:                              ;   in Loop: Header=BB4_580 Depth=4
	s_andn2_saveexec_b64 s[28:29], s[64:65]
; %bb.939:                              ;   in Loop: Header=BB4_580 Depth=4
	v_or_b32_sdwa v0, v3, s92 dst_sel:DWORD dst_unused:UNUSED_PAD src0_sel:BYTE_3 src1_sel:DWORD
	v_cmp_eq_u64_e32 vcc, 0, v[58:59]
	v_cndmask_b32_e32 v56, v0, v56, vcc
; %bb.940:                              ;   in Loop: Header=BB4_580 Depth=4
	s_or_b64 exec, exec, s[28:29]
	v_cmp_lt_u64_e32 vcc, s[44:45], v[22:23]
	v_mov_b32_e32 v0, 0
	v_mov_b32_e32 v3, 0
	s_and_saveexec_b64 s[28:29], vcc
	s_cbranch_execz .LBB4_946
; %bb.941:                              ;   in Loop: Header=BB4_580 Depth=4
	v_lshrrev_b32_e32 v16, 24, v23
	v_cmp_ne_u32_e32 vcc, s91, v16
	v_bfrev_b32_e32 v3, 1
	s_and_saveexec_b64 s[64:65], vcc
	s_cbranch_execz .LBB4_945
; %bb.942:                              ;   in Loop: Header=BB4_580 Depth=4
	v_bfe_u32 v1, v23, 24, 7
	v_cmp_ne_u32_e32 vcc, s92, v1
	v_mov_b32_e32 v3, 0x7f800001
	s_and_saveexec_b64 s[66:67], vcc
	s_cbranch_execz .LBB4_944
; %bb.943:                              ;   in Loop: Header=BB4_580 Depth=4
	v_and_b32_e32 v3, 7, v16
	v_ffbh_u32_e32 v22, v3
	v_min_u32_e32 v31, 32, v22
	v_lshrrev_b32_e32 v17, 3, v1
	v_subrev_u32_e32 v22, 28, v31
	v_lshlrev_b64 v[22:23], v22, v[16:17]
	v_sub_u32_e32 v23, 29, v31
	v_and_b32_e32 v22, 7, v22
	v_cmp_gt_u32_e32 vcc, 8, v1
	v_cndmask_b32_e32 v1, v17, v23, vcc
	v_cndmask_b32_e32 v3, v3, v22, vcc
	v_lshlrev_b32_e32 v16, 24, v16
	v_bfrev_b32_e32 v17, 60
	v_lshlrev_b32_e32 v3, 20, v3
	v_and_b32_e32 v16, 0x80000000, v16
	v_lshl_add_u32 v1, v1, 23, v17
	v_or3_b32 v3, v16, v1, v3
.LBB4_944:                              ;   in Loop: Header=BB4_580 Depth=4
	s_or_b64 exec, exec, s[66:67]
.LBB4_945:                              ;   in Loop: Header=BB4_580 Depth=4
	s_or_b64 exec, exec, s[64:65]
.LBB4_946:                              ;   in Loop: Header=BB4_580 Depth=4
	s_or_b64 exec, exec, s[28:29]
	v_cmp_lt_u64_e32 vcc, s[44:45], v[18:19]
	s_and_saveexec_b64 s[28:29], vcc
	s_cbranch_execz .LBB4_952
; %bb.947:                              ;   in Loop: Header=BB4_580 Depth=4
	v_lshrrev_b32_e32 v16, 24, v19
	v_cmp_ne_u32_e32 vcc, s91, v16
	v_bfrev_b32_e32 v0, 1
	s_and_saveexec_b64 s[64:65], vcc
	s_cbranch_execz .LBB4_951
; %bb.948:                              ;   in Loop: Header=BB4_580 Depth=4
	v_bfe_u32 v1, v19, 24, 7
	v_cmp_ne_u32_e32 vcc, s92, v1
	v_mov_b32_e32 v0, 0x7f800001
	s_and_saveexec_b64 s[66:67], vcc
	s_cbranch_execz .LBB4_950
; %bb.949:                              ;   in Loop: Header=BB4_580 Depth=4
	v_and_b32_e32 v0, 7, v16
	v_ffbh_u32_e32 v18, v0
	v_min_u32_e32 v22, 32, v18
	v_lshrrev_b32_e32 v17, 3, v1
	v_subrev_u32_e32 v18, 28, v22
	v_lshlrev_b64 v[18:19], v18, v[16:17]
	v_sub_u32_e32 v19, 29, v22
	v_and_b32_e32 v18, 7, v18
	v_cmp_gt_u32_e32 vcc, 8, v1
	v_cndmask_b32_e32 v1, v17, v19, vcc
	v_cndmask_b32_e32 v0, v0, v18, vcc
	v_lshlrev_b32_e32 v16, 24, v16
	v_bfrev_b32_e32 v17, 60
	v_lshlrev_b32_e32 v0, 20, v0
	v_and_b32_e32 v16, 0x80000000, v16
	v_lshl_add_u32 v1, v1, 23, v17
	v_or3_b32 v0, v16, v1, v0
.LBB4_950:                              ;   in Loop: Header=BB4_580 Depth=4
	s_or_b64 exec, exec, s[66:67]
.LBB4_951:                              ;   in Loop: Header=BB4_580 Depth=4
	s_or_b64 exec, exec, s[64:65]
.LBB4_952:                              ;   in Loop: Header=BB4_580 Depth=4
	s_or_b64 exec, exec, s[28:29]
	v_add_f32_e32 v3, v3, v0
	v_and_b32_sdwa v0, v3, s91 dst_sel:DWORD dst_unused:UNUSED_PAD src0_sel:BYTE_3 src1_sel:DWORD
	v_and_b32_e32 v16, 0x7f800000, v3
	v_mov_b32_e32 v17, v59
	v_and_b32_e32 v58, 0x7fffff, v3
	v_or_b32_e32 v19, 0x7e, v0
	v_cmp_ne_u64_e32 vcc, s[54:55], v[16:17]
	s_and_saveexec_b64 s[28:29], vcc
	s_xor_b64 s[64:65], exec, s[28:29]
	s_cbranch_execz .LBB4_962
; %bb.953:                              ;   in Loop: Header=BB4_580 Depth=4
	v_and_b32_e32 v16, 0x7fffffff, v3
	v_mov_b32_e32 v17, v59
	v_cmp_gt_u64_e32 vcc, s[56:57], v[16:17]
	s_and_saveexec_b64 s[66:67], vcc
	s_cbranch_execz .LBB4_961
; %bb.954:                              ;   in Loop: Header=BB4_580 Depth=4
	v_cmp_ne_u32_e32 vcc, 0, v3
	v_mov_b32_e32 v19, 0
	s_and_saveexec_b64 s[68:69], vcc
	s_cbranch_execz .LBB4_960
; %bb.955:                              ;   in Loop: Header=BB4_580 Depth=4
	v_bfe_u32 v1, v3, 23, 8
	v_sub_u32_e32 v16, 0x79, v1
	v_cmp_gt_u32_e32 vcc, s93, v1
	v_add_u32_e32 v3, 0xffffff81, v1
	v_cndmask_b32_e32 v16, 0, v16, vcc
	v_cmp_eq_u32_e32 vcc, 0, v1
	v_mov_b32_e32 v1, 0xffffff82
	v_cndmask_b32_e32 v1, v3, v1, vcc
	v_mov_b32_e32 v3, 0x78
	v_or_b32_e32 v17, 0x800000, v58
	v_cndmask_b32_e32 v3, v16, v3, vcc
	v_cndmask_b32_e32 v58, v17, v58, vcc
	v_add_u32_e32 v16, 20, v3
	v_lshlrev_b64 v[16:17], v16, -1
	v_add_u32_e32 v18, 19, v3
	v_lshrrev_b64 v[32:33], v3, v[58:59]
	v_not_b32_e32 v17, v17
	v_not_b32_e32 v16, v16
	v_lshlrev_b64 v[22:23], v18, 1
	v_lshrrev_b32_e32 v18, 23, v32
	v_and_b32_e32 v17, 0, v17
	v_and_b32_e32 v16, v58, v16
	v_add3_u32 v19, v3, v1, v18
	v_bfe_u32 v1, v32, 20, 1
	v_add_u32_e32 v1, -1, v1
	v_cmp_eq_u64_e32 vcc, v[16:17], v[22:23]
	v_cndmask_b32_e32 v1, 0, v1, vcc
	v_add_u32_e32 v1, v1, v32
	v_and_b32_e32 v1, 0xfffff, v1
	v_add_co_u32_e32 v16, vcc, v1, v32
	v_add_u32_e32 v18, 6, v19
	v_addc_co_u32_e32 v17, vcc, 0, v33, vcc
	v_cmp_ne_u32_e32 vcc, 0, v18
                                        ; implicit-def: $vgpr3
	s_and_saveexec_b64 s[28:29], vcc
	s_xor_b64 s[28:29], exec, s[28:29]
; %bb.956:                              ;   in Loop: Header=BB4_580 Depth=4
	v_add_u32_e32 v1, 7, v19
	v_cmp_lt_u64_e32 vcc, s[58:59], v[16:17]
	v_cndmask_b32_e32 v3, v18, v1, vcc
	v_cndmask_b32_e64 v1, 0, 1, vcc
	v_lshrrev_b64 v[16:17], v1, v[16:17]
; %bb.957:                              ;   in Loop: Header=BB4_580 Depth=4
	s_andn2_saveexec_b64 s[28:29], s[28:29]
; %bb.958:                              ;   in Loop: Header=BB4_580 Depth=4
	v_bfe_u32 v3, v16, 23, 1
; %bb.959:                              ;   in Loop: Header=BB4_580 Depth=4
	s_or_b64 exec, exec, s[28:29]
	v_lshrrev_b64 v[16:17], 20, v[16:17]
	v_cmp_gt_i32_e32 vcc, 16, v3
	v_min_i32_e32 v1, 15, v3
	v_cndmask_b32_e32 v17, 0, v17, vcc
	v_cndmask_b32_e32 v16, 7, v16, vcc
	v_lshlrev_b32_e32 v1, 3, v1
	v_cmp_eq_u32_e32 vcc, 0, v3
	v_cmp_eq_u64_e64 s[28:29], 0, v[16:17]
	v_and_b32_e32 v1, 0xf8, v1
	v_and_or_b32 v1, v16, 7, v1
	s_and_b64 s[28:29], vcc, s[28:29]
	v_cndmask_b32_e64 v1, v1, 0, s[28:29]
	v_or_b32_e32 v19, v1, v0
.LBB4_960:                              ;   in Loop: Header=BB4_580 Depth=4
	s_or_b64 exec, exec, s[68:69]
.LBB4_961:                              ;   in Loop: Header=BB4_580 Depth=4
	s_or_b64 exec, exec, s[66:67]
                                        ; implicit-def: $vgpr3
.LBB4_962:                              ;   in Loop: Header=BB4_580 Depth=4
	s_andn2_saveexec_b64 s[28:29], s[64:65]
; %bb.963:                              ;   in Loop: Header=BB4_580 Depth=4
	v_or_b32_sdwa v0, v3, s92 dst_sel:DWORD dst_unused:UNUSED_PAD src0_sel:BYTE_3 src1_sel:DWORD
	v_cmp_eq_u64_e32 vcc, 0, v[58:59]
	v_cndmask_b32_e32 v19, v0, v19, vcc
; %bb.964:                              ;   in Loop: Header=BB4_580 Depth=4
	s_or_b64 exec, exec, s[28:29]
	v_cmp_ne_u16_sdwa vcc, v12, v59 src0_sel:BYTE_0 src1_sel:DWORD
	v_mov_b32_e32 v0, 0
	v_mov_b32_e32 v3, 0
	s_and_saveexec_b64 s[28:29], vcc
	s_cbranch_execz .LBB4_970
; %bb.965:                              ;   in Loop: Header=BB4_580 Depth=4
	v_cmp_ne_u16_sdwa vcc, v12, s91 src0_sel:BYTE_0 src1_sel:DWORD
	v_bfrev_b32_e32 v3, 1
	s_and_saveexec_b64 s[64:65], vcc
	s_cbranch_execz .LBB4_969
; %bb.966:                              ;   in Loop: Header=BB4_580 Depth=4
	v_and_b32_e32 v1, 0x7f, v12
	v_cmp_ne_u32_e32 vcc, s92, v1
	v_mov_b32_e32 v3, 0x7f800001
	s_and_saveexec_b64 s[66:67], vcc
	s_cbranch_execz .LBB4_968
; %bb.967:                              ;   in Loop: Header=BB4_580 Depth=4
	v_and_b32_e32 v3, 7, v12
	v_ffbh_u32_e32 v3, v3
	v_min_u32_e32 v3, 32, v3
	v_lshrrev_b32_e32 v16, 3, v1
	v_subrev_u32_e32 v17, 28, v3
	v_sub_u32_e32 v3, 29, v3
	v_cmp_gt_u32_e32 vcc, 8, v1
	v_cndmask_b32_e32 v1, v16, v3, vcc
	v_cndmask_b32_e32 v3, 0, v17, vcc
	v_lshlrev_b64 v[16:17], v3, v[12:13]
	v_lshlrev_b32_e32 v3, 20, v16
	v_lshlrev_b32_e32 v16, 24, v12
	v_bfrev_b32_e32 v17, 60
	v_and_b32_e32 v3, 0x700000, v3
	v_and_b32_e32 v16, 0x80000000, v16
	v_lshl_add_u32 v1, v1, 23, v17
	v_or3_b32 v3, v16, v1, v3
.LBB4_968:                              ;   in Loop: Header=BB4_580 Depth=4
	s_or_b64 exec, exec, s[66:67]
.LBB4_969:                              ;   in Loop: Header=BB4_580 Depth=4
	s_or_b64 exec, exec, s[64:65]
.LBB4_970:                              ;   in Loop: Header=BB4_580 Depth=4
	s_or_b64 exec, exec, s[28:29]
	v_cmp_ne_u16_sdwa vcc, v8, v59 src0_sel:BYTE_0 src1_sel:DWORD
	s_and_saveexec_b64 s[28:29], vcc
	s_cbranch_execz .LBB4_976
; %bb.971:                              ;   in Loop: Header=BB4_580 Depth=4
	v_cmp_ne_u16_sdwa vcc, v8, s91 src0_sel:BYTE_0 src1_sel:DWORD
	v_bfrev_b32_e32 v0, 1
	s_and_saveexec_b64 s[64:65], vcc
	s_cbranch_execz .LBB4_975
; %bb.972:                              ;   in Loop: Header=BB4_580 Depth=4
	v_and_b32_e32 v1, 0x7f, v8
	v_cmp_ne_u32_e32 vcc, s92, v1
	v_mov_b32_e32 v0, 0x7f800001
	s_and_saveexec_b64 s[66:67], vcc
	s_cbranch_execz .LBB4_974
; %bb.973:                              ;   in Loop: Header=BB4_580 Depth=4
	v_and_b32_e32 v0, 7, v8
	v_ffbh_u32_e32 v0, v0
	v_min_u32_e32 v0, 32, v0
	v_lshrrev_b32_e32 v16, 3, v1
	v_subrev_u32_e32 v17, 28, v0
	v_sub_u32_e32 v0, 29, v0
	v_cmp_gt_u32_e32 vcc, 8, v1
	v_cndmask_b32_e32 v16, v16, v0, vcc
	v_cndmask_b32_e32 v0, 0, v17, vcc
	v_lshlrev_b64 v[0:1], v0, v[8:9]
	v_lshlrev_b32_e32 v0, 20, v0
	v_lshlrev_b32_e32 v1, 24, v8
	v_bfrev_b32_e32 v17, 60
	v_and_b32_e32 v0, 0x700000, v0
	v_and_b32_e32 v1, 0x80000000, v1
	v_lshl_add_u32 v16, v16, 23, v17
	v_or3_b32 v0, v1, v16, v0
.LBB4_974:                              ;   in Loop: Header=BB4_580 Depth=4
	s_or_b64 exec, exec, s[66:67]
.LBB4_975:                              ;   in Loop: Header=BB4_580 Depth=4
	s_or_b64 exec, exec, s[64:65]
.LBB4_976:                              ;   in Loop: Header=BB4_580 Depth=4
	s_or_b64 exec, exec, s[28:29]
	v_add_f32_e32 v3, v3, v0
	v_and_b32_sdwa v0, v3, s91 dst_sel:DWORD dst_unused:UNUSED_PAD src0_sel:BYTE_3 src1_sel:DWORD
	v_and_b32_e32 v16, 0x7f800000, v3
	v_mov_b32_e32 v17, v59
	v_and_b32_e32 v58, 0x7fffff, v3
	v_or_b32_e32 v22, 0x7e, v0
	v_cmp_ne_u64_e32 vcc, s[54:55], v[16:17]
	s_and_saveexec_b64 s[28:29], vcc
	s_xor_b64 s[64:65], exec, s[28:29]
	s_cbranch_execz .LBB4_986
; %bb.977:                              ;   in Loop: Header=BB4_580 Depth=4
	v_and_b32_e32 v16, 0x7fffffff, v3
	v_mov_b32_e32 v17, v59
	v_cmp_gt_u64_e32 vcc, s[56:57], v[16:17]
	s_and_saveexec_b64 s[66:67], vcc
	s_cbranch_execz .LBB4_985
; %bb.978:                              ;   in Loop: Header=BB4_580 Depth=4
	v_cmp_ne_u32_e32 vcc, 0, v3
	v_mov_b32_e32 v22, 0
	s_and_saveexec_b64 s[68:69], vcc
	s_cbranch_execz .LBB4_984
; %bb.979:                              ;   in Loop: Header=BB4_580 Depth=4
	v_bfe_u32 v1, v3, 23, 8
	v_sub_u32_e32 v16, 0x79, v1
	v_cmp_gt_u32_e32 vcc, s93, v1
	v_add_u32_e32 v3, 0xffffff81, v1
	v_cndmask_b32_e32 v16, 0, v16, vcc
	v_cmp_eq_u32_e32 vcc, 0, v1
	v_mov_b32_e32 v1, 0xffffff82
	v_cndmask_b32_e32 v1, v3, v1, vcc
	v_mov_b32_e32 v3, 0x78
	v_or_b32_e32 v17, 0x800000, v58
	v_cndmask_b32_e32 v3, v16, v3, vcc
	v_cndmask_b32_e32 v58, v17, v58, vcc
	v_add_u32_e32 v16, 20, v3
	v_lshlrev_b64 v[16:17], v16, -1
	v_add_u32_e32 v18, 19, v3
	v_lshrrev_b64 v[34:35], v3, v[58:59]
	v_not_b32_e32 v17, v17
	v_not_b32_e32 v16, v16
	v_lshlrev_b64 v[32:33], v18, 1
	v_lshrrev_b32_e32 v18, 23, v34
	v_and_b32_e32 v17, 0, v17
	v_and_b32_e32 v16, v58, v16
	v_add3_u32 v22, v3, v1, v18
	v_bfe_u32 v1, v34, 20, 1
	v_add_u32_e32 v1, -1, v1
	v_cmp_eq_u64_e32 vcc, v[16:17], v[32:33]
	v_cndmask_b32_e32 v1, 0, v1, vcc
	v_add_u32_e32 v1, v1, v34
	v_and_b32_e32 v1, 0xfffff, v1
	v_add_co_u32_e32 v16, vcc, v1, v34
	v_add_u32_e32 v18, 6, v22
	v_addc_co_u32_e32 v17, vcc, 0, v35, vcc
	v_cmp_ne_u32_e32 vcc, 0, v18
                                        ; implicit-def: $vgpr3
	s_and_saveexec_b64 s[28:29], vcc
	s_xor_b64 s[28:29], exec, s[28:29]
; %bb.980:                              ;   in Loop: Header=BB4_580 Depth=4
	v_add_u32_e32 v1, 7, v22
	v_cmp_lt_u64_e32 vcc, s[58:59], v[16:17]
	v_cndmask_b32_e32 v3, v18, v1, vcc
	v_cndmask_b32_e64 v1, 0, 1, vcc
	v_lshrrev_b64 v[16:17], v1, v[16:17]
; %bb.981:                              ;   in Loop: Header=BB4_580 Depth=4
	s_andn2_saveexec_b64 s[28:29], s[28:29]
; %bb.982:                              ;   in Loop: Header=BB4_580 Depth=4
	v_bfe_u32 v3, v16, 23, 1
; %bb.983:                              ;   in Loop: Header=BB4_580 Depth=4
	s_or_b64 exec, exec, s[28:29]
	v_lshrrev_b64 v[16:17], 20, v[16:17]
	v_cmp_gt_i32_e32 vcc, 16, v3
	v_cndmask_b32_e32 v17, 0, v17, vcc
	v_cndmask_b32_e32 v16, 7, v16, vcc
	v_min_i32_e32 v1, 15, v3
	v_cmp_eq_u32_e32 vcc, 0, v3
	v_cmp_eq_u64_e64 s[28:29], 0, v[16:17]
	v_lshlrev_b32_e32 v1, 3, v1
	v_and_or_b32 v1, v16, 7, v1
	s_and_b64 s[28:29], vcc, s[28:29]
	v_cndmask_b32_e64 v1, v1, 0, s[28:29]
	v_or_b32_e32 v22, v1, v0
.LBB4_984:                              ;   in Loop: Header=BB4_580 Depth=4
	s_or_b64 exec, exec, s[68:69]
.LBB4_985:                              ;   in Loop: Header=BB4_580 Depth=4
	s_or_b64 exec, exec, s[66:67]
                                        ; implicit-def: $vgpr3
.LBB4_986:                              ;   in Loop: Header=BB4_580 Depth=4
	s_andn2_saveexec_b64 s[28:29], s[64:65]
; %bb.987:                              ;   in Loop: Header=BB4_580 Depth=4
	v_or_b32_sdwa v0, v3, s92 dst_sel:DWORD dst_unused:UNUSED_PAD src0_sel:BYTE_3 src1_sel:DWORD
	v_cmp_eq_u64_e32 vcc, 0, v[58:59]
	v_cndmask_b32_e32 v22, v0, v22, vcc
; %bb.988:                              ;   in Loop: Header=BB4_580 Depth=4
	s_or_b64 exec, exec, s[28:29]
	v_lshrrev_b16_e32 v16, 8, v12
	v_cmp_ne_u16_e32 vcc, 0, v16
	v_mov_b32_e32 v0, 0
	v_mov_b32_e32 v3, 0
	s_and_saveexec_b64 s[28:29], vcc
	s_cbranch_execz .LBB4_994
; %bb.989:                              ;   in Loop: Header=BB4_580 Depth=4
	v_cmp_ne_u16_e32 vcc, s91, v16
	v_bfrev_b32_e32 v3, 1
	s_and_saveexec_b64 s[64:65], vcc
	s_cbranch_execz .LBB4_993
; %bb.990:                              ;   in Loop: Header=BB4_580 Depth=4
	v_and_b32_e32 v1, 0x7f, v16
	v_cmp_ne_u32_e32 vcc, s92, v1
	v_mov_b32_e32 v3, 0x7f800001
	s_and_saveexec_b64 s[66:67], vcc
	s_cbranch_execz .LBB4_992
; %bb.991:                              ;   in Loop: Header=BB4_580 Depth=4
	v_and_b32_e32 v3, 7, v16
	v_ffbh_u32_e32 v17, v3
	v_min_u32_e32 v23, 32, v17
	v_subrev_u32_e32 v17, 28, v23
	v_lshlrev_b64 v[16:17], v17, v[16:17]
	v_lshrrev_b32_e32 v18, 3, v1
	v_sub_u32_e32 v17, 29, v23
	v_and_b32_e32 v16, 7, v16
	v_cmp_gt_u32_e32 vcc, 8, v1
	v_cndmask_b32_e32 v1, v18, v17, vcc
	v_cndmask_b32_e32 v3, v3, v16, vcc
	v_lshlrev_b32_e32 v16, 16, v12
	v_bfrev_b32_e32 v17, 60
	v_lshlrev_b32_e32 v3, 20, v3
	v_and_b32_e32 v16, 0x80000000, v16
	v_lshl_add_u32 v1, v1, 23, v17
	v_or3_b32 v3, v16, v1, v3
.LBB4_992:                              ;   in Loop: Header=BB4_580 Depth=4
	s_or_b64 exec, exec, s[66:67]
.LBB4_993:                              ;   in Loop: Header=BB4_580 Depth=4
	s_or_b64 exec, exec, s[64:65]
.LBB4_994:                              ;   in Loop: Header=BB4_580 Depth=4
	s_or_b64 exec, exec, s[28:29]
	v_lshrrev_b16_e32 v16, 8, v8
	v_cmp_ne_u16_e32 vcc, 0, v16
	s_and_saveexec_b64 s[28:29], vcc
	s_cbranch_execz .LBB4_1000
; %bb.995:                              ;   in Loop: Header=BB4_580 Depth=4
	v_cmp_ne_u16_e32 vcc, s91, v16
	v_bfrev_b32_e32 v0, 1
	s_and_saveexec_b64 s[64:65], vcc
	s_cbranch_execz .LBB4_999
; %bb.996:                              ;   in Loop: Header=BB4_580 Depth=4
	v_and_b32_e32 v1, 0x7f, v16
	v_cmp_ne_u32_e32 vcc, s92, v1
	v_mov_b32_e32 v0, 0x7f800001
	s_and_saveexec_b64 s[66:67], vcc
	s_cbranch_execz .LBB4_998
; %bb.997:                              ;   in Loop: Header=BB4_580 Depth=4
	v_and_b32_e32 v0, 7, v16
	v_ffbh_u32_e32 v17, v0
	v_min_u32_e32 v23, 32, v17
	v_subrev_u32_e32 v17, 28, v23
	v_lshlrev_b64 v[16:17], v17, v[16:17]
	v_lshrrev_b32_e32 v18, 3, v1
	v_sub_u32_e32 v17, 29, v23
	v_and_b32_e32 v16, 7, v16
	v_cmp_gt_u32_e32 vcc, 8, v1
	v_cndmask_b32_e32 v1, v18, v17, vcc
	v_cndmask_b32_e32 v0, v0, v16, vcc
	v_lshlrev_b32_e32 v16, 16, v8
	v_bfrev_b32_e32 v17, 60
	v_lshlrev_b32_e32 v0, 20, v0
	v_and_b32_e32 v16, 0x80000000, v16
	v_lshl_add_u32 v1, v1, 23, v17
	v_or3_b32 v0, v16, v1, v0
.LBB4_998:                              ;   in Loop: Header=BB4_580 Depth=4
	s_or_b64 exec, exec, s[66:67]
.LBB4_999:                              ;   in Loop: Header=BB4_580 Depth=4
	s_or_b64 exec, exec, s[64:65]
.LBB4_1000:                             ;   in Loop: Header=BB4_580 Depth=4
	s_or_b64 exec, exec, s[28:29]
	v_add_f32_e32 v3, v3, v0
	v_and_b32_sdwa v0, v3, s91 dst_sel:DWORD dst_unused:UNUSED_PAD src0_sel:BYTE_3 src1_sel:DWORD
	v_and_b32_e32 v16, 0x7f800000, v3
	v_mov_b32_e32 v17, v59
	v_and_b32_e32 v58, 0x7fffff, v3
	v_or_b32_e32 v23, 0x7e, v0
	v_cmp_ne_u64_e32 vcc, s[54:55], v[16:17]
	s_and_saveexec_b64 s[28:29], vcc
	s_xor_b64 s[64:65], exec, s[28:29]
	s_cbranch_execz .LBB4_1010
; %bb.1001:                             ;   in Loop: Header=BB4_580 Depth=4
	v_and_b32_e32 v16, 0x7fffffff, v3
	v_mov_b32_e32 v17, v59
	v_cmp_gt_u64_e32 vcc, s[56:57], v[16:17]
	s_and_saveexec_b64 s[66:67], vcc
	s_cbranch_execz .LBB4_1009
; %bb.1002:                             ;   in Loop: Header=BB4_580 Depth=4
	v_cmp_ne_u32_e32 vcc, 0, v3
	v_mov_b32_e32 v23, 0
	s_and_saveexec_b64 s[68:69], vcc
	s_cbranch_execz .LBB4_1008
; %bb.1003:                             ;   in Loop: Header=BB4_580 Depth=4
	v_bfe_u32 v1, v3, 23, 8
	v_sub_u32_e32 v16, 0x79, v1
	v_cmp_gt_u32_e32 vcc, s93, v1
	v_add_u32_e32 v3, 0xffffff81, v1
	v_cndmask_b32_e32 v16, 0, v16, vcc
	v_cmp_eq_u32_e32 vcc, 0, v1
	v_mov_b32_e32 v1, 0xffffff82
	v_cndmask_b32_e32 v1, v3, v1, vcc
	v_mov_b32_e32 v3, 0x78
	v_or_b32_e32 v17, 0x800000, v58
	v_cndmask_b32_e32 v3, v16, v3, vcc
	v_cndmask_b32_e32 v58, v17, v58, vcc
	v_add_u32_e32 v16, 20, v3
	v_lshlrev_b64 v[16:17], v16, -1
	v_add_u32_e32 v18, 19, v3
	v_lshrrev_b64 v[34:35], v3, v[58:59]
	v_not_b32_e32 v17, v17
	v_not_b32_e32 v16, v16
	v_lshlrev_b64 v[32:33], v18, 1
	v_lshrrev_b32_e32 v18, 23, v34
	v_and_b32_e32 v17, 0, v17
	v_and_b32_e32 v16, v58, v16
	v_add3_u32 v23, v3, v1, v18
	v_bfe_u32 v1, v34, 20, 1
	v_add_u32_e32 v1, -1, v1
	v_cmp_eq_u64_e32 vcc, v[16:17], v[32:33]
	v_cndmask_b32_e32 v1, 0, v1, vcc
	v_add_u32_e32 v1, v1, v34
	v_and_b32_e32 v1, 0xfffff, v1
	v_add_co_u32_e32 v16, vcc, v1, v34
	v_add_u32_e32 v18, 6, v23
	v_addc_co_u32_e32 v17, vcc, 0, v35, vcc
	v_cmp_ne_u32_e32 vcc, 0, v18
                                        ; implicit-def: $vgpr3
	s_and_saveexec_b64 s[28:29], vcc
	s_xor_b64 s[28:29], exec, s[28:29]
; %bb.1004:                             ;   in Loop: Header=BB4_580 Depth=4
	v_add_u32_e32 v1, 7, v23
	v_cmp_lt_u64_e32 vcc, s[58:59], v[16:17]
	v_cndmask_b32_e32 v3, v18, v1, vcc
	v_cndmask_b32_e64 v1, 0, 1, vcc
	v_lshrrev_b64 v[16:17], v1, v[16:17]
; %bb.1005:                             ;   in Loop: Header=BB4_580 Depth=4
	s_andn2_saveexec_b64 s[28:29], s[28:29]
; %bb.1006:                             ;   in Loop: Header=BB4_580 Depth=4
	v_bfe_u32 v3, v16, 23, 1
; %bb.1007:                             ;   in Loop: Header=BB4_580 Depth=4
	s_or_b64 exec, exec, s[28:29]
	v_lshrrev_b64 v[16:17], 20, v[16:17]
	v_cmp_gt_i32_e32 vcc, 16, v3
	v_cndmask_b32_e32 v17, 0, v17, vcc
	v_cndmask_b32_e32 v16, 7, v16, vcc
	v_min_i32_e32 v1, 15, v3
	v_cmp_eq_u32_e32 vcc, 0, v3
	v_cmp_eq_u64_e64 s[28:29], 0, v[16:17]
	v_lshlrev_b32_e32 v1, 3, v1
	v_and_or_b32 v1, v16, 7, v1
	s_and_b64 s[28:29], vcc, s[28:29]
	v_cndmask_b32_e64 v1, v1, 0, s[28:29]
	v_or_b32_e32 v23, v1, v0
.LBB4_1008:                             ;   in Loop: Header=BB4_580 Depth=4
	s_or_b64 exec, exec, s[68:69]
.LBB4_1009:                             ;   in Loop: Header=BB4_580 Depth=4
	s_or_b64 exec, exec, s[66:67]
                                        ; implicit-def: $vgpr3
.LBB4_1010:                             ;   in Loop: Header=BB4_580 Depth=4
	s_andn2_saveexec_b64 s[28:29], s[64:65]
; %bb.1011:                             ;   in Loop: Header=BB4_580 Depth=4
	v_or_b32_sdwa v0, v3, s92 dst_sel:DWORD dst_unused:UNUSED_PAD src0_sel:BYTE_3 src1_sel:DWORD
	v_cmp_eq_u64_e32 vcc, 0, v[58:59]
	v_cndmask_b32_e32 v23, v0, v23, vcc
; %bb.1012:                             ;   in Loop: Header=BB4_580 Depth=4
	s_or_b64 exec, exec, s[28:29]
	v_lshrrev_b32_e32 v16, 16, v12
	v_cmp_ne_u16_sdwa vcc, v16, v59 src0_sel:BYTE_0 src1_sel:DWORD
	v_mov_b32_e32 v0, 0
	v_mov_b32_e32 v3, 0
	s_and_saveexec_b64 s[28:29], vcc
	s_cbranch_execz .LBB4_1018
; %bb.1013:                             ;   in Loop: Header=BB4_580 Depth=4
	v_cmp_ne_u16_sdwa vcc, v16, s91 src0_sel:BYTE_0 src1_sel:DWORD
	v_bfrev_b32_e32 v3, 1
	s_and_saveexec_b64 s[64:65], vcc
	s_cbranch_execz .LBB4_1017
; %bb.1014:                             ;   in Loop: Header=BB4_580 Depth=4
	v_bfe_u32 v1, v12, 16, 7
	v_cmp_ne_u32_e32 vcc, s92, v1
	v_mov_b32_e32 v3, 0x7f800001
	s_and_saveexec_b64 s[66:67], vcc
	s_cbranch_execz .LBB4_1016
; %bb.1015:                             ;   in Loop: Header=BB4_580 Depth=4
	v_and_b32_e32 v3, 7, v16
	v_ffbh_u32_e32 v18, v3
	v_min_u32_e32 v18, 32, v18
	v_lshrrev_b32_e32 v17, 3, v1
	v_subrev_u32_e32 v31, 28, v18
	v_lshlrev_b64 v[32:33], v31, v[16:17]
	v_sub_u32_e32 v18, 29, v18
	v_and_b32_e32 v31, 7, v32
	v_cmp_gt_u32_e32 vcc, 8, v1
	v_cndmask_b32_e32 v1, v17, v18, vcc
	v_cndmask_b32_e32 v3, v3, v31, vcc
	v_lshlrev_b32_e32 v16, 24, v16
	v_bfrev_b32_e32 v17, 60
	v_lshlrev_b32_e32 v3, 20, v3
	v_and_b32_e32 v16, 0x80000000, v16
	v_lshl_add_u32 v1, v1, 23, v17
	v_or3_b32 v3, v16, v1, v3
.LBB4_1016:                             ;   in Loop: Header=BB4_580 Depth=4
	s_or_b64 exec, exec, s[66:67]
.LBB4_1017:                             ;   in Loop: Header=BB4_580 Depth=4
	s_or_b64 exec, exec, s[64:65]
.LBB4_1018:                             ;   in Loop: Header=BB4_580 Depth=4
	s_or_b64 exec, exec, s[28:29]
	v_lshrrev_b32_e32 v16, 16, v8
	v_cmp_ne_u16_sdwa vcc, v16, v59 src0_sel:BYTE_0 src1_sel:DWORD
	s_and_saveexec_b64 s[28:29], vcc
	s_cbranch_execz .LBB4_1024
; %bb.1019:                             ;   in Loop: Header=BB4_580 Depth=4
	v_cmp_ne_u16_sdwa vcc, v16, s91 src0_sel:BYTE_0 src1_sel:DWORD
	v_bfrev_b32_e32 v0, 1
	s_and_saveexec_b64 s[64:65], vcc
	s_cbranch_execz .LBB4_1023
; %bb.1020:                             ;   in Loop: Header=BB4_580 Depth=4
	v_bfe_u32 v1, v8, 16, 7
	v_cmp_ne_u32_e32 vcc, s92, v1
	v_mov_b32_e32 v0, 0x7f800001
	s_and_saveexec_b64 s[66:67], vcc
	s_cbranch_execz .LBB4_1022
; %bb.1021:                             ;   in Loop: Header=BB4_580 Depth=4
	v_and_b32_e32 v0, 7, v16
	v_ffbh_u32_e32 v17, v0
	v_min_u32_e32 v31, 32, v17
	v_subrev_u32_e32 v17, 28, v31
	v_lshlrev_b64 v[16:17], v17, v[16:17]
	v_lshrrev_b32_e32 v18, 3, v1
	v_sub_u32_e32 v17, 29, v31
	v_and_b32_e32 v16, 7, v16
	v_cmp_gt_u32_e32 vcc, 8, v1
	v_cndmask_b32_e32 v1, v18, v17, vcc
	v_cndmask_b32_e32 v0, v0, v16, vcc
	v_lshlrev_b32_e32 v16, 8, v8
	v_bfrev_b32_e32 v17, 60
	v_lshlrev_b32_e32 v0, 20, v0
	v_and_b32_e32 v16, 0x80000000, v16
	v_lshl_add_u32 v1, v1, 23, v17
	v_or3_b32 v0, v16, v1, v0
.LBB4_1022:                             ;   in Loop: Header=BB4_580 Depth=4
	s_or_b64 exec, exec, s[66:67]
.LBB4_1023:                             ;   in Loop: Header=BB4_580 Depth=4
	s_or_b64 exec, exec, s[64:65]
.LBB4_1024:                             ;   in Loop: Header=BB4_580 Depth=4
	s_or_b64 exec, exec, s[28:29]
	v_add_f32_e32 v3, v3, v0
	v_and_b32_sdwa v0, v3, s91 dst_sel:DWORD dst_unused:UNUSED_PAD src0_sel:BYTE_3 src1_sel:DWORD
	v_and_b32_e32 v16, 0x7f800000, v3
	v_mov_b32_e32 v17, v59
	v_and_b32_e32 v58, 0x7fffff, v3
	v_or_b32_e32 v57, 0x7e, v0
	v_cmp_ne_u64_e32 vcc, s[54:55], v[16:17]
	s_and_saveexec_b64 s[28:29], vcc
	s_xor_b64 s[64:65], exec, s[28:29]
	s_cbranch_execz .LBB4_1034
; %bb.1025:                             ;   in Loop: Header=BB4_580 Depth=4
	v_and_b32_e32 v16, 0x7fffffff, v3
	v_mov_b32_e32 v17, v59
	v_cmp_gt_u64_e32 vcc, s[56:57], v[16:17]
	s_and_saveexec_b64 s[66:67], vcc
	s_cbranch_execz .LBB4_1033
; %bb.1026:                             ;   in Loop: Header=BB4_580 Depth=4
	v_cmp_ne_u32_e32 vcc, 0, v3
	v_mov_b32_e32 v57, 0
	s_and_saveexec_b64 s[68:69], vcc
	s_cbranch_execz .LBB4_1032
; %bb.1027:                             ;   in Loop: Header=BB4_580 Depth=4
	v_bfe_u32 v1, v3, 23, 8
	v_sub_u32_e32 v16, 0x79, v1
	v_cmp_gt_u32_e32 vcc, s93, v1
	v_add_u32_e32 v3, 0xffffff81, v1
	v_cndmask_b32_e32 v16, 0, v16, vcc
	v_cmp_eq_u32_e32 vcc, 0, v1
	v_mov_b32_e32 v1, 0xffffff82
	v_cndmask_b32_e32 v1, v3, v1, vcc
	v_mov_b32_e32 v3, 0x78
	v_or_b32_e32 v17, 0x800000, v58
	v_cndmask_b32_e32 v3, v16, v3, vcc
	v_cndmask_b32_e32 v58, v17, v58, vcc
	v_add_u32_e32 v16, 20, v3
	v_lshlrev_b64 v[16:17], v16, -1
	v_add_u32_e32 v18, 19, v3
	v_lshrrev_b64 v[34:35], v3, v[58:59]
	v_not_b32_e32 v17, v17
	v_not_b32_e32 v16, v16
	v_lshlrev_b64 v[32:33], v18, 1
	v_lshrrev_b32_e32 v18, 23, v34
	v_and_b32_e32 v17, 0, v17
	v_and_b32_e32 v16, v58, v16
	v_add3_u32 v31, v3, v1, v18
	v_bfe_u32 v1, v34, 20, 1
	v_add_u32_e32 v1, -1, v1
	v_cmp_eq_u64_e32 vcc, v[16:17], v[32:33]
	v_cndmask_b32_e32 v1, 0, v1, vcc
	v_add_u32_e32 v1, v1, v34
	v_and_b32_e32 v1, 0xfffff, v1
	v_add_co_u32_e32 v16, vcc, v1, v34
	v_add_u32_e32 v18, 6, v31
	v_addc_co_u32_e32 v17, vcc, 0, v35, vcc
	v_cmp_ne_u32_e32 vcc, 0, v18
                                        ; implicit-def: $vgpr3
	s_and_saveexec_b64 s[28:29], vcc
	s_xor_b64 s[28:29], exec, s[28:29]
; %bb.1028:                             ;   in Loop: Header=BB4_580 Depth=4
	v_add_u32_e32 v1, 7, v31
	v_cmp_lt_u64_e32 vcc, s[58:59], v[16:17]
	v_cndmask_b32_e32 v3, v18, v1, vcc
	v_cndmask_b32_e64 v1, 0, 1, vcc
	v_lshrrev_b64 v[16:17], v1, v[16:17]
; %bb.1029:                             ;   in Loop: Header=BB4_580 Depth=4
	s_andn2_saveexec_b64 s[28:29], s[28:29]
; %bb.1030:                             ;   in Loop: Header=BB4_580 Depth=4
	v_bfe_u32 v3, v16, 23, 1
; %bb.1031:                             ;   in Loop: Header=BB4_580 Depth=4
	s_or_b64 exec, exec, s[28:29]
	v_lshrrev_b64 v[16:17], 20, v[16:17]
	v_cmp_gt_i32_e32 vcc, 16, v3
	v_cndmask_b32_e32 v17, 0, v17, vcc
	v_cndmask_b32_e32 v16, 7, v16, vcc
	v_min_i32_e32 v1, 15, v3
	v_cmp_eq_u32_e32 vcc, 0, v3
	v_cmp_eq_u64_e64 s[28:29], 0, v[16:17]
	v_lshlrev_b32_e32 v1, 3, v1
	v_and_or_b32 v1, v16, 7, v1
	s_and_b64 s[28:29], vcc, s[28:29]
	v_cndmask_b32_e64 v1, v1, 0, s[28:29]
	v_or_b32_e32 v57, v1, v0
.LBB4_1032:                             ;   in Loop: Header=BB4_580 Depth=4
	s_or_b64 exec, exec, s[68:69]
.LBB4_1033:                             ;   in Loop: Header=BB4_580 Depth=4
	s_or_b64 exec, exec, s[66:67]
                                        ; implicit-def: $vgpr3
.LBB4_1034:                             ;   in Loop: Header=BB4_580 Depth=4
	s_andn2_saveexec_b64 s[28:29], s[64:65]
; %bb.1035:                             ;   in Loop: Header=BB4_580 Depth=4
	v_or_b32_sdwa v0, v3, s92 dst_sel:DWORD dst_unused:UNUSED_PAD src0_sel:BYTE_3 src1_sel:DWORD
	v_cmp_eq_u64_e32 vcc, 0, v[58:59]
	v_cndmask_b32_e32 v57, v0, v57, vcc
; %bb.1036:                             ;   in Loop: Header=BB4_580 Depth=4
	s_or_b64 exec, exec, s[28:29]
	v_cmp_lt_u32_e32 vcc, s45, v12
	v_mov_b32_e32 v0, 0
	v_mov_b32_e32 v3, 0
	s_and_saveexec_b64 s[28:29], vcc
	s_cbranch_execz .LBB4_1042
; %bb.1037:                             ;   in Loop: Header=BB4_580 Depth=4
	v_lshrrev_b32_e32 v16, 24, v12
	v_cmp_ne_u32_e32 vcc, s91, v16
	v_bfrev_b32_e32 v3, 1
	s_and_saveexec_b64 s[64:65], vcc
	s_cbranch_execz .LBB4_1041
; %bb.1038:                             ;   in Loop: Header=BB4_580 Depth=4
	v_bfe_u32 v1, v12, 24, 7
	v_cmp_ne_u32_e32 vcc, s92, v1
	v_mov_b32_e32 v3, 0x7f800001
	s_and_saveexec_b64 s[66:67], vcc
	s_cbranch_execz .LBB4_1040
; %bb.1039:                             ;   in Loop: Header=BB4_580 Depth=4
	v_and_b32_e32 v3, 7, v16
	v_ffbh_u32_e32 v18, v3
	v_min_u32_e32 v18, 32, v18
	v_lshrrev_b32_e32 v17, 3, v1
	v_subrev_u32_e32 v31, 28, v18
	v_lshlrev_b64 v[32:33], v31, v[16:17]
	v_sub_u32_e32 v18, 29, v18
	v_and_b32_e32 v31, 7, v32
	v_cmp_gt_u32_e32 vcc, 8, v1
	v_cndmask_b32_e32 v1, v17, v18, vcc
	v_cndmask_b32_e32 v3, v3, v31, vcc
	v_lshlrev_b32_e32 v16, 24, v16
	v_bfrev_b32_e32 v17, 60
	v_lshlrev_b32_e32 v3, 20, v3
	v_and_b32_e32 v16, 0x80000000, v16
	v_lshl_add_u32 v1, v1, 23, v17
	v_or3_b32 v3, v16, v1, v3
.LBB4_1040:                             ;   in Loop: Header=BB4_580 Depth=4
	s_or_b64 exec, exec, s[66:67]
.LBB4_1041:                             ;   in Loop: Header=BB4_580 Depth=4
	s_or_b64 exec, exec, s[64:65]
.LBB4_1042:                             ;   in Loop: Header=BB4_580 Depth=4
	s_or_b64 exec, exec, s[28:29]
	v_cmp_lt_u32_e32 vcc, s45, v8
	s_and_saveexec_b64 s[28:29], vcc
	s_cbranch_execz .LBB4_1048
; %bb.1043:                             ;   in Loop: Header=BB4_580 Depth=4
	v_lshrrev_b32_e32 v16, 24, v8
	v_cmp_ne_u32_e32 vcc, s91, v16
	v_bfrev_b32_e32 v0, 1
	s_and_saveexec_b64 s[64:65], vcc
	s_cbranch_execz .LBB4_1047
; %bb.1044:                             ;   in Loop: Header=BB4_580 Depth=4
	v_bfe_u32 v1, v8, 24, 7
	v_cmp_ne_u32_e32 vcc, s92, v1
	v_mov_b32_e32 v0, 0x7f800001
	s_and_saveexec_b64 s[66:67], vcc
	s_cbranch_execz .LBB4_1046
; %bb.1045:                             ;   in Loop: Header=BB4_580 Depth=4
	v_and_b32_e32 v0, 7, v16
	v_ffbh_u32_e32 v18, v0
	v_min_u32_e32 v18, 32, v18
	v_lshrrev_b32_e32 v17, 3, v1
	v_subrev_u32_e32 v31, 28, v18
	v_lshlrev_b64 v[32:33], v31, v[16:17]
	v_sub_u32_e32 v18, 29, v18
	v_and_b32_e32 v31, 7, v32
	v_cmp_gt_u32_e32 vcc, 8, v1
	v_cndmask_b32_e32 v1, v17, v18, vcc
	v_cndmask_b32_e32 v0, v0, v31, vcc
	v_lshlrev_b32_e32 v16, 24, v16
	v_bfrev_b32_e32 v17, 60
	v_lshlrev_b32_e32 v0, 20, v0
	v_and_b32_e32 v16, 0x80000000, v16
	v_lshl_add_u32 v1, v1, 23, v17
	v_or3_b32 v0, v16, v1, v0
.LBB4_1046:                             ;   in Loop: Header=BB4_580 Depth=4
	s_or_b64 exec, exec, s[66:67]
.LBB4_1047:                             ;   in Loop: Header=BB4_580 Depth=4
	s_or_b64 exec, exec, s[64:65]
.LBB4_1048:                             ;   in Loop: Header=BB4_580 Depth=4
	s_or_b64 exec, exec, s[28:29]
	v_add_f32_e32 v16, v3, v0
	v_and_b32_sdwa v3, v16, s91 dst_sel:DWORD dst_unused:UNUSED_PAD src0_sel:BYTE_3 src1_sel:DWORD
	v_and_b32_e32 v32, 0x7f800000, v16
	v_mov_b32_e32 v33, v59
	v_and_b32_e32 v58, 0x7fffff, v16
	v_or_b32_e32 v0, 0x7e, v3
	v_cmp_ne_u64_e32 vcc, s[54:55], v[32:33]
	s_and_saveexec_b64 s[28:29], vcc
	s_xor_b64 s[64:65], exec, s[28:29]
	s_cbranch_execz .LBB4_1058
; %bb.1049:                             ;   in Loop: Header=BB4_580 Depth=4
	v_and_b32_e32 v32, 0x7fffffff, v16
	v_mov_b32_e32 v33, v59
	v_cmp_gt_u64_e32 vcc, s[56:57], v[32:33]
	s_and_saveexec_b64 s[66:67], vcc
	s_cbranch_execz .LBB4_1057
; %bb.1050:                             ;   in Loop: Header=BB4_580 Depth=4
	v_cmp_ne_u32_e32 vcc, 0, v16
	v_mov_b32_e32 v0, 0
	s_and_saveexec_b64 s[68:69], vcc
	s_cbranch_execz .LBB4_1056
; %bb.1051:                             ;   in Loop: Header=BB4_580 Depth=4
	v_bfe_u32 v0, v16, 23, 8
	v_sub_u32_e32 v16, 0x79, v0
	v_cmp_gt_u32_e32 vcc, s93, v0
	v_add_u32_e32 v1, 0xffffff81, v0
	v_cndmask_b32_e32 v16, 0, v16, vcc
	v_cmp_eq_u32_e32 vcc, 0, v0
	v_mov_b32_e32 v0, 0xffffff82
	v_cndmask_b32_e32 v18, v1, v0, vcc
	v_mov_b32_e32 v0, 0x78
	v_or_b32_e32 v17, 0x800000, v58
	v_cndmask_b32_e32 v31, v16, v0, vcc
	v_cndmask_b32_e32 v58, v17, v58, vcc
	v_add_u32_e32 v0, 20, v31
	v_lshlrev_b64 v[0:1], v0, -1
	v_lshrrev_b64 v[32:33], v31, v[58:59]
	v_not_b32_e32 v1, v1
	v_not_b32_e32 v0, v0
	v_add_u32_e32 v16, 19, v31
	v_lshrrev_b32_e32 v34, 23, v32
	v_and_b32_e32 v1, 0, v1
	v_and_b32_e32 v0, v58, v0
	v_lshlrev_b64 v[16:17], v16, 1
	v_add3_u32 v31, v31, v18, v34
	v_bfe_u32 v34, v32, 20, 1
	v_add_u32_e32 v34, -1, v34
	v_cmp_eq_u64_e32 vcc, v[0:1], v[16:17]
	v_cndmask_b32_e32 v0, 0, v34, vcc
	v_add_u32_e32 v0, v0, v32
	v_and_b32_e32 v0, 0xfffff, v0
	v_add_co_u32_e32 v16, vcc, v0, v32
	v_add_u32_e32 v18, 6, v31
	v_addc_co_u32_e32 v17, vcc, 0, v33, vcc
	v_cmp_ne_u32_e32 vcc, 0, v18
                                        ; implicit-def: $vgpr0
	s_and_saveexec_b64 s[28:29], vcc
	s_xor_b64 s[28:29], exec, s[28:29]
; %bb.1052:                             ;   in Loop: Header=BB4_580 Depth=4
	v_cmp_lt_u64_e32 vcc, s[58:59], v[16:17]
	v_add_u32_e32 v0, 7, v31
	v_cndmask_b32_e64 v1, 0, 1, vcc
	v_cndmask_b32_e32 v0, v18, v0, vcc
	v_lshrrev_b64 v[16:17], v1, v[16:17]
; %bb.1053:                             ;   in Loop: Header=BB4_580 Depth=4
	s_andn2_saveexec_b64 s[28:29], s[28:29]
; %bb.1054:                             ;   in Loop: Header=BB4_580 Depth=4
	v_bfe_u32 v0, v16, 23, 1
; %bb.1055:                             ;   in Loop: Header=BB4_580 Depth=4
	s_or_b64 exec, exec, s[28:29]
	v_lshrrev_b64 v[16:17], 20, v[16:17]
	v_cmp_gt_i32_e32 vcc, 16, v0
	v_cndmask_b32_e32 v17, 0, v17, vcc
	v_cndmask_b32_e32 v16, 7, v16, vcc
	v_cmp_eq_u32_e32 vcc, 0, v0
	v_min_i32_e32 v0, 15, v0
	v_cmp_eq_u64_e64 s[28:29], 0, v[16:17]
	v_lshlrev_b32_e32 v0, 3, v0
	v_and_or_b32 v0, v16, 7, v0
	s_and_b64 s[28:29], vcc, s[28:29]
	v_cndmask_b32_e64 v0, v0, 0, s[28:29]
	v_or_b32_e32 v0, v0, v3
.LBB4_1056:                             ;   in Loop: Header=BB4_580 Depth=4
	s_or_b64 exec, exec, s[68:69]
.LBB4_1057:                             ;   in Loop: Header=BB4_580 Depth=4
	s_or_b64 exec, exec, s[66:67]
                                        ; implicit-def: $vgpr16
.LBB4_1058:                             ;   in Loop: Header=BB4_580 Depth=4
	s_andn2_saveexec_b64 s[28:29], s[64:65]
; %bb.1059:                             ;   in Loop: Header=BB4_580 Depth=4
	v_or_b32_sdwa v1, v16, s92 dst_sel:DWORD dst_unused:UNUSED_PAD src0_sel:BYTE_3 src1_sel:DWORD
	v_cmp_eq_u64_e32 vcc, 0, v[58:59]
	v_cndmask_b32_e32 v0, v1, v0, vcc
; %bb.1060:                             ;   in Loop: Header=BB4_580 Depth=4
	s_or_b64 exec, exec, s[28:29]
	v_mov_b32_e32 v58, v13
	v_cmp_ne_u16_sdwa vcc, v13, v59 src0_sel:BYTE_0 src1_sel:DWORD
	v_mov_b32_e32 v16, 0
	v_mov_b32_e32 v3, 0
	s_and_saveexec_b64 s[28:29], vcc
	s_cbranch_execz .LBB4_1066
; %bb.1061:                             ;   in Loop: Header=BB4_580 Depth=4
	v_cmp_ne_u16_sdwa vcc, v13, s91 src0_sel:BYTE_0 src1_sel:DWORD
	v_bfrev_b32_e32 v3, 1
	s_and_saveexec_b64 s[64:65], vcc
	s_cbranch_execz .LBB4_1065
; %bb.1062:                             ;   in Loop: Header=BB4_580 Depth=4
	v_and_b32_e32 v1, 0x7f, v13
	v_cmp_ne_u32_e32 vcc, s92, v1
	v_mov_b32_e32 v3, 0x7f800001
	s_and_saveexec_b64 s[66:67], vcc
	s_cbranch_execz .LBB4_1064
; %bb.1063:                             ;   in Loop: Header=BB4_580 Depth=4
	v_and_b32_e32 v3, 7, v13
	v_ffbh_u32_e32 v3, v3
	v_min_u32_e32 v3, 32, v3
	v_lshrrev_b32_e32 v17, 3, v1
	v_subrev_u32_e32 v18, 28, v3
	v_sub_u32_e32 v3, 29, v3
	v_cmp_gt_u32_e32 vcc, 8, v1
	v_cndmask_b32_e32 v1, v17, v3, vcc
	v_cndmask_b32_e32 v3, 0, v18, vcc
	v_lshlrev_b64 v[32:33], v3, v[58:59]
	v_lshlrev_b32_e32 v3, 20, v32
	v_lshlrev_b32_e32 v17, 24, v58
	v_bfrev_b32_e32 v18, 60
	v_and_b32_e32 v3, 0x700000, v3
	v_and_b32_e32 v17, 0x80000000, v17
	v_lshl_add_u32 v1, v1, 23, v18
	v_or3_b32 v3, v17, v1, v3
.LBB4_1064:                             ;   in Loop: Header=BB4_580 Depth=4
	s_or_b64 exec, exec, s[66:67]
.LBB4_1065:                             ;   in Loop: Header=BB4_580 Depth=4
	s_or_b64 exec, exec, s[64:65]
.LBB4_1066:                             ;   in Loop: Header=BB4_580 Depth=4
	s_or_b64 exec, exec, s[28:29]
	v_cmp_ne_u16_sdwa vcc, v9, v59 src0_sel:BYTE_0 src1_sel:DWORD
	s_and_saveexec_b64 s[28:29], vcc
	s_cbranch_execz .LBB4_1072
; %bb.1067:                             ;   in Loop: Header=BB4_580 Depth=4
	v_cmp_ne_u16_sdwa vcc, v9, s91 src0_sel:BYTE_0 src1_sel:DWORD
	v_bfrev_b32_e32 v16, 1
	s_and_saveexec_b64 s[64:65], vcc
	s_cbranch_execz .LBB4_1071
; %bb.1068:                             ;   in Loop: Header=BB4_580 Depth=4
	v_and_b32_e32 v1, 0x7f, v9
	v_cmp_ne_u32_e32 vcc, s92, v1
	v_mov_b32_e32 v16, 0x7f800001
	s_and_saveexec_b64 s[66:67], vcc
	s_cbranch_execz .LBB4_1070
; %bb.1069:                             ;   in Loop: Header=BB4_580 Depth=4
	v_and_b32_e32 v18, 7, v9
	v_ffbh_u32_e32 v18, v18
	v_min_u32_e32 v18, 32, v18
	v_lshrrev_b32_e32 v31, 3, v1
	v_subrev_u32_e32 v32, 28, v18
	v_sub_u32_e32 v18, 29, v18
	v_cmp_gt_u32_e32 vcc, 8, v1
	v_mov_b32_e32 v16, v9
	v_mov_b32_e32 v17, v59
	v_cndmask_b32_e32 v1, v31, v18, vcc
	v_cndmask_b32_e32 v18, 0, v32, vcc
	v_lshlrev_b64 v[32:33], v18, v[16:17]
	v_lshlrev_b32_e32 v17, 20, v32
	v_lshlrev_b32_e32 v16, 24, v16
	v_bfrev_b32_e32 v18, 60
	v_and_b32_e32 v17, 0x700000, v17
	v_and_b32_e32 v16, 0x80000000, v16
	v_lshl_add_u32 v1, v1, 23, v18
	v_or3_b32 v16, v16, v1, v17
.LBB4_1070:                             ;   in Loop: Header=BB4_580 Depth=4
	s_or_b64 exec, exec, s[66:67]
.LBB4_1071:                             ;   in Loop: Header=BB4_580 Depth=4
	s_or_b64 exec, exec, s[64:65]
.LBB4_1072:                             ;   in Loop: Header=BB4_580 Depth=4
	s_or_b64 exec, exec, s[28:29]
	v_add_f32_e32 v18, v3, v16
	v_and_b32_sdwa v3, v18, s91 dst_sel:DWORD dst_unused:UNUSED_PAD src0_sel:BYTE_3 src1_sel:DWORD
	v_and_b32_e32 v32, 0x7f800000, v18
	v_mov_b32_e32 v33, v59
	v_and_b32_e32 v16, 0x7fffff, v18
	v_mov_b32_e32 v17, v59
	v_or_b32_e32 v42, 0x7e, v3
	v_cmp_ne_u64_e32 vcc, s[54:55], v[32:33]
	s_and_saveexec_b64 s[28:29], vcc
	s_xor_b64 s[64:65], exec, s[28:29]
	s_cbranch_execz .LBB4_1082
; %bb.1073:                             ;   in Loop: Header=BB4_580 Depth=4
	v_and_b32_e32 v32, 0x7fffffff, v18
	v_mov_b32_e32 v33, v59
	v_cmp_gt_u64_e32 vcc, s[56:57], v[32:33]
	s_and_saveexec_b64 s[66:67], vcc
	s_cbranch_execz .LBB4_1081
; %bb.1074:                             ;   in Loop: Header=BB4_580 Depth=4
	v_cmp_ne_u32_e32 vcc, 0, v18
	v_mov_b32_e32 v42, 0
	s_and_saveexec_b64 s[68:69], vcc
	s_cbranch_execz .LBB4_1080
; %bb.1075:                             ;   in Loop: Header=BB4_580 Depth=4
	v_bfe_u32 v1, v18, 23, 8
	v_sub_u32_e32 v31, 0x79, v1
	v_cmp_gt_u32_e32 vcc, s93, v1
	v_add_u32_e32 v18, 0xffffff81, v1
	v_cndmask_b32_e32 v31, 0, v31, vcc
	v_cmp_eq_u32_e32 vcc, 0, v1
	v_mov_b32_e32 v1, 0xffffff82
	v_cndmask_b32_e32 v1, v18, v1, vcc
	v_mov_b32_e32 v18, 0x78
	v_cndmask_b32_e32 v18, v31, v18, vcc
	v_or_b32_e32 v32, 0x800000, v16
	v_add_u32_e32 v31, 20, v18
	v_cndmask_b32_e32 v16, v32, v16, vcc
	v_lshlrev_b64 v[32:33], v31, -1
	v_not_b32_e32 v31, v33
	v_not_b32_e32 v32, v32
	v_and_b32_e32 v33, 0, v31
	v_and_b32_e32 v32, v16, v32
	v_add_u32_e32 v31, 19, v18
	v_lshrrev_b64 v[16:17], v18, v[16:17]
	v_lshlrev_b64 v[34:35], v31, 1
	v_lshrrev_b32_e32 v31, 23, v16
	v_add3_u32 v54, v18, v1, v31
	v_bfe_u32 v1, v16, 20, 1
	v_add_u32_e32 v1, -1, v1
	v_cmp_eq_u64_e32 vcc, v[32:33], v[34:35]
	v_cndmask_b32_e32 v1, 0, v1, vcc
	v_add_u32_e32 v1, v1, v16
	v_and_b32_e32 v1, 0xfffff, v1
	v_add_co_u32_e32 v16, vcc, v1, v16
	v_add_u32_e32 v31, 6, v54
	v_addc_co_u32_e32 v17, vcc, 0, v17, vcc
	v_cmp_ne_u32_e32 vcc, 0, v31
                                        ; implicit-def: $vgpr18
	s_and_saveexec_b64 s[28:29], vcc
	s_xor_b64 s[28:29], exec, s[28:29]
; %bb.1076:                             ;   in Loop: Header=BB4_580 Depth=4
	v_add_u32_e32 v1, 7, v54
	v_cmp_lt_u64_e32 vcc, s[58:59], v[16:17]
	v_cndmask_b32_e32 v18, v31, v1, vcc
	v_cndmask_b32_e64 v1, 0, 1, vcc
	v_lshrrev_b64 v[16:17], v1, v[16:17]
; %bb.1077:                             ;   in Loop: Header=BB4_580 Depth=4
	s_andn2_saveexec_b64 s[28:29], s[28:29]
; %bb.1078:                             ;   in Loop: Header=BB4_580 Depth=4
	v_bfe_u32 v18, v16, 23, 1
; %bb.1079:                             ;   in Loop: Header=BB4_580 Depth=4
	s_or_b64 exec, exec, s[28:29]
	v_lshrrev_b64 v[16:17], 20, v[16:17]
	v_cmp_gt_i32_e32 vcc, 16, v18
	v_cndmask_b32_e32 v17, 0, v17, vcc
	v_cndmask_b32_e32 v16, 7, v16, vcc
	v_min_i32_e32 v1, 15, v18
	v_cmp_eq_u32_e32 vcc, 0, v18
	v_cmp_eq_u64_e64 s[28:29], 0, v[16:17]
	v_lshlrev_b32_e32 v1, 3, v1
	v_and_or_b32 v1, v16, 7, v1
	s_and_b64 s[28:29], vcc, s[28:29]
	v_cndmask_b32_e64 v1, v1, 0, s[28:29]
	v_or_b32_e32 v42, v1, v3
.LBB4_1080:                             ;   in Loop: Header=BB4_580 Depth=4
	s_or_b64 exec, exec, s[68:69]
.LBB4_1081:                             ;   in Loop: Header=BB4_580 Depth=4
	s_or_b64 exec, exec, s[66:67]
                                        ; implicit-def: $vgpr18
                                        ; implicit-def: $vgpr16_vgpr17
.LBB4_1082:                             ;   in Loop: Header=BB4_580 Depth=4
	s_andn2_saveexec_b64 s[28:29], s[64:65]
; %bb.1083:                             ;   in Loop: Header=BB4_580 Depth=4
	v_or_b32_sdwa v1, v18, s92 dst_sel:DWORD dst_unused:UNUSED_PAD src0_sel:BYTE_3 src1_sel:DWORD
	v_cmp_eq_u64_e32 vcc, 0, v[16:17]
	v_cndmask_b32_e32 v42, v1, v42, vcc
; %bb.1084:                             ;   in Loop: Header=BB4_580 Depth=4
	s_or_b64 exec, exec, s[28:29]
	v_lshrrev_b16_e32 v16, 8, v58
	v_cmp_ne_u16_e32 vcc, 0, v16
	v_mov_b32_e32 v3, 0
	v_mov_b32_e32 v17, 0
	s_and_saveexec_b64 s[28:29], vcc
	s_cbranch_execz .LBB4_1090
; %bb.1085:                             ;   in Loop: Header=BB4_580 Depth=4
	v_cmp_ne_u16_e32 vcc, s91, v16
	v_bfrev_b32_e32 v17, 1
	s_and_saveexec_b64 s[64:65], vcc
	s_cbranch_execz .LBB4_1089
; %bb.1086:                             ;   in Loop: Header=BB4_580 Depth=4
	v_and_b32_e32 v1, 0x7f, v16
	v_cmp_ne_u32_e32 vcc, s92, v1
	v_mov_b32_e32 v17, 0x7f800001
	s_and_saveexec_b64 s[66:67], vcc
	s_cbranch_execz .LBB4_1088
; %bb.1087:                             ;   in Loop: Header=BB4_580 Depth=4
	v_and_b32_e32 v18, 7, v16
	v_ffbh_u32_e32 v17, v18
	v_min_u32_e32 v32, 32, v17
	v_subrev_u32_e32 v17, 28, v32
	v_lshlrev_b64 v[16:17], v17, v[16:17]
	v_lshrrev_b32_e32 v31, 3, v1
	v_sub_u32_e32 v17, 29, v32
	v_and_b32_e32 v16, 7, v16
	v_cmp_gt_u32_e32 vcc, 8, v1
	v_cndmask_b32_e32 v1, v31, v17, vcc
	v_cndmask_b32_e32 v16, v18, v16, vcc
	v_lshlrev_b32_e32 v17, 16, v58
	v_bfrev_b32_e32 v18, 60
	v_lshlrev_b32_e32 v16, 20, v16
	v_and_b32_e32 v17, 0x80000000, v17
	v_lshl_add_u32 v1, v1, 23, v18
	v_or3_b32 v17, v17, v1, v16
.LBB4_1088:                             ;   in Loop: Header=BB4_580 Depth=4
	s_or_b64 exec, exec, s[66:67]
.LBB4_1089:                             ;   in Loop: Header=BB4_580 Depth=4
	s_or_b64 exec, exec, s[64:65]
.LBB4_1090:                             ;   in Loop: Header=BB4_580 Depth=4
	s_or_b64 exec, exec, s[28:29]
	v_mov_b32_e32 v16, v9
	v_lshrrev_b16_e32 v18, 8, v16
	v_cmp_ne_u16_e32 vcc, 0, v18
	s_and_saveexec_b64 s[28:29], vcc
	s_cbranch_execz .LBB4_1096
; %bb.1091:                             ;   in Loop: Header=BB4_580 Depth=4
	v_cmp_ne_u16_e32 vcc, s91, v18
	v_bfrev_b32_e32 v3, 1
	s_and_saveexec_b64 s[64:65], vcc
	s_cbranch_execz .LBB4_1095
; %bb.1092:                             ;   in Loop: Header=BB4_580 Depth=4
	v_and_b32_e32 v1, 0x7f, v18
	v_cmp_ne_u32_e32 vcc, s92, v1
	v_mov_b32_e32 v3, 0x7f800001
	s_and_saveexec_b64 s[66:67], vcc
	s_cbranch_execz .LBB4_1094
; %bb.1093:                             ;   in Loop: Header=BB4_580 Depth=4
	v_and_b32_e32 v3, 7, v18
	v_ffbh_u32_e32 v32, v3
	v_min_u32_e32 v34, 32, v32
	v_subrev_u32_e32 v32, 28, v34
	v_lshlrev_b64 v[32:33], v32, v[18:19]
	v_lshrrev_b32_e32 v31, 3, v1
	v_sub_u32_e32 v18, 29, v34
	v_and_b32_e32 v32, 7, v32
	v_cmp_gt_u32_e32 vcc, 8, v1
	v_cndmask_b32_e32 v1, v31, v18, vcc
	v_cndmask_b32_e32 v3, v3, v32, vcc
	v_lshlrev_b32_e32 v16, 16, v16
	v_bfrev_b32_e32 v18, 60
	v_lshlrev_b32_e32 v3, 20, v3
	v_and_b32_e32 v16, 0x80000000, v16
	v_lshl_add_u32 v1, v1, 23, v18
	v_or3_b32 v3, v16, v1, v3
.LBB4_1094:                             ;   in Loop: Header=BB4_580 Depth=4
	s_or_b64 exec, exec, s[66:67]
.LBB4_1095:                             ;   in Loop: Header=BB4_580 Depth=4
	s_or_b64 exec, exec, s[64:65]
.LBB4_1096:                             ;   in Loop: Header=BB4_580 Depth=4
	s_or_b64 exec, exec, s[28:29]
	v_add_f32_e32 v16, v17, v3
	v_and_b32_sdwa v3, v16, s91 dst_sel:DWORD dst_unused:UNUSED_PAD src0_sel:BYTE_3 src1_sel:DWORD
	v_and_b32_e32 v32, 0x7f800000, v16
	v_mov_b32_e32 v33, v59
	v_and_b32_e32 v58, 0x7fffff, v16
	v_or_b32_e32 v18, 0x7e, v3
	v_cmp_ne_u64_e32 vcc, s[54:55], v[32:33]
	s_and_saveexec_b64 s[28:29], vcc
	s_xor_b64 s[64:65], exec, s[28:29]
	s_cbranch_execz .LBB4_1106
; %bb.1097:                             ;   in Loop: Header=BB4_580 Depth=4
	v_and_b32_e32 v32, 0x7fffffff, v16
	v_mov_b32_e32 v33, v59
	v_cmp_gt_u64_e32 vcc, s[56:57], v[32:33]
	s_and_saveexec_b64 s[66:67], vcc
	s_cbranch_execz .LBB4_1105
; %bb.1098:                             ;   in Loop: Header=BB4_580 Depth=4
	v_cmp_ne_u32_e32 vcc, 0, v16
	v_mov_b32_e32 v18, 0
	s_and_saveexec_b64 s[68:69], vcc
	s_cbranch_execz .LBB4_1104
; %bb.1099:                             ;   in Loop: Header=BB4_580 Depth=4
	v_bfe_u32 v1, v16, 23, 8
	v_sub_u32_e32 v17, 0x79, v1
	v_cmp_gt_u32_e32 vcc, s93, v1
	v_add_u32_e32 v16, 0xffffff81, v1
	v_cndmask_b32_e32 v17, 0, v17, vcc
	v_cmp_eq_u32_e32 vcc, 0, v1
	v_mov_b32_e32 v1, 0xffffff82
	v_cndmask_b32_e32 v1, v16, v1, vcc
	v_mov_b32_e32 v16, 0x78
	v_or_b32_e32 v18, 0x800000, v58
	v_cndmask_b32_e32 v31, v17, v16, vcc
	v_cndmask_b32_e32 v58, v18, v58, vcc
	v_add_u32_e32 v16, 20, v31
	v_lshlrev_b64 v[16:17], v16, -1
	v_add_u32_e32 v18, 19, v31
	v_lshrrev_b64 v[34:35], v31, v[58:59]
	v_not_b32_e32 v17, v17
	v_not_b32_e32 v16, v16
	v_lshlrev_b64 v[32:33], v18, 1
	v_lshrrev_b32_e32 v18, 23, v34
	v_and_b32_e32 v17, 0, v17
	v_and_b32_e32 v16, v58, v16
	v_add3_u32 v54, v31, v1, v18
	v_bfe_u32 v1, v34, 20, 1
	v_add_u32_e32 v1, -1, v1
	v_cmp_eq_u64_e32 vcc, v[16:17], v[32:33]
	v_cndmask_b32_e32 v1, 0, v1, vcc
	v_add_u32_e32 v1, v1, v34
	v_and_b32_e32 v1, 0xfffff, v1
	v_add_co_u32_e32 v16, vcc, v1, v34
	v_add_u32_e32 v31, 6, v54
	v_addc_co_u32_e32 v17, vcc, 0, v35, vcc
	v_cmp_ne_u32_e32 vcc, 0, v31
                                        ; implicit-def: $vgpr18
	s_and_saveexec_b64 s[28:29], vcc
	s_xor_b64 s[28:29], exec, s[28:29]
; %bb.1100:                             ;   in Loop: Header=BB4_580 Depth=4
	v_add_u32_e32 v1, 7, v54
	v_cmp_lt_u64_e32 vcc, s[58:59], v[16:17]
	v_cndmask_b32_e32 v18, v31, v1, vcc
	v_cndmask_b32_e64 v1, 0, 1, vcc
	v_lshrrev_b64 v[16:17], v1, v[16:17]
; %bb.1101:                             ;   in Loop: Header=BB4_580 Depth=4
	s_andn2_saveexec_b64 s[28:29], s[28:29]
; %bb.1102:                             ;   in Loop: Header=BB4_580 Depth=4
	v_bfe_u32 v18, v16, 23, 1
; %bb.1103:                             ;   in Loop: Header=BB4_580 Depth=4
	s_or_b64 exec, exec, s[28:29]
	v_lshrrev_b64 v[16:17], 20, v[16:17]
	v_cmp_gt_i32_e32 vcc, 16, v18
	v_cndmask_b32_e32 v17, 0, v17, vcc
	v_cndmask_b32_e32 v16, 7, v16, vcc
	v_min_i32_e32 v1, 15, v18
	v_cmp_eq_u32_e32 vcc, 0, v18
	v_cmp_eq_u64_e64 s[28:29], 0, v[16:17]
	v_lshlrev_b32_e32 v1, 3, v1
	v_and_or_b32 v1, v16, 7, v1
	s_and_b64 s[28:29], vcc, s[28:29]
	v_cndmask_b32_e64 v1, v1, 0, s[28:29]
	v_or_b32_e32 v18, v1, v3
.LBB4_1104:                             ;   in Loop: Header=BB4_580 Depth=4
	s_or_b64 exec, exec, s[68:69]
.LBB4_1105:                             ;   in Loop: Header=BB4_580 Depth=4
	s_or_b64 exec, exec, s[66:67]
                                        ; implicit-def: $vgpr16
.LBB4_1106:                             ;   in Loop: Header=BB4_580 Depth=4
	s_andn2_saveexec_b64 s[28:29], s[64:65]
; %bb.1107:                             ;   in Loop: Header=BB4_580 Depth=4
	v_or_b32_sdwa v1, v16, s92 dst_sel:DWORD dst_unused:UNUSED_PAD src0_sel:BYTE_3 src1_sel:DWORD
	v_cmp_eq_u64_e32 vcc, 0, v[58:59]
	v_cndmask_b32_e32 v18, v1, v18, vcc
; %bb.1108:                             ;   in Loop: Header=BB4_580 Depth=4
	s_or_b64 exec, exec, s[28:29]
	v_lshrrev_b32_e32 v16, 16, v13
	v_cmp_ne_u16_sdwa vcc, v16, v59 src0_sel:BYTE_0 src1_sel:DWORD
	v_mov_b32_e32 v3, 0
	v_mov_b32_e32 v17, 0
	s_and_saveexec_b64 s[28:29], vcc
	s_cbranch_execz .LBB4_1114
; %bb.1109:                             ;   in Loop: Header=BB4_580 Depth=4
	v_cmp_ne_u16_sdwa vcc, v16, s91 src0_sel:BYTE_0 src1_sel:DWORD
	v_bfrev_b32_e32 v17, 1
	s_and_saveexec_b64 s[64:65], vcc
	s_cbranch_execz .LBB4_1113
; %bb.1110:                             ;   in Loop: Header=BB4_580 Depth=4
	v_bfe_u32 v1, v13, 16, 7
	v_cmp_ne_u32_e32 vcc, s92, v1
	v_mov_b32_e32 v17, 0x7f800001
	s_and_saveexec_b64 s[66:67], vcc
	s_cbranch_execz .LBB4_1112
; %bb.1111:                             ;   in Loop: Header=BB4_580 Depth=4
	v_and_b32_e32 v17, 7, v16
	v_ffbh_u32_e32 v32, v17
	v_min_u32_e32 v34, 32, v32
	v_subrev_u32_e32 v32, 28, v34
	v_lshlrev_b64 v[32:33], v32, v[16:17]
	v_lshrrev_b32_e32 v31, 3, v1
	v_sub_u32_e32 v33, 29, v34
	v_and_b32_e32 v32, 7, v32
	v_cmp_gt_u32_e32 vcc, 8, v1
	v_cndmask_b32_e32 v1, v31, v33, vcc
	v_cndmask_b32_e32 v17, v17, v32, vcc
	v_lshlrev_b32_e32 v16, 24, v16
	v_bfrev_b32_e32 v31, 60
	v_lshlrev_b32_e32 v17, 20, v17
	v_and_b32_e32 v16, 0x80000000, v16
	v_lshl_add_u32 v1, v1, 23, v31
	v_or3_b32 v17, v16, v1, v17
.LBB4_1112:                             ;   in Loop: Header=BB4_580 Depth=4
	s_or_b64 exec, exec, s[66:67]
.LBB4_1113:                             ;   in Loop: Header=BB4_580 Depth=4
	s_or_b64 exec, exec, s[64:65]
.LBB4_1114:                             ;   in Loop: Header=BB4_580 Depth=4
	s_or_b64 exec, exec, s[28:29]
	v_lshrrev_b32_e32 v16, 16, v9
	v_cmp_ne_u16_sdwa vcc, v16, v59 src0_sel:BYTE_0 src1_sel:DWORD
	s_and_saveexec_b64 s[28:29], vcc
	s_cbranch_execz .LBB4_1120
; %bb.1115:                             ;   in Loop: Header=BB4_580 Depth=4
	v_cmp_ne_u16_sdwa vcc, v16, s91 src0_sel:BYTE_0 src1_sel:DWORD
	v_bfrev_b32_e32 v3, 1
	s_and_saveexec_b64 s[64:65], vcc
	s_cbranch_execz .LBB4_1119
; %bb.1116:                             ;   in Loop: Header=BB4_580 Depth=4
	v_bfe_u32 v1, v9, 16, 7
	v_cmp_ne_u32_e32 vcc, s92, v1
	v_mov_b32_e32 v3, 0x7f800001
	s_and_saveexec_b64 s[66:67], vcc
	s_cbranch_execz .LBB4_1118
; %bb.1117:                             ;   in Loop: Header=BB4_580 Depth=4
	v_and_b32_e32 v3, 7, v16
	v_ffbh_u32_e32 v32, v3
	v_min_u32_e32 v34, 32, v32
	v_subrev_u32_e32 v32, 28, v34
	v_lshlrev_b64 v[32:33], v32, v[16:17]
	v_lshrrev_b32_e32 v31, 3, v1
	v_sub_u32_e32 v16, 29, v34
	v_and_b32_e32 v32, 7, v32
	v_cmp_gt_u32_e32 vcc, 8, v1
	v_cndmask_b32_e32 v1, v31, v16, vcc
	v_cndmask_b32_e32 v3, v3, v32, vcc
	v_lshlrev_b32_e32 v16, 8, v9
	v_bfrev_b32_e32 v31, 60
	v_lshlrev_b32_e32 v3, 20, v3
	v_and_b32_e32 v16, 0x80000000, v16
	v_lshl_add_u32 v1, v1, 23, v31
	v_or3_b32 v3, v16, v1, v3
.LBB4_1118:                             ;   in Loop: Header=BB4_580 Depth=4
	s_or_b64 exec, exec, s[66:67]
.LBB4_1119:                             ;   in Loop: Header=BB4_580 Depth=4
	s_or_b64 exec, exec, s[64:65]
.LBB4_1120:                             ;   in Loop: Header=BB4_580 Depth=4
	s_or_b64 exec, exec, s[28:29]
	v_add_f32_e32 v17, v17, v3
	v_and_b32_sdwa v3, v17, s91 dst_sel:DWORD dst_unused:UNUSED_PAD src0_sel:BYTE_3 src1_sel:DWORD
	v_and_b32_e32 v32, 0x7f800000, v17
	v_mov_b32_e32 v33, v59
	v_and_b32_e32 v58, 0x7fffff, v17
	v_or_b32_e32 v16, 0x7e, v3
	v_cmp_ne_u64_e32 vcc, s[54:55], v[32:33]
	s_and_saveexec_b64 s[28:29], vcc
	s_xor_b64 s[64:65], exec, s[28:29]
	s_cbranch_execz .LBB4_1130
; %bb.1121:                             ;   in Loop: Header=BB4_580 Depth=4
	v_and_b32_e32 v32, 0x7fffffff, v17
	v_mov_b32_e32 v33, v59
	v_cmp_gt_u64_e32 vcc, s[56:57], v[32:33]
	s_and_saveexec_b64 s[66:67], vcc
	s_cbranch_execz .LBB4_1129
; %bb.1122:                             ;   in Loop: Header=BB4_580 Depth=4
	v_cmp_ne_u32_e32 vcc, 0, v17
	v_mov_b32_e32 v16, 0
	s_and_saveexec_b64 s[68:69], vcc
	s_cbranch_execz .LBB4_1128
; %bb.1123:                             ;   in Loop: Header=BB4_580 Depth=4
	v_bfe_u32 v1, v17, 23, 8
	v_sub_u32_e32 v17, 0x79, v1
	v_cmp_gt_u32_e32 vcc, s93, v1
	v_add_u32_e32 v16, 0xffffff81, v1
	v_cndmask_b32_e32 v17, 0, v17, vcc
	v_cmp_eq_u32_e32 vcc, 0, v1
	v_mov_b32_e32 v1, 0xffffff82
	v_cndmask_b32_e32 v1, v16, v1, vcc
	v_mov_b32_e32 v16, 0x78
	v_or_b32_e32 v31, 0x800000, v58
	v_cndmask_b32_e32 v54, v17, v16, vcc
	v_cndmask_b32_e32 v58, v31, v58, vcc
	v_add_u32_e32 v16, 20, v54
	v_lshlrev_b64 v[16:17], v16, -1
	v_add_u32_e32 v31, 19, v54
	v_lshrrev_b64 v[34:35], v54, v[58:59]
	v_not_b32_e32 v17, v17
	v_not_b32_e32 v16, v16
	v_lshlrev_b64 v[32:33], v31, 1
	v_lshrrev_b32_e32 v31, 23, v34
	v_and_b32_e32 v17, 0, v17
	v_and_b32_e32 v16, v58, v16
	v_add3_u32 v55, v54, v1, v31
	v_bfe_u32 v1, v34, 20, 1
	v_add_u32_e32 v1, -1, v1
	v_cmp_eq_u64_e32 vcc, v[16:17], v[32:33]
	v_cndmask_b32_e32 v1, 0, v1, vcc
	v_add_u32_e32 v1, v1, v34
	v_and_b32_e32 v1, 0xfffff, v1
	v_add_co_u32_e32 v16, vcc, v1, v34
	v_add_u32_e32 v54, 6, v55
	v_addc_co_u32_e32 v17, vcc, 0, v35, vcc
	v_cmp_ne_u32_e32 vcc, 0, v54
                                        ; implicit-def: $vgpr31
	s_and_saveexec_b64 s[28:29], vcc
	s_xor_b64 s[28:29], exec, s[28:29]
; %bb.1124:                             ;   in Loop: Header=BB4_580 Depth=4
	v_add_u32_e32 v1, 7, v55
	v_cmp_lt_u64_e32 vcc, s[58:59], v[16:17]
	v_cndmask_b32_e32 v31, v54, v1, vcc
	v_cndmask_b32_e64 v1, 0, 1, vcc
	v_lshrrev_b64 v[16:17], v1, v[16:17]
; %bb.1125:                             ;   in Loop: Header=BB4_580 Depth=4
	s_andn2_saveexec_b64 s[28:29], s[28:29]
; %bb.1126:                             ;   in Loop: Header=BB4_580 Depth=4
	v_bfe_u32 v31, v16, 23, 1
; %bb.1127:                             ;   in Loop: Header=BB4_580 Depth=4
	s_or_b64 exec, exec, s[28:29]
	v_lshrrev_b64 v[16:17], 20, v[16:17]
	v_cmp_gt_i32_e32 vcc, 16, v31
	v_min_i32_e32 v1, 15, v31
	v_cndmask_b32_e32 v17, 0, v17, vcc
	v_cndmask_b32_e32 v16, 7, v16, vcc
	v_lshlrev_b32_e32 v1, 3, v1
	v_cmp_eq_u32_e32 vcc, 0, v31
	v_cmp_eq_u64_e64 s[28:29], 0, v[16:17]
	v_and_b32_e32 v1, 0xf8, v1
	v_and_or_b32 v1, v16, 7, v1
	s_and_b64 s[28:29], vcc, s[28:29]
	v_cndmask_b32_e64 v1, v1, 0, s[28:29]
	v_or_b32_e32 v16, v1, v3
.LBB4_1128:                             ;   in Loop: Header=BB4_580 Depth=4
	s_or_b64 exec, exec, s[68:69]
.LBB4_1129:                             ;   in Loop: Header=BB4_580 Depth=4
	s_or_b64 exec, exec, s[66:67]
                                        ; implicit-def: $vgpr17
.LBB4_1130:                             ;   in Loop: Header=BB4_580 Depth=4
	s_andn2_saveexec_b64 s[28:29], s[64:65]
; %bb.1131:                             ;   in Loop: Header=BB4_580 Depth=4
	v_or_b32_sdwa v1, v17, s92 dst_sel:DWORD dst_unused:UNUSED_PAD src0_sel:BYTE_3 src1_sel:DWORD
	v_cmp_eq_u64_e32 vcc, 0, v[58:59]
	v_cndmask_b32_e32 v16, v1, v16, vcc
; %bb.1132:                             ;   in Loop: Header=BB4_580 Depth=4
	s_or_b64 exec, exec, s[28:29]
	v_cmp_lt_u64_e32 vcc, s[44:45], v[12:13]
	v_mov_b32_e32 v3, 0
	v_mov_b32_e32 v17, 0
	s_and_saveexec_b64 s[28:29], vcc
	s_cbranch_execz .LBB4_1138
; %bb.1133:                             ;   in Loop: Header=BB4_580 Depth=4
	v_lshrrev_b32_e32 v12, 24, v13
	v_cmp_ne_u32_e32 vcc, s91, v12
	v_bfrev_b32_e32 v17, 1
	s_and_saveexec_b64 s[64:65], vcc
	s_cbranch_execz .LBB4_1137
; %bb.1134:                             ;   in Loop: Header=BB4_580 Depth=4
	v_bfe_u32 v1, v13, 24, 7
	v_cmp_ne_u32_e32 vcc, s92, v1
	v_mov_b32_e32 v17, 0x7f800001
	s_and_saveexec_b64 s[66:67], vcc
	s_cbranch_execz .LBB4_1136
; %bb.1135:                             ;   in Loop: Header=BB4_580 Depth=4
	v_and_b32_e32 v13, 7, v12
	v_ffbh_u32_e32 v31, v13
	v_min_u32_e32 v31, 32, v31
	v_subrev_u32_e32 v32, 28, v31
	v_lshlrev_b64 v[32:33], v32, v[12:13]
	v_lshrrev_b32_e32 v17, 3, v1
	v_sub_u32_e32 v31, 29, v31
	v_and_b32_e32 v32, 7, v32
	v_cmp_gt_u32_e32 vcc, 8, v1
	v_cndmask_b32_e32 v1, v17, v31, vcc
	v_cndmask_b32_e32 v13, v13, v32, vcc
	v_lshlrev_b32_e32 v12, 24, v12
	v_bfrev_b32_e32 v17, 60
	v_lshlrev_b32_e32 v13, 20, v13
	v_and_b32_e32 v12, 0x80000000, v12
	v_lshl_add_u32 v1, v1, 23, v17
	v_or3_b32 v17, v12, v1, v13
.LBB4_1136:                             ;   in Loop: Header=BB4_580 Depth=4
	s_or_b64 exec, exec, s[66:67]
.LBB4_1137:                             ;   in Loop: Header=BB4_580 Depth=4
	s_or_b64 exec, exec, s[64:65]
.LBB4_1138:                             ;   in Loop: Header=BB4_580 Depth=4
	s_or_b64 exec, exec, s[28:29]
	v_cmp_lt_u64_e32 vcc, s[44:45], v[8:9]
	s_and_saveexec_b64 s[28:29], vcc
	s_cbranch_execz .LBB4_1144
; %bb.1139:                             ;   in Loop: Header=BB4_580 Depth=4
	v_lshrrev_b32_e32 v8, 24, v9
	v_cmp_ne_u32_e32 vcc, s91, v8
	v_bfrev_b32_e32 v3, 1
	s_and_saveexec_b64 s[64:65], vcc
	s_cbranch_execz .LBB4_1143
; %bb.1140:                             ;   in Loop: Header=BB4_580 Depth=4
	v_bfe_u32 v1, v9, 24, 7
	v_cmp_ne_u32_e32 vcc, s92, v1
	v_mov_b32_e32 v3, 0x7f800001
	s_and_saveexec_b64 s[66:67], vcc
	s_cbranch_execz .LBB4_1142
; %bb.1141:                             ;   in Loop: Header=BB4_580 Depth=4
	v_and_b32_e32 v3, 7, v8
	v_ffbh_u32_e32 v12, v3
	v_min_u32_e32 v31, 32, v12
	v_lshrrev_b32_e32 v9, 3, v1
	v_subrev_u32_e32 v12, 28, v31
	v_lshlrev_b64 v[12:13], v12, v[8:9]
	v_sub_u32_e32 v13, 29, v31
	v_and_b32_e32 v12, 7, v12
	v_cmp_gt_u32_e32 vcc, 8, v1
	v_cndmask_b32_e32 v1, v9, v13, vcc
	v_cndmask_b32_e32 v3, v3, v12, vcc
	v_lshlrev_b32_e32 v8, 24, v8
	v_bfrev_b32_e32 v9, 60
	v_lshlrev_b32_e32 v3, 20, v3
	v_and_b32_e32 v8, 0x80000000, v8
	v_lshl_add_u32 v1, v1, 23, v9
	v_or3_b32 v3, v8, v1, v3
.LBB4_1142:                             ;   in Loop: Header=BB4_580 Depth=4
	s_or_b64 exec, exec, s[66:67]
.LBB4_1143:                             ;   in Loop: Header=BB4_580 Depth=4
	s_or_b64 exec, exec, s[64:65]
.LBB4_1144:                             ;   in Loop: Header=BB4_580 Depth=4
	s_or_b64 exec, exec, s[28:29]
	v_add_f32_e32 v8, v17, v3
	v_and_b32_sdwa v3, v8, s91 dst_sel:DWORD dst_unused:UNUSED_PAD src0_sel:BYTE_3 src1_sel:DWORD
	v_and_b32_e32 v32, 0x7f800000, v8
	v_mov_b32_e32 v33, v59
	v_and_b32_e32 v58, 0x7fffff, v8
	v_or_b32_e32 v13, 0x7e, v3
	v_cmp_ne_u64_e32 vcc, s[54:55], v[32:33]
	s_and_saveexec_b64 s[28:29], vcc
	s_xor_b64 s[64:65], exec, s[28:29]
	s_cbranch_execz .LBB4_1154
; %bb.1145:                             ;   in Loop: Header=BB4_580 Depth=4
	v_and_b32_e32 v32, 0x7fffffff, v8
	v_mov_b32_e32 v33, v59
	v_cmp_gt_u64_e32 vcc, s[56:57], v[32:33]
	s_and_saveexec_b64 s[66:67], vcc
	s_cbranch_execz .LBB4_1153
; %bb.1146:                             ;   in Loop: Header=BB4_580 Depth=4
	v_cmp_ne_u32_e32 vcc, 0, v8
	v_mov_b32_e32 v13, 0
	s_and_saveexec_b64 s[68:69], vcc
	s_cbranch_execz .LBB4_1152
; %bb.1147:                             ;   in Loop: Header=BB4_580 Depth=4
	v_bfe_u32 v1, v8, 23, 8
	v_sub_u32_e32 v9, 0x79, v1
	v_cmp_gt_u32_e32 vcc, s93, v1
	v_add_u32_e32 v8, 0xffffff81, v1
	v_cndmask_b32_e32 v9, 0, v9, vcc
	v_cmp_eq_u32_e32 vcc, 0, v1
	v_mov_b32_e32 v1, 0xffffff82
	v_cndmask_b32_e32 v1, v8, v1, vcc
	v_mov_b32_e32 v8, 0x78
	v_or_b32_e32 v12, 0x800000, v58
	v_cndmask_b32_e32 v13, v9, v8, vcc
	v_cndmask_b32_e32 v58, v12, v58, vcc
	v_add_u32_e32 v8, 20, v13
	v_lshlrev_b64 v[8:9], v8, -1
	v_add_u32_e32 v12, 19, v13
	v_lshrrev_b64 v[34:35], v13, v[58:59]
	v_not_b32_e32 v9, v9
	v_not_b32_e32 v8, v8
	v_lshlrev_b64 v[32:33], v12, 1
	v_lshrrev_b32_e32 v12, 23, v34
	v_and_b32_e32 v9, 0, v9
	v_and_b32_e32 v8, v58, v8
	v_add3_u32 v17, v13, v1, v12
	v_bfe_u32 v1, v34, 20, 1
	v_add_u32_e32 v1, -1, v1
	v_cmp_eq_u64_e32 vcc, v[8:9], v[32:33]
	v_cndmask_b32_e32 v1, 0, v1, vcc
	v_add_u32_e32 v1, v1, v34
	v_and_b32_e32 v1, 0xfffff, v1
	v_add_co_u32_e32 v8, vcc, v1, v34
	v_add_u32_e32 v13, 6, v17
	v_addc_co_u32_e32 v9, vcc, 0, v35, vcc
	v_cmp_ne_u32_e32 vcc, 0, v13
                                        ; implicit-def: $vgpr12
	s_and_saveexec_b64 s[28:29], vcc
	s_xor_b64 s[28:29], exec, s[28:29]
; %bb.1148:                             ;   in Loop: Header=BB4_580 Depth=4
	v_add_u32_e32 v1, 7, v17
	v_cmp_lt_u64_e32 vcc, s[58:59], v[8:9]
	v_cndmask_b32_e32 v12, v13, v1, vcc
	v_cndmask_b32_e64 v1, 0, 1, vcc
	v_lshrrev_b64 v[8:9], v1, v[8:9]
; %bb.1149:                             ;   in Loop: Header=BB4_580 Depth=4
	s_andn2_saveexec_b64 s[28:29], s[28:29]
; %bb.1150:                             ;   in Loop: Header=BB4_580 Depth=4
	v_bfe_u32 v12, v8, 23, 1
; %bb.1151:                             ;   in Loop: Header=BB4_580 Depth=4
	s_or_b64 exec, exec, s[28:29]
	v_lshrrev_b64 v[8:9], 20, v[8:9]
	v_cmp_gt_i32_e32 vcc, 16, v12
	v_min_i32_e32 v1, 15, v12
	v_cndmask_b32_e32 v9, 0, v9, vcc
	v_cndmask_b32_e32 v8, 7, v8, vcc
	v_lshlrev_b32_e32 v1, 3, v1
	v_cmp_eq_u32_e32 vcc, 0, v12
	v_cmp_eq_u64_e64 s[28:29], 0, v[8:9]
	v_and_b32_e32 v1, 0xf8, v1
	v_and_or_b32 v1, v8, 7, v1
	s_and_b64 s[28:29], vcc, s[28:29]
	v_cndmask_b32_e64 v1, v1, 0, s[28:29]
	v_or_b32_e32 v13, v1, v3
.LBB4_1152:                             ;   in Loop: Header=BB4_580 Depth=4
	s_or_b64 exec, exec, s[68:69]
.LBB4_1153:                             ;   in Loop: Header=BB4_580 Depth=4
	s_or_b64 exec, exec, s[66:67]
                                        ; implicit-def: $vgpr8
.LBB4_1154:                             ;   in Loop: Header=BB4_580 Depth=4
	s_andn2_saveexec_b64 s[28:29], s[64:65]
; %bb.1155:                             ;   in Loop: Header=BB4_580 Depth=4
	v_or_b32_sdwa v1, v8, s92 dst_sel:DWORD dst_unused:UNUSED_PAD src0_sel:BYTE_3 src1_sel:DWORD
	v_cmp_eq_u64_e32 vcc, 0, v[58:59]
	v_cndmask_b32_e32 v13, v1, v13, vcc
; %bb.1156:                             ;   in Loop: Header=BB4_580 Depth=4
	s_or_b64 exec, exec, s[28:29]
	v_cmp_ne_u16_sdwa vcc, v14, v59 src0_sel:BYTE_0 src1_sel:DWORD
	v_mov_b32_e32 v3, 0
	v_mov_b32_e32 v8, 0
	s_and_saveexec_b64 s[28:29], vcc
	s_cbranch_execz .LBB4_1162
; %bb.1157:                             ;   in Loop: Header=BB4_580 Depth=4
	v_cmp_ne_u16_sdwa vcc, v14, s91 src0_sel:BYTE_0 src1_sel:DWORD
	v_bfrev_b32_e32 v8, 1
	s_and_saveexec_b64 s[64:65], vcc
	s_cbranch_execz .LBB4_1161
; %bb.1158:                             ;   in Loop: Header=BB4_580 Depth=4
	v_and_b32_e32 v1, 0x7f, v14
	v_cmp_ne_u32_e32 vcc, s92, v1
	v_mov_b32_e32 v8, 0x7f800001
	s_and_saveexec_b64 s[66:67], vcc
	s_cbranch_execz .LBB4_1160
; %bb.1159:                             ;   in Loop: Header=BB4_580 Depth=4
	v_and_b32_e32 v8, 7, v14
	v_ffbh_u32_e32 v8, v8
	v_min_u32_e32 v8, 32, v8
	v_lshrrev_b32_e32 v9, 3, v1
	v_subrev_u32_e32 v12, 28, v8
	v_sub_u32_e32 v8, 29, v8
	v_cmp_gt_u32_e32 vcc, 8, v1
	v_cndmask_b32_e32 v1, v9, v8, vcc
	v_cndmask_b32_e32 v8, 0, v12, vcc
	v_lshlrev_b64 v[8:9], v8, v[14:15]
	v_lshlrev_b32_e32 v8, 20, v8
	v_lshlrev_b32_e32 v9, 24, v14
	v_bfrev_b32_e32 v12, 60
	v_and_b32_e32 v8, 0x700000, v8
	v_and_b32_e32 v9, 0x80000000, v9
	v_lshl_add_u32 v1, v1, 23, v12
	v_or3_b32 v8, v9, v1, v8
.LBB4_1160:                             ;   in Loop: Header=BB4_580 Depth=4
	s_or_b64 exec, exec, s[66:67]
.LBB4_1161:                             ;   in Loop: Header=BB4_580 Depth=4
	s_or_b64 exec, exec, s[64:65]
.LBB4_1162:                             ;   in Loop: Header=BB4_580 Depth=4
	s_or_b64 exec, exec, s[28:29]
	v_cmp_ne_u16_sdwa vcc, v10, v59 src0_sel:BYTE_0 src1_sel:DWORD
	s_and_saveexec_b64 s[28:29], vcc
	s_cbranch_execz .LBB4_1168
; %bb.1163:                             ;   in Loop: Header=BB4_580 Depth=4
	v_cmp_ne_u16_sdwa vcc, v10, s91 src0_sel:BYTE_0 src1_sel:DWORD
	v_bfrev_b32_e32 v3, 1
	s_and_saveexec_b64 s[64:65], vcc
	s_cbranch_execz .LBB4_1167
; %bb.1164:                             ;   in Loop: Header=BB4_580 Depth=4
	v_and_b32_e32 v1, 0x7f, v10
	v_cmp_ne_u32_e32 vcc, s92, v1
	v_mov_b32_e32 v3, 0x7f800001
	s_and_saveexec_b64 s[66:67], vcc
	s_cbranch_execz .LBB4_1166
; %bb.1165:                             ;   in Loop: Header=BB4_580 Depth=4
	v_and_b32_e32 v3, 7, v10
	v_ffbh_u32_e32 v3, v3
	v_min_u32_e32 v3, 32, v3
	v_lshrrev_b32_e32 v9, 3, v1
	v_subrev_u32_e32 v12, 28, v3
	v_sub_u32_e32 v3, 29, v3
	v_cmp_gt_u32_e32 vcc, 8, v1
	v_cndmask_b32_e32 v1, v9, v3, vcc
	v_cndmask_b32_e32 v3, 0, v12, vcc
	v_lshlrev_b64 v[32:33], v3, v[10:11]
	v_lshlrev_b32_e32 v3, 20, v32
	v_lshlrev_b32_e32 v9, 24, v10
	v_bfrev_b32_e32 v12, 60
	v_and_b32_e32 v3, 0x700000, v3
	v_and_b32_e32 v9, 0x80000000, v9
	v_lshl_add_u32 v1, v1, 23, v12
	v_or3_b32 v3, v9, v1, v3
.LBB4_1166:                             ;   in Loop: Header=BB4_580 Depth=4
	s_or_b64 exec, exec, s[66:67]
.LBB4_1167:                             ;   in Loop: Header=BB4_580 Depth=4
	s_or_b64 exec, exec, s[64:65]
.LBB4_1168:                             ;   in Loop: Header=BB4_580 Depth=4
	s_or_b64 exec, exec, s[28:29]
	v_add_f32_e32 v8, v8, v3
	v_and_b32_sdwa v3, v8, s91 dst_sel:DWORD dst_unused:UNUSED_PAD src0_sel:BYTE_3 src1_sel:DWORD
	v_and_b32_e32 v32, 0x7f800000, v8
	v_mov_b32_e32 v33, v59
	v_and_b32_e32 v58, 0x7fffff, v8
	v_or_b32_e32 v17, 0x7e, v3
	v_cmp_ne_u64_e32 vcc, s[54:55], v[32:33]
	s_and_saveexec_b64 s[28:29], vcc
	s_xor_b64 s[64:65], exec, s[28:29]
	s_cbranch_execz .LBB4_1178
; %bb.1169:                             ;   in Loop: Header=BB4_580 Depth=4
	v_and_b32_e32 v32, 0x7fffffff, v8
	v_mov_b32_e32 v33, v59
	v_cmp_gt_u64_e32 vcc, s[56:57], v[32:33]
	s_and_saveexec_b64 s[66:67], vcc
	s_cbranch_execz .LBB4_1177
; %bb.1170:                             ;   in Loop: Header=BB4_580 Depth=4
	v_cmp_ne_u32_e32 vcc, 0, v8
	v_mov_b32_e32 v17, 0
	s_and_saveexec_b64 s[68:69], vcc
	s_cbranch_execz .LBB4_1176
; %bb.1171:                             ;   in Loop: Header=BB4_580 Depth=4
	v_bfe_u32 v1, v8, 23, 8
	v_sub_u32_e32 v9, 0x79, v1
	v_cmp_gt_u32_e32 vcc, s93, v1
	v_add_u32_e32 v8, 0xffffff81, v1
	v_cndmask_b32_e32 v9, 0, v9, vcc
	v_cmp_eq_u32_e32 vcc, 0, v1
	v_mov_b32_e32 v1, 0xffffff82
	v_cndmask_b32_e32 v1, v8, v1, vcc
	v_mov_b32_e32 v8, 0x78
	v_or_b32_e32 v12, 0x800000, v58
	v_cndmask_b32_e32 v17, v9, v8, vcc
	v_cndmask_b32_e32 v58, v12, v58, vcc
	v_add_u32_e32 v8, 20, v17
	v_lshlrev_b64 v[8:9], v8, -1
	v_add_u32_e32 v12, 19, v17
	v_lshrrev_b64 v[34:35], v17, v[58:59]
	v_not_b32_e32 v9, v9
	v_not_b32_e32 v8, v8
	v_lshlrev_b64 v[32:33], v12, 1
	v_lshrrev_b32_e32 v12, 23, v34
	v_and_b32_e32 v9, 0, v9
	v_and_b32_e32 v8, v58, v8
	v_add3_u32 v31, v17, v1, v12
	v_bfe_u32 v1, v34, 20, 1
	v_add_u32_e32 v1, -1, v1
	v_cmp_eq_u64_e32 vcc, v[8:9], v[32:33]
	v_cndmask_b32_e32 v1, 0, v1, vcc
	v_add_u32_e32 v1, v1, v34
	v_and_b32_e32 v1, 0xfffff, v1
	v_add_co_u32_e32 v8, vcc, v1, v34
	v_add_u32_e32 v17, 6, v31
	v_addc_co_u32_e32 v9, vcc, 0, v35, vcc
	v_cmp_ne_u32_e32 vcc, 0, v17
                                        ; implicit-def: $vgpr12
	s_and_saveexec_b64 s[28:29], vcc
	s_xor_b64 s[28:29], exec, s[28:29]
; %bb.1172:                             ;   in Loop: Header=BB4_580 Depth=4
	v_add_u32_e32 v1, 7, v31
	v_cmp_lt_u64_e32 vcc, s[58:59], v[8:9]
	v_cndmask_b32_e32 v12, v17, v1, vcc
	v_cndmask_b32_e64 v1, 0, 1, vcc
	v_lshrrev_b64 v[8:9], v1, v[8:9]
; %bb.1173:                             ;   in Loop: Header=BB4_580 Depth=4
	s_andn2_saveexec_b64 s[28:29], s[28:29]
; %bb.1174:                             ;   in Loop: Header=BB4_580 Depth=4
	v_bfe_u32 v12, v8, 23, 1
; %bb.1175:                             ;   in Loop: Header=BB4_580 Depth=4
	s_or_b64 exec, exec, s[28:29]
	v_lshrrev_b64 v[8:9], 20, v[8:9]
	v_cmp_gt_i32_e32 vcc, 16, v12
	v_cndmask_b32_e32 v9, 0, v9, vcc
	v_cndmask_b32_e32 v8, 7, v8, vcc
	v_min_i32_e32 v1, 15, v12
	v_cmp_eq_u32_e32 vcc, 0, v12
	v_cmp_eq_u64_e64 s[28:29], 0, v[8:9]
	v_lshlrev_b32_e32 v1, 3, v1
	v_and_or_b32 v1, v8, 7, v1
	s_and_b64 s[28:29], vcc, s[28:29]
	v_cndmask_b32_e64 v1, v1, 0, s[28:29]
	v_or_b32_e32 v17, v1, v3
.LBB4_1176:                             ;   in Loop: Header=BB4_580 Depth=4
	s_or_b64 exec, exec, s[68:69]
.LBB4_1177:                             ;   in Loop: Header=BB4_580 Depth=4
	s_or_b64 exec, exec, s[66:67]
                                        ; implicit-def: $vgpr8
.LBB4_1178:                             ;   in Loop: Header=BB4_580 Depth=4
	s_andn2_saveexec_b64 s[28:29], s[64:65]
; %bb.1179:                             ;   in Loop: Header=BB4_580 Depth=4
	v_or_b32_sdwa v1, v8, s92 dst_sel:DWORD dst_unused:UNUSED_PAD src0_sel:BYTE_3 src1_sel:DWORD
	v_cmp_eq_u64_e32 vcc, 0, v[58:59]
	v_cndmask_b32_e32 v17, v1, v17, vcc
; %bb.1180:                             ;   in Loop: Header=BB4_580 Depth=4
	s_or_b64 exec, exec, s[28:29]
	v_lshrrev_b16_e32 v8, 8, v14
	v_cmp_ne_u16_e32 vcc, 0, v8
	v_mov_b32_e32 v3, 0
	v_mov_b32_e32 v9, 0
	s_and_saveexec_b64 s[28:29], vcc
	s_cbranch_execz .LBB4_1186
; %bb.1181:                             ;   in Loop: Header=BB4_580 Depth=4
	v_cmp_ne_u16_e32 vcc, s91, v8
	v_bfrev_b32_e32 v9, 1
	s_and_saveexec_b64 s[64:65], vcc
	s_cbranch_execz .LBB4_1185
; %bb.1182:                             ;   in Loop: Header=BB4_580 Depth=4
	v_and_b32_e32 v1, 0x7f, v8
	v_cmp_ne_u32_e32 vcc, s92, v1
	v_mov_b32_e32 v9, 0x7f800001
	s_and_saveexec_b64 s[66:67], vcc
	s_cbranch_execz .LBB4_1184
; %bb.1183:                             ;   in Loop: Header=BB4_580 Depth=4
	v_and_b32_e32 v12, 7, v8
	v_ffbh_u32_e32 v9, v12
	v_min_u32_e32 v32, 32, v9
	v_subrev_u32_e32 v9, 28, v32
	v_lshlrev_b64 v[8:9], v9, v[8:9]
	v_lshrrev_b32_e32 v31, 3, v1
	v_sub_u32_e32 v9, 29, v32
	v_and_b32_e32 v8, 7, v8
	v_cmp_gt_u32_e32 vcc, 8, v1
	v_cndmask_b32_e32 v1, v31, v9, vcc
	v_cndmask_b32_e32 v8, v12, v8, vcc
	v_lshlrev_b32_e32 v9, 16, v14
	v_bfrev_b32_e32 v12, 60
	v_lshlrev_b32_e32 v8, 20, v8
	v_and_b32_e32 v9, 0x80000000, v9
	v_lshl_add_u32 v1, v1, 23, v12
	v_or3_b32 v9, v9, v1, v8
.LBB4_1184:                             ;   in Loop: Header=BB4_580 Depth=4
	s_or_b64 exec, exec, s[66:67]
.LBB4_1185:                             ;   in Loop: Header=BB4_580 Depth=4
	s_or_b64 exec, exec, s[64:65]
.LBB4_1186:                             ;   in Loop: Header=BB4_580 Depth=4
	s_or_b64 exec, exec, s[28:29]
	v_lshrrev_b16_e32 v8, 8, v10
	v_cmp_ne_u16_e32 vcc, 0, v8
	s_and_saveexec_b64 s[28:29], vcc
	s_cbranch_execz .LBB4_1192
; %bb.1187:                             ;   in Loop: Header=BB4_580 Depth=4
	v_cmp_ne_u16_e32 vcc, s91, v8
	v_bfrev_b32_e32 v3, 1
	s_and_saveexec_b64 s[64:65], vcc
	s_cbranch_execz .LBB4_1191
; %bb.1188:                             ;   in Loop: Header=BB4_580 Depth=4
	v_and_b32_e32 v1, 0x7f, v8
	v_cmp_ne_u32_e32 vcc, s92, v1
	v_mov_b32_e32 v3, 0x7f800001
	s_and_saveexec_b64 s[66:67], vcc
	s_cbranch_execz .LBB4_1190
; %bb.1189:                             ;   in Loop: Header=BB4_580 Depth=4
	v_and_b32_e32 v3, 7, v8
	v_ffbh_u32_e32 v31, v3
	v_min_u32_e32 v31, 32, v31
	v_subrev_u32_e32 v32, 28, v31
	v_lshlrev_b64 v[32:33], v32, v[8:9]
	v_lshrrev_b32_e32 v12, 3, v1
	v_sub_u32_e32 v8, 29, v31
	v_and_b32_e32 v31, 7, v32
	v_cmp_gt_u32_e32 vcc, 8, v1
	v_cndmask_b32_e32 v1, v12, v8, vcc
	v_cndmask_b32_e32 v3, v3, v31, vcc
	v_lshlrev_b32_e32 v8, 16, v10
	v_bfrev_b32_e32 v12, 60
	v_lshlrev_b32_e32 v3, 20, v3
	v_and_b32_e32 v8, 0x80000000, v8
	v_lshl_add_u32 v1, v1, 23, v12
	v_or3_b32 v3, v8, v1, v3
.LBB4_1190:                             ;   in Loop: Header=BB4_580 Depth=4
	s_or_b64 exec, exec, s[66:67]
.LBB4_1191:                             ;   in Loop: Header=BB4_580 Depth=4
	s_or_b64 exec, exec, s[64:65]
.LBB4_1192:                             ;   in Loop: Header=BB4_580 Depth=4
	s_or_b64 exec, exec, s[28:29]
	v_add_f32_e32 v8, v9, v3
	v_and_b32_sdwa v3, v8, s91 dst_sel:DWORD dst_unused:UNUSED_PAD src0_sel:BYTE_3 src1_sel:DWORD
	v_and_b32_e32 v32, 0x7f800000, v8
	v_mov_b32_e32 v33, v59
	v_and_b32_e32 v58, 0x7fffff, v8
	v_or_b32_e32 v54, 0x7e, v3
	v_cmp_ne_u64_e32 vcc, s[54:55], v[32:33]
	s_and_saveexec_b64 s[28:29], vcc
	s_xor_b64 s[64:65], exec, s[28:29]
	s_cbranch_execz .LBB4_1202
; %bb.1193:                             ;   in Loop: Header=BB4_580 Depth=4
	v_and_b32_e32 v32, 0x7fffffff, v8
	v_mov_b32_e32 v33, v59
	v_cmp_gt_u64_e32 vcc, s[56:57], v[32:33]
	s_and_saveexec_b64 s[66:67], vcc
	s_cbranch_execz .LBB4_1201
; %bb.1194:                             ;   in Loop: Header=BB4_580 Depth=4
	v_cmp_ne_u32_e32 vcc, 0, v8
	v_mov_b32_e32 v54, 0
	s_and_saveexec_b64 s[68:69], vcc
	s_cbranch_execz .LBB4_1200
; %bb.1195:                             ;   in Loop: Header=BB4_580 Depth=4
	v_bfe_u32 v1, v8, 23, 8
	v_sub_u32_e32 v9, 0x79, v1
	v_cmp_gt_u32_e32 vcc, s93, v1
	v_add_u32_e32 v8, 0xffffff81, v1
	v_cndmask_b32_e32 v9, 0, v9, vcc
	v_cmp_eq_u32_e32 vcc, 0, v1
	v_mov_b32_e32 v1, 0xffffff82
	v_cndmask_b32_e32 v1, v8, v1, vcc
	v_mov_b32_e32 v8, 0x78
	v_or_b32_e32 v12, 0x800000, v58
	v_cndmask_b32_e32 v31, v9, v8, vcc
	v_cndmask_b32_e32 v58, v12, v58, vcc
	v_add_u32_e32 v8, 20, v31
	v_lshlrev_b64 v[8:9], v8, -1
	v_add_u32_e32 v12, 19, v31
	v_lshrrev_b64 v[34:35], v31, v[58:59]
	v_not_b32_e32 v9, v9
	v_not_b32_e32 v8, v8
	v_lshlrev_b64 v[32:33], v12, 1
	v_lshrrev_b32_e32 v12, 23, v34
	v_and_b32_e32 v9, 0, v9
	v_and_b32_e32 v8, v58, v8
	v_add3_u32 v54, v31, v1, v12
	v_bfe_u32 v1, v34, 20, 1
	v_add_u32_e32 v1, -1, v1
	v_cmp_eq_u64_e32 vcc, v[8:9], v[32:33]
	v_cndmask_b32_e32 v1, 0, v1, vcc
	v_add_u32_e32 v1, v1, v34
	v_and_b32_e32 v1, 0xfffff, v1
	v_add_co_u32_e32 v8, vcc, v1, v34
	v_add_u32_e32 v31, 6, v54
	v_addc_co_u32_e32 v9, vcc, 0, v35, vcc
	v_cmp_ne_u32_e32 vcc, 0, v31
                                        ; implicit-def: $vgpr12
	s_and_saveexec_b64 s[28:29], vcc
	s_xor_b64 s[28:29], exec, s[28:29]
; %bb.1196:                             ;   in Loop: Header=BB4_580 Depth=4
	v_add_u32_e32 v1, 7, v54
	v_cmp_lt_u64_e32 vcc, s[58:59], v[8:9]
	v_cndmask_b32_e32 v12, v31, v1, vcc
	v_cndmask_b32_e64 v1, 0, 1, vcc
	v_lshrrev_b64 v[8:9], v1, v[8:9]
; %bb.1197:                             ;   in Loop: Header=BB4_580 Depth=4
	s_andn2_saveexec_b64 s[28:29], s[28:29]
; %bb.1198:                             ;   in Loop: Header=BB4_580 Depth=4
	v_bfe_u32 v12, v8, 23, 1
; %bb.1199:                             ;   in Loop: Header=BB4_580 Depth=4
	s_or_b64 exec, exec, s[28:29]
	v_lshrrev_b64 v[8:9], 20, v[8:9]
	v_cmp_gt_i32_e32 vcc, 16, v12
	v_cndmask_b32_e32 v9, 0, v9, vcc
	v_cndmask_b32_e32 v8, 7, v8, vcc
	v_min_i32_e32 v1, 15, v12
	v_cmp_eq_u32_e32 vcc, 0, v12
	v_cmp_eq_u64_e64 s[28:29], 0, v[8:9]
	v_lshlrev_b32_e32 v1, 3, v1
	v_and_or_b32 v1, v8, 7, v1
	s_and_b64 s[28:29], vcc, s[28:29]
	v_cndmask_b32_e64 v1, v1, 0, s[28:29]
	v_or_b32_e32 v54, v1, v3
.LBB4_1200:                             ;   in Loop: Header=BB4_580 Depth=4
	s_or_b64 exec, exec, s[68:69]
.LBB4_1201:                             ;   in Loop: Header=BB4_580 Depth=4
	s_or_b64 exec, exec, s[66:67]
                                        ; implicit-def: $vgpr8
.LBB4_1202:                             ;   in Loop: Header=BB4_580 Depth=4
	s_andn2_saveexec_b64 s[28:29], s[64:65]
; %bb.1203:                             ;   in Loop: Header=BB4_580 Depth=4
	v_or_b32_sdwa v1, v8, s92 dst_sel:DWORD dst_unused:UNUSED_PAD src0_sel:BYTE_3 src1_sel:DWORD
	v_cmp_eq_u64_e32 vcc, 0, v[58:59]
	v_cndmask_b32_e32 v54, v1, v54, vcc
; %bb.1204:                             ;   in Loop: Header=BB4_580 Depth=4
	s_or_b64 exec, exec, s[28:29]
	v_lshrrev_b32_e32 v8, 16, v14
	v_cmp_ne_u16_sdwa vcc, v8, v59 src0_sel:BYTE_0 src1_sel:DWORD
	v_mov_b32_e32 v3, 0
	v_mov_b32_e32 v9, 0
	s_and_saveexec_b64 s[28:29], vcc
	s_cbranch_execz .LBB4_1210
; %bb.1205:                             ;   in Loop: Header=BB4_580 Depth=4
	v_cmp_ne_u16_sdwa vcc, v8, s91 src0_sel:BYTE_0 src1_sel:DWORD
	v_bfrev_b32_e32 v9, 1
	s_and_saveexec_b64 s[64:65], vcc
	s_cbranch_execz .LBB4_1209
; %bb.1206:                             ;   in Loop: Header=BB4_580 Depth=4
	v_bfe_u32 v1, v14, 16, 7
	v_cmp_ne_u32_e32 vcc, s92, v1
	v_mov_b32_e32 v9, 0x7f800001
	s_and_saveexec_b64 s[66:67], vcc
	s_cbranch_execz .LBB4_1208
; %bb.1207:                             ;   in Loop: Header=BB4_580 Depth=4
	v_and_b32_e32 v9, 7, v8
	v_ffbh_u32_e32 v31, v9
	v_min_u32_e32 v31, 32, v31
	v_subrev_u32_e32 v32, 28, v31
	v_lshlrev_b64 v[32:33], v32, v[8:9]
	v_lshrrev_b32_e32 v12, 3, v1
	v_sub_u32_e32 v31, 29, v31
	v_and_b32_e32 v32, 7, v32
	v_cmp_gt_u32_e32 vcc, 8, v1
	v_cndmask_b32_e32 v1, v12, v31, vcc
	v_cndmask_b32_e32 v9, v9, v32, vcc
	v_lshlrev_b32_e32 v8, 24, v8
	v_bfrev_b32_e32 v12, 60
	v_lshlrev_b32_e32 v9, 20, v9
	v_and_b32_e32 v8, 0x80000000, v8
	v_lshl_add_u32 v1, v1, 23, v12
	v_or3_b32 v9, v8, v1, v9
.LBB4_1208:                             ;   in Loop: Header=BB4_580 Depth=4
	s_or_b64 exec, exec, s[66:67]
.LBB4_1209:                             ;   in Loop: Header=BB4_580 Depth=4
	s_or_b64 exec, exec, s[64:65]
.LBB4_1210:                             ;   in Loop: Header=BB4_580 Depth=4
	s_or_b64 exec, exec, s[28:29]
	v_lshrrev_b32_e32 v8, 16, v10
	v_cmp_ne_u16_sdwa vcc, v8, v59 src0_sel:BYTE_0 src1_sel:DWORD
	s_and_saveexec_b64 s[28:29], vcc
	s_cbranch_execz .LBB4_1216
; %bb.1211:                             ;   in Loop: Header=BB4_580 Depth=4
	v_cmp_ne_u16_sdwa vcc, v8, s91 src0_sel:BYTE_0 src1_sel:DWORD
	v_bfrev_b32_e32 v3, 1
	s_and_saveexec_b64 s[64:65], vcc
	s_cbranch_execz .LBB4_1215
; %bb.1212:                             ;   in Loop: Header=BB4_580 Depth=4
	v_bfe_u32 v1, v10, 16, 7
	v_cmp_ne_u32_e32 vcc, s92, v1
	v_mov_b32_e32 v3, 0x7f800001
	s_and_saveexec_b64 s[66:67], vcc
	s_cbranch_execz .LBB4_1214
; %bb.1213:                             ;   in Loop: Header=BB4_580 Depth=4
	v_and_b32_e32 v3, 7, v8
	v_ffbh_u32_e32 v31, v3
	v_min_u32_e32 v31, 32, v31
	v_subrev_u32_e32 v32, 28, v31
	v_lshlrev_b64 v[32:33], v32, v[8:9]
	v_lshrrev_b32_e32 v12, 3, v1
	v_sub_u32_e32 v8, 29, v31
	v_and_b32_e32 v31, 7, v32
	v_cmp_gt_u32_e32 vcc, 8, v1
	v_cndmask_b32_e32 v1, v12, v8, vcc
	v_cndmask_b32_e32 v3, v3, v31, vcc
	v_lshlrev_b32_e32 v8, 8, v10
	v_bfrev_b32_e32 v12, 60
	v_lshlrev_b32_e32 v3, 20, v3
	v_and_b32_e32 v8, 0x80000000, v8
	v_lshl_add_u32 v1, v1, 23, v12
	v_or3_b32 v3, v8, v1, v3
.LBB4_1214:                             ;   in Loop: Header=BB4_580 Depth=4
	s_or_b64 exec, exec, s[66:67]
.LBB4_1215:                             ;   in Loop: Header=BB4_580 Depth=4
	s_or_b64 exec, exec, s[64:65]
.LBB4_1216:                             ;   in Loop: Header=BB4_580 Depth=4
	s_or_b64 exec, exec, s[28:29]
	v_add_f32_e32 v8, v9, v3
	v_and_b32_sdwa v12, v8, s91 dst_sel:DWORD dst_unused:UNUSED_PAD src0_sel:BYTE_3 src1_sel:DWORD
	v_and_b32_e32 v32, 0x7f800000, v8
	v_mov_b32_e32 v33, v59
	v_and_b32_e32 v58, 0x7fffff, v8
	v_or_b32_e32 v3, 0x7e, v12
	v_cmp_ne_u64_e32 vcc, s[54:55], v[32:33]
	s_and_saveexec_b64 s[28:29], vcc
	s_xor_b64 s[64:65], exec, s[28:29]
	s_cbranch_execz .LBB4_1226
; %bb.1217:                             ;   in Loop: Header=BB4_580 Depth=4
	v_and_b32_e32 v32, 0x7fffffff, v8
	v_mov_b32_e32 v33, v59
	v_cmp_gt_u64_e32 vcc, s[56:57], v[32:33]
	s_and_saveexec_b64 s[66:67], vcc
	s_cbranch_execz .LBB4_1225
; %bb.1218:                             ;   in Loop: Header=BB4_580 Depth=4
	v_cmp_ne_u32_e32 vcc, 0, v8
	v_mov_b32_e32 v3, 0
	s_and_saveexec_b64 s[68:69], vcc
	s_cbranch_execz .LBB4_1224
; %bb.1219:                             ;   in Loop: Header=BB4_580 Depth=4
	v_bfe_u32 v1, v8, 23, 8
	v_sub_u32_e32 v8, 0x79, v1
	v_cmp_gt_u32_e32 vcc, s93, v1
	v_add_u32_e32 v3, 0xffffff81, v1
	v_cndmask_b32_e32 v8, 0, v8, vcc
	v_cmp_eq_u32_e32 vcc, 0, v1
	v_mov_b32_e32 v1, 0xffffff82
	v_cndmask_b32_e32 v1, v3, v1, vcc
	v_mov_b32_e32 v3, 0x78
	v_or_b32_e32 v9, 0x800000, v58
	v_cndmask_b32_e32 v3, v8, v3, vcc
	v_cndmask_b32_e32 v58, v9, v58, vcc
	v_add_u32_e32 v8, 20, v3
	v_lshlrev_b64 v[8:9], v8, -1
	v_add_u32_e32 v31, 19, v3
	v_lshrrev_b64 v[34:35], v3, v[58:59]
	v_not_b32_e32 v9, v9
	v_not_b32_e32 v8, v8
	v_lshlrev_b64 v[32:33], v31, 1
	v_lshrrev_b32_e32 v31, 23, v34
	v_and_b32_e32 v9, 0, v9
	v_and_b32_e32 v8, v58, v8
	v_add3_u32 v55, v3, v1, v31
	v_bfe_u32 v1, v34, 20, 1
	v_add_u32_e32 v1, -1, v1
	v_cmp_eq_u64_e32 vcc, v[8:9], v[32:33]
	v_cndmask_b32_e32 v1, 0, v1, vcc
	v_add_u32_e32 v1, v1, v34
	v_and_b32_e32 v1, 0xfffff, v1
	v_add_co_u32_e32 v8, vcc, v1, v34
	v_add_u32_e32 v31, 6, v55
	v_addc_co_u32_e32 v9, vcc, 0, v35, vcc
	v_cmp_ne_u32_e32 vcc, 0, v31
                                        ; implicit-def: $vgpr3
	s_and_saveexec_b64 s[28:29], vcc
	s_xor_b64 s[28:29], exec, s[28:29]
; %bb.1220:                             ;   in Loop: Header=BB4_580 Depth=4
	v_add_u32_e32 v1, 7, v55
	v_cmp_lt_u64_e32 vcc, s[58:59], v[8:9]
	v_cndmask_b32_e32 v3, v31, v1, vcc
	v_cndmask_b32_e64 v1, 0, 1, vcc
	v_lshrrev_b64 v[8:9], v1, v[8:9]
; %bb.1221:                             ;   in Loop: Header=BB4_580 Depth=4
	s_andn2_saveexec_b64 s[28:29], s[28:29]
; %bb.1222:                             ;   in Loop: Header=BB4_580 Depth=4
	v_bfe_u32 v3, v8, 23, 1
; %bb.1223:                             ;   in Loop: Header=BB4_580 Depth=4
	s_or_b64 exec, exec, s[28:29]
	v_lshrrev_b64 v[8:9], 20, v[8:9]
	v_cmp_gt_i32_e32 vcc, 16, v3
	v_cndmask_b32_e32 v9, 0, v9, vcc
	v_cndmask_b32_e32 v8, 7, v8, vcc
	v_min_i32_e32 v1, 15, v3
	v_cmp_eq_u32_e32 vcc, 0, v3
	v_cmp_eq_u64_e64 s[28:29], 0, v[8:9]
	v_lshlrev_b32_e32 v1, 3, v1
	v_and_or_b32 v1, v8, 7, v1
	s_and_b64 s[28:29], vcc, s[28:29]
	v_cndmask_b32_e64 v1, v1, 0, s[28:29]
	v_or_b32_e32 v3, v1, v12
.LBB4_1224:                             ;   in Loop: Header=BB4_580 Depth=4
	s_or_b64 exec, exec, s[68:69]
.LBB4_1225:                             ;   in Loop: Header=BB4_580 Depth=4
	s_or_b64 exec, exec, s[66:67]
                                        ; implicit-def: $vgpr8
.LBB4_1226:                             ;   in Loop: Header=BB4_580 Depth=4
	s_andn2_saveexec_b64 s[28:29], s[64:65]
; %bb.1227:                             ;   in Loop: Header=BB4_580 Depth=4
	v_or_b32_sdwa v1, v8, s92 dst_sel:DWORD dst_unused:UNUSED_PAD src0_sel:BYTE_3 src1_sel:DWORD
	v_cmp_eq_u64_e32 vcc, 0, v[58:59]
	v_cndmask_b32_e32 v3, v1, v3, vcc
; %bb.1228:                             ;   in Loop: Header=BB4_580 Depth=4
	s_or_b64 exec, exec, s[28:29]
	v_cmp_lt_u32_e32 vcc, s45, v14
	v_mov_b32_e32 v9, 0
	v_mov_b32_e32 v12, 0
	s_and_saveexec_b64 s[28:29], vcc
	s_cbranch_execz .LBB4_1234
; %bb.1229:                             ;   in Loop: Header=BB4_580 Depth=4
	v_lshrrev_b32_e32 v8, 24, v14
	v_cmp_ne_u32_e32 vcc, s91, v8
	v_bfrev_b32_e32 v12, 1
	s_and_saveexec_b64 s[64:65], vcc
	s_cbranch_execz .LBB4_1233
; %bb.1230:                             ;   in Loop: Header=BB4_580 Depth=4
	v_bfe_u32 v1, v14, 24, 7
	v_cmp_ne_u32_e32 vcc, s92, v1
	v_mov_b32_e32 v12, 0x7f800001
	s_and_saveexec_b64 s[66:67], vcc
	s_cbranch_execz .LBB4_1232
; %bb.1231:                             ;   in Loop: Header=BB4_580 Depth=4
	v_and_b32_e32 v12, 7, v8
	v_ffbh_u32_e32 v32, v12
	v_min_u32_e32 v34, 32, v32
	v_subrev_u32_e32 v32, 28, v34
	v_lshlrev_b64 v[32:33], v32, v[8:9]
	v_lshrrev_b32_e32 v31, 3, v1
	v_sub_u32_e32 v33, 29, v34
	v_and_b32_e32 v32, 7, v32
	v_cmp_gt_u32_e32 vcc, 8, v1
	v_cndmask_b32_e32 v1, v31, v33, vcc
	v_cndmask_b32_e32 v12, v12, v32, vcc
	v_lshlrev_b32_e32 v8, 24, v8
	v_bfrev_b32_e32 v31, 60
	v_lshlrev_b32_e32 v12, 20, v12
	v_and_b32_e32 v8, 0x80000000, v8
	v_lshl_add_u32 v1, v1, 23, v31
	v_or3_b32 v12, v8, v1, v12
.LBB4_1232:                             ;   in Loop: Header=BB4_580 Depth=4
	s_or_b64 exec, exec, s[66:67]
.LBB4_1233:                             ;   in Loop: Header=BB4_580 Depth=4
	s_or_b64 exec, exec, s[64:65]
.LBB4_1234:                             ;   in Loop: Header=BB4_580 Depth=4
	s_or_b64 exec, exec, s[28:29]
	v_cmp_lt_u32_e32 vcc, s45, v10
	s_and_saveexec_b64 s[28:29], vcc
	s_cbranch_execz .LBB4_1240
; %bb.1235:                             ;   in Loop: Header=BB4_580 Depth=4
	v_lshrrev_b32_e32 v8, 24, v10
	v_cmp_ne_u32_e32 vcc, s91, v8
	v_bfrev_b32_e32 v9, 1
	s_and_saveexec_b64 s[64:65], vcc
	s_cbranch_execz .LBB4_1239
; %bb.1236:                             ;   in Loop: Header=BB4_580 Depth=4
	v_bfe_u32 v1, v10, 24, 7
	v_cmp_ne_u32_e32 vcc, s92, v1
	v_mov_b32_e32 v9, 0x7f800001
	s_and_saveexec_b64 s[66:67], vcc
	s_cbranch_execz .LBB4_1238
; %bb.1237:                             ;   in Loop: Header=BB4_580 Depth=4
	v_and_b32_e32 v9, 7, v8
	v_ffbh_u32_e32 v32, v9
	v_min_u32_e32 v34, 32, v32
	v_subrev_u32_e32 v32, 28, v34
	v_lshlrev_b64 v[32:33], v32, v[8:9]
	v_lshrrev_b32_e32 v31, 3, v1
	v_sub_u32_e32 v33, 29, v34
	v_and_b32_e32 v32, 7, v32
	v_cmp_gt_u32_e32 vcc, 8, v1
	v_cndmask_b32_e32 v1, v31, v33, vcc
	v_cndmask_b32_e32 v9, v9, v32, vcc
	v_lshlrev_b32_e32 v8, 24, v8
	v_bfrev_b32_e32 v31, 60
	v_lshlrev_b32_e32 v9, 20, v9
	v_and_b32_e32 v8, 0x80000000, v8
	v_lshl_add_u32 v1, v1, 23, v31
	v_or3_b32 v9, v8, v1, v9
.LBB4_1238:                             ;   in Loop: Header=BB4_580 Depth=4
	s_or_b64 exec, exec, s[66:67]
.LBB4_1239:                             ;   in Loop: Header=BB4_580 Depth=4
	s_or_b64 exec, exec, s[64:65]
.LBB4_1240:                             ;   in Loop: Header=BB4_580 Depth=4
	s_or_b64 exec, exec, s[28:29]
	v_add_f32_e32 v8, v12, v9
	v_and_b32_sdwa v12, v8, s91 dst_sel:DWORD dst_unused:UNUSED_PAD src0_sel:BYTE_3 src1_sel:DWORD
	v_and_b32_e32 v32, 0x7f800000, v8
	v_mov_b32_e32 v33, v59
	v_and_b32_e32 v58, 0x7fffff, v8
	v_or_b32_e32 v46, 0x7e, v12
	v_cmp_ne_u64_e32 vcc, s[54:55], v[32:33]
	s_and_saveexec_b64 s[28:29], vcc
	s_xor_b64 s[64:65], exec, s[28:29]
	s_cbranch_execz .LBB4_1250
; %bb.1241:                             ;   in Loop: Header=BB4_580 Depth=4
	v_and_b32_e32 v32, 0x7fffffff, v8
	v_mov_b32_e32 v33, v59
	v_cmp_gt_u64_e32 vcc, s[56:57], v[32:33]
	s_and_saveexec_b64 s[66:67], vcc
	s_cbranch_execz .LBB4_1249
; %bb.1242:                             ;   in Loop: Header=BB4_580 Depth=4
	v_cmp_ne_u32_e32 vcc, 0, v8
	v_mov_b32_e32 v46, 0
	s_and_saveexec_b64 s[68:69], vcc
	s_cbranch_execz .LBB4_1248
; %bb.1243:                             ;   in Loop: Header=BB4_580 Depth=4
	v_bfe_u32 v1, v8, 23, 8
	v_sub_u32_e32 v9, 0x79, v1
	v_cmp_gt_u32_e32 vcc, s93, v1
	v_add_u32_e32 v8, 0xffffff81, v1
	v_cndmask_b32_e32 v9, 0, v9, vcc
	v_cmp_eq_u32_e32 vcc, 0, v1
	v_mov_b32_e32 v1, 0xffffff82
	v_cndmask_b32_e32 v1, v8, v1, vcc
	v_mov_b32_e32 v8, 0x78
	v_or_b32_e32 v31, 0x800000, v58
	v_cndmask_b32_e32 v55, v9, v8, vcc
	v_cndmask_b32_e32 v58, v31, v58, vcc
	v_add_u32_e32 v8, 20, v55
	v_lshlrev_b64 v[8:9], v8, -1
	v_add_u32_e32 v31, 19, v55
	v_lshrrev_b64 v[34:35], v55, v[58:59]
	v_not_b32_e32 v9, v9
	v_not_b32_e32 v8, v8
	v_lshlrev_b64 v[32:33], v31, 1
	v_lshrrev_b32_e32 v31, 23, v34
	v_and_b32_e32 v9, 0, v9
	v_and_b32_e32 v8, v58, v8
	v_add3_u32 v46, v55, v1, v31
	v_bfe_u32 v1, v34, 20, 1
	v_add_u32_e32 v1, -1, v1
	v_cmp_eq_u64_e32 vcc, v[8:9], v[32:33]
	v_cndmask_b32_e32 v1, 0, v1, vcc
	v_add_u32_e32 v1, v1, v34
	v_and_b32_e32 v1, 0xfffff, v1
	v_add_co_u32_e32 v8, vcc, v1, v34
	v_add_u32_e32 v55, 6, v46
	v_addc_co_u32_e32 v9, vcc, 0, v35, vcc
	v_cmp_ne_u32_e32 vcc, 0, v55
                                        ; implicit-def: $vgpr31
	s_and_saveexec_b64 s[28:29], vcc
	s_xor_b64 s[28:29], exec, s[28:29]
; %bb.1244:                             ;   in Loop: Header=BB4_580 Depth=4
	v_add_u32_e32 v1, 7, v46
	v_cmp_lt_u64_e32 vcc, s[58:59], v[8:9]
	v_cndmask_b32_e32 v31, v55, v1, vcc
	v_cndmask_b32_e64 v1, 0, 1, vcc
	v_lshrrev_b64 v[8:9], v1, v[8:9]
; %bb.1245:                             ;   in Loop: Header=BB4_580 Depth=4
	s_andn2_saveexec_b64 s[28:29], s[28:29]
; %bb.1246:                             ;   in Loop: Header=BB4_580 Depth=4
	v_bfe_u32 v31, v8, 23, 1
; %bb.1247:                             ;   in Loop: Header=BB4_580 Depth=4
	s_or_b64 exec, exec, s[28:29]
	v_lshrrev_b64 v[8:9], 20, v[8:9]
	v_cmp_gt_i32_e32 vcc, 16, v31
	v_cndmask_b32_e32 v9, 0, v9, vcc
	v_cndmask_b32_e32 v8, 7, v8, vcc
	v_min_i32_e32 v1, 15, v31
	v_cmp_eq_u32_e32 vcc, 0, v31
	v_cmp_eq_u64_e64 s[28:29], 0, v[8:9]
	v_lshlrev_b32_e32 v1, 3, v1
	v_and_or_b32 v1, v8, 7, v1
	s_and_b64 s[28:29], vcc, s[28:29]
	v_cndmask_b32_e64 v1, v1, 0, s[28:29]
	v_or_b32_e32 v46, v1, v12
.LBB4_1248:                             ;   in Loop: Header=BB4_580 Depth=4
	s_or_b64 exec, exec, s[68:69]
.LBB4_1249:                             ;   in Loop: Header=BB4_580 Depth=4
	s_or_b64 exec, exec, s[66:67]
                                        ; implicit-def: $vgpr8
.LBB4_1250:                             ;   in Loop: Header=BB4_580 Depth=4
	s_andn2_saveexec_b64 s[28:29], s[64:65]
; %bb.1251:                             ;   in Loop: Header=BB4_580 Depth=4
	v_or_b32_sdwa v1, v8, s92 dst_sel:DWORD dst_unused:UNUSED_PAD src0_sel:BYTE_3 src1_sel:DWORD
	v_cmp_eq_u64_e32 vcc, 0, v[58:59]
	v_cndmask_b32_e32 v46, v1, v46, vcc
; %bb.1252:                             ;   in Loop: Header=BB4_580 Depth=4
	s_or_b64 exec, exec, s[28:29]
	v_mov_b32_e32 v58, v15
	v_cmp_ne_u16_sdwa vcc, v15, v59 src0_sel:BYTE_0 src1_sel:DWORD
	v_mov_b32_e32 v9, 0
	v_mov_b32_e32 v8, 0
	s_and_saveexec_b64 s[28:29], vcc
	s_cbranch_execz .LBB4_1258
; %bb.1253:                             ;   in Loop: Header=BB4_580 Depth=4
	v_cmp_ne_u16_sdwa vcc, v15, s91 src0_sel:BYTE_0 src1_sel:DWORD
	v_bfrev_b32_e32 v8, 1
	s_and_saveexec_b64 s[64:65], vcc
	s_cbranch_execz .LBB4_1257
; %bb.1254:                             ;   in Loop: Header=BB4_580 Depth=4
	v_and_b32_e32 v1, 0x7f, v15
	v_cmp_ne_u32_e32 vcc, s92, v1
	v_mov_b32_e32 v8, 0x7f800001
	s_and_saveexec_b64 s[66:67], vcc
	s_cbranch_execz .LBB4_1256
; %bb.1255:                             ;   in Loop: Header=BB4_580 Depth=4
	v_and_b32_e32 v8, 7, v15
	v_ffbh_u32_e32 v8, v8
	v_min_u32_e32 v8, 32, v8
	v_lshrrev_b32_e32 v12, 3, v1
	v_subrev_u32_e32 v31, 28, v8
	v_sub_u32_e32 v8, 29, v8
	v_cmp_gt_u32_e32 vcc, 8, v1
	v_cndmask_b32_e32 v1, v12, v8, vcc
	v_cndmask_b32_e32 v8, 0, v31, vcc
	v_lshlrev_b64 v[32:33], v8, v[58:59]
	v_lshlrev_b32_e32 v8, 20, v32
	v_lshlrev_b32_e32 v12, 24, v58
	v_bfrev_b32_e32 v31, 60
	v_and_b32_e32 v8, 0x700000, v8
	v_and_b32_e32 v12, 0x80000000, v12
	v_lshl_add_u32 v1, v1, 23, v31
	v_or3_b32 v8, v12, v1, v8
.LBB4_1256:                             ;   in Loop: Header=BB4_580 Depth=4
	s_or_b64 exec, exec, s[66:67]
.LBB4_1257:                             ;   in Loop: Header=BB4_580 Depth=4
	s_or_b64 exec, exec, s[64:65]
.LBB4_1258:                             ;   in Loop: Header=BB4_580 Depth=4
	s_or_b64 exec, exec, s[28:29]
	v_cmp_ne_u16_sdwa vcc, v11, v59 src0_sel:BYTE_0 src1_sel:DWORD
	s_and_saveexec_b64 s[28:29], vcc
	s_cbranch_execz .LBB4_1264
; %bb.1259:                             ;   in Loop: Header=BB4_580 Depth=4
	v_cmp_ne_u16_sdwa vcc, v11, s91 src0_sel:BYTE_0 src1_sel:DWORD
	v_bfrev_b32_e32 v9, 1
	s_and_saveexec_b64 s[64:65], vcc
	s_cbranch_execz .LBB4_1263
; %bb.1260:                             ;   in Loop: Header=BB4_580 Depth=4
	v_and_b32_e32 v1, 0x7f, v11
	v_cmp_ne_u32_e32 vcc, s92, v1
	v_mov_b32_e32 v9, 0x7f800001
	s_and_saveexec_b64 s[66:67], vcc
	s_cbranch_execz .LBB4_1262
; %bb.1261:                             ;   in Loop: Header=BB4_580 Depth=4
	v_and_b32_e32 v9, 7, v11
	v_ffbh_u32_e32 v9, v9
	v_min_u32_e32 v9, 32, v9
	v_lshrrev_b32_e32 v12, 3, v1
	v_subrev_u32_e32 v31, 28, v9
	v_sub_u32_e32 v9, 29, v9
	v_cmp_gt_u32_e32 vcc, 8, v1
	v_mov_b32_e32 v32, v11
	v_mov_b32_e32 v33, v59
	v_cndmask_b32_e32 v1, v12, v9, vcc
	v_cndmask_b32_e32 v9, 0, v31, vcc
	v_lshlrev_b64 v[34:35], v9, v[32:33]
	v_lshlrev_b32_e32 v9, 20, v34
	v_lshlrev_b32_e32 v12, 24, v32
	v_bfrev_b32_e32 v31, 60
	v_and_b32_e32 v9, 0x700000, v9
	v_and_b32_e32 v12, 0x80000000, v12
	v_lshl_add_u32 v1, v1, 23, v31
	v_or3_b32 v9, v12, v1, v9
.LBB4_1262:                             ;   in Loop: Header=BB4_580 Depth=4
	s_or_b64 exec, exec, s[66:67]
.LBB4_1263:                             ;   in Loop: Header=BB4_580 Depth=4
	s_or_b64 exec, exec, s[64:65]
.LBB4_1264:                             ;   in Loop: Header=BB4_580 Depth=4
	s_or_b64 exec, exec, s[28:29]
	v_add_f32_e32 v55, v8, v9
	v_and_b32_sdwa v12, v55, s91 dst_sel:DWORD dst_unused:UNUSED_PAD src0_sel:BYTE_3 src1_sel:DWORD
	v_and_b32_e32 v32, 0x7f800000, v55
	v_mov_b32_e32 v33, v59
	v_and_b32_e32 v8, 0x7fffff, v55
	v_mov_b32_e32 v9, v59
	v_or_b32_e32 v31, 0x7e, v12
	v_cmp_ne_u64_e32 vcc, s[54:55], v[32:33]
	s_and_saveexec_b64 s[28:29], vcc
	s_xor_b64 s[64:65], exec, s[28:29]
	s_cbranch_execz .LBB4_1274
; %bb.1265:                             ;   in Loop: Header=BB4_580 Depth=4
	v_and_b32_e32 v32, 0x7fffffff, v55
	v_mov_b32_e32 v33, v59
	v_cmp_gt_u64_e32 vcc, s[56:57], v[32:33]
	s_and_saveexec_b64 s[66:67], vcc
	s_cbranch_execz .LBB4_1273
; %bb.1266:                             ;   in Loop: Header=BB4_580 Depth=4
	v_cmp_ne_u32_e32 vcc, 0, v55
	v_mov_b32_e32 v31, 0
	s_and_saveexec_b64 s[68:69], vcc
	s_cbranch_execz .LBB4_1272
; %bb.1267:                             ;   in Loop: Header=BB4_580 Depth=4
	v_bfe_u32 v1, v55, 23, 8
	v_sub_u32_e32 v32, 0x79, v1
	v_cmp_gt_u32_e32 vcc, s93, v1
	v_add_u32_e32 v31, 0xffffff81, v1
	v_cndmask_b32_e32 v32, 0, v32, vcc
	v_cmp_eq_u32_e32 vcc, 0, v1
	v_mov_b32_e32 v1, 0xffffff82
	v_cndmask_b32_e32 v1, v31, v1, vcc
	v_mov_b32_e32 v31, 0x78
	v_cndmask_b32_e32 v31, v32, v31, vcc
	v_or_b32_e32 v33, 0x800000, v8
	v_add_u32_e32 v32, 20, v31
	v_cndmask_b32_e32 v8, v33, v8, vcc
	v_lshlrev_b64 v[32:33], v32, -1
	v_not_b32_e32 v32, v32
	v_and_b32_e32 v32, v8, v32
	v_lshrrev_b64 v[8:9], v31, v[8:9]
	v_not_b32_e32 v33, v33
	v_add_u32_e32 v34, 19, v31
	v_lshrrev_b32_e32 v55, 23, v8
	v_and_b32_e32 v33, 0, v33
	v_lshlrev_b64 v[34:35], v34, 1
	v_add3_u32 v47, v31, v1, v55
	v_bfe_u32 v1, v8, 20, 1
	v_add_u32_e32 v1, -1, v1
	v_cmp_eq_u64_e32 vcc, v[32:33], v[34:35]
	v_cndmask_b32_e32 v1, 0, v1, vcc
	v_add_u32_e32 v1, v1, v8
	v_and_b32_e32 v1, 0xfffff, v1
	v_add_co_u32_e32 v8, vcc, v1, v8
	v_add_u32_e32 v55, 6, v47
	v_addc_co_u32_e32 v9, vcc, 0, v9, vcc
	v_cmp_ne_u32_e32 vcc, 0, v55
                                        ; implicit-def: $vgpr31
	s_and_saveexec_b64 s[28:29], vcc
	s_xor_b64 s[28:29], exec, s[28:29]
; %bb.1268:                             ;   in Loop: Header=BB4_580 Depth=4
	v_add_u32_e32 v1, 7, v47
	v_cmp_lt_u64_e32 vcc, s[58:59], v[8:9]
	v_cndmask_b32_e32 v31, v55, v1, vcc
	v_cndmask_b32_e64 v1, 0, 1, vcc
	v_lshrrev_b64 v[8:9], v1, v[8:9]
; %bb.1269:                             ;   in Loop: Header=BB4_580 Depth=4
	s_andn2_saveexec_b64 s[28:29], s[28:29]
; %bb.1270:                             ;   in Loop: Header=BB4_580 Depth=4
	v_bfe_u32 v31, v8, 23, 1
; %bb.1271:                             ;   in Loop: Header=BB4_580 Depth=4
	s_or_b64 exec, exec, s[28:29]
	v_lshrrev_b64 v[8:9], 20, v[8:9]
	v_cmp_gt_i32_e32 vcc, 16, v31
	v_cndmask_b32_e32 v9, 0, v9, vcc
	v_cndmask_b32_e32 v8, 7, v8, vcc
	v_min_i32_e32 v1, 15, v31
	v_cmp_eq_u32_e32 vcc, 0, v31
	v_cmp_eq_u64_e64 s[28:29], 0, v[8:9]
	v_lshlrev_b32_e32 v1, 3, v1
	v_and_or_b32 v1, v8, 7, v1
	s_and_b64 s[28:29], vcc, s[28:29]
	v_cndmask_b32_e64 v1, v1, 0, s[28:29]
	v_or_b32_e32 v31, v1, v12
.LBB4_1272:                             ;   in Loop: Header=BB4_580 Depth=4
	s_or_b64 exec, exec, s[68:69]
.LBB4_1273:                             ;   in Loop: Header=BB4_580 Depth=4
	s_or_b64 exec, exec, s[66:67]
                                        ; implicit-def: $vgpr55
                                        ; implicit-def: $vgpr8_vgpr9
.LBB4_1274:                             ;   in Loop: Header=BB4_580 Depth=4
	s_andn2_saveexec_b64 s[28:29], s[64:65]
; %bb.1275:                             ;   in Loop: Header=BB4_580 Depth=4
	v_or_b32_sdwa v1, v55, s92 dst_sel:DWORD dst_unused:UNUSED_PAD src0_sel:BYTE_3 src1_sel:DWORD
	v_cmp_eq_u64_e32 vcc, 0, v[8:9]
	v_cndmask_b32_e32 v31, v1, v31, vcc
; %bb.1276:                             ;   in Loop: Header=BB4_580 Depth=4
	s_or_b64 exec, exec, s[28:29]
	v_lshrrev_b16_e32 v8, 8, v58
	v_cmp_ne_u16_e32 vcc, 0, v8
	v_mov_b32_e32 v9, 0
	v_mov_b32_e32 v55, 0
	s_and_saveexec_b64 s[28:29], vcc
	s_cbranch_execz .LBB4_1282
; %bb.1277:                             ;   in Loop: Header=BB4_580 Depth=4
	v_cmp_ne_u16_e32 vcc, s91, v8
	v_bfrev_b32_e32 v55, 1
	s_and_saveexec_b64 s[64:65], vcc
	s_cbranch_execz .LBB4_1281
; %bb.1278:                             ;   in Loop: Header=BB4_580 Depth=4
	v_and_b32_e32 v1, 0x7f, v8
	v_cmp_ne_u32_e32 vcc, s92, v1
	v_mov_b32_e32 v55, 0x7f800001
	s_and_saveexec_b64 s[66:67], vcc
	s_cbranch_execz .LBB4_1280
; %bb.1279:                             ;   in Loop: Header=BB4_580 Depth=4
	v_and_b32_e32 v12, 7, v8
	v_ffbh_u32_e32 v32, v12
	v_min_u32_e32 v35, 32, v32
	v_subrev_u32_e32 v32, 28, v35
	v_lshlrev_b64 v[32:33], v32, v[8:9]
	v_lshrrev_b32_e32 v34, 3, v1
	v_sub_u32_e32 v8, 29, v35
	v_and_b32_e32 v32, 7, v32
	v_cmp_gt_u32_e32 vcc, 8, v1
	v_cndmask_b32_e32 v1, v34, v8, vcc
	v_cndmask_b32_e32 v8, v12, v32, vcc
	v_lshlrev_b32_e32 v12, 16, v58
	v_bfrev_b32_e32 v32, 60
	v_lshlrev_b32_e32 v8, 20, v8
	v_and_b32_e32 v12, 0x80000000, v12
	v_lshl_add_u32 v1, v1, 23, v32
	v_or3_b32 v55, v12, v1, v8
.LBB4_1280:                             ;   in Loop: Header=BB4_580 Depth=4
	s_or_b64 exec, exec, s[66:67]
.LBB4_1281:                             ;   in Loop: Header=BB4_580 Depth=4
	s_or_b64 exec, exec, s[64:65]
.LBB4_1282:                             ;   in Loop: Header=BB4_580 Depth=4
	s_or_b64 exec, exec, s[28:29]
	v_mov_b32_e32 v8, v11
	v_lshrrev_b16_e32 v12, 8, v8
	v_cmp_ne_u16_e32 vcc, 0, v12
	s_and_saveexec_b64 s[28:29], vcc
	s_cbranch_execz .LBB4_1288
; %bb.1283:                             ;   in Loop: Header=BB4_580 Depth=4
	v_cmp_ne_u16_e32 vcc, s91, v12
	v_bfrev_b32_e32 v9, 1
	s_and_saveexec_b64 s[64:65], vcc
	s_cbranch_execz .LBB4_1287
; %bb.1284:                             ;   in Loop: Header=BB4_580 Depth=4
	v_and_b32_e32 v1, 0x7f, v12
	v_cmp_ne_u32_e32 vcc, s92, v1
	v_mov_b32_e32 v9, 0x7f800001
	s_and_saveexec_b64 s[66:67], vcc
	s_cbranch_execz .LBB4_1286
; %bb.1285:                             ;   in Loop: Header=BB4_580 Depth=4
	v_and_b32_e32 v9, 7, v12
	v_ffbh_u32_e32 v32, v9
	v_min_u32_e32 v35, 32, v32
	v_subrev_u32_e32 v32, 28, v35
	v_lshlrev_b64 v[32:33], v32, v[12:13]
	v_lshrrev_b32_e32 v34, 3, v1
	v_sub_u32_e32 v12, 29, v35
	v_and_b32_e32 v32, 7, v32
	v_cmp_gt_u32_e32 vcc, 8, v1
	v_cndmask_b32_e32 v1, v34, v12, vcc
	v_cndmask_b32_e32 v9, v9, v32, vcc
	v_lshlrev_b32_e32 v8, 16, v8
	v_bfrev_b32_e32 v12, 60
	v_lshlrev_b32_e32 v9, 20, v9
	v_and_b32_e32 v8, 0x80000000, v8
	v_lshl_add_u32 v1, v1, 23, v12
	v_or3_b32 v9, v8, v1, v9
.LBB4_1286:                             ;   in Loop: Header=BB4_580 Depth=4
	s_or_b64 exec, exec, s[66:67]
.LBB4_1287:                             ;   in Loop: Header=BB4_580 Depth=4
	s_or_b64 exec, exec, s[64:65]
.LBB4_1288:                             ;   in Loop: Header=BB4_580 Depth=4
	s_or_b64 exec, exec, s[28:29]
	v_add_f32_e32 v8, v55, v9
	v_and_b32_sdwa v55, v8, s91 dst_sel:DWORD dst_unused:UNUSED_PAD src0_sel:BYTE_3 src1_sel:DWORD
	v_and_b32_e32 v32, 0x7f800000, v8
	v_mov_b32_e32 v33, v59
	v_and_b32_e32 v58, 0x7fffff, v8
	v_or_b32_e32 v12, 0x7e, v55
	v_cmp_ne_u64_e32 vcc, s[54:55], v[32:33]
	s_and_saveexec_b64 s[28:29], vcc
	s_xor_b64 s[64:65], exec, s[28:29]
	s_cbranch_execz .LBB4_1298
; %bb.1289:                             ;   in Loop: Header=BB4_580 Depth=4
	v_and_b32_e32 v32, 0x7fffffff, v8
	v_mov_b32_e32 v33, v59
	v_cmp_gt_u64_e32 vcc, s[56:57], v[32:33]
	s_and_saveexec_b64 s[66:67], vcc
	s_cbranch_execz .LBB4_1297
; %bb.1290:                             ;   in Loop: Header=BB4_580 Depth=4
	v_cmp_ne_u32_e32 vcc, 0, v8
	v_mov_b32_e32 v12, 0
	s_and_saveexec_b64 s[68:69], vcc
	s_cbranch_execz .LBB4_1296
; %bb.1291:                             ;   in Loop: Header=BB4_580 Depth=4
	v_bfe_u32 v1, v8, 23, 8
	v_sub_u32_e32 v9, 0x79, v1
	v_cmp_gt_u32_e32 vcc, s93, v1
	v_add_u32_e32 v8, 0xffffff81, v1
	v_cndmask_b32_e32 v9, 0, v9, vcc
	v_cmp_eq_u32_e32 vcc, 0, v1
	v_mov_b32_e32 v1, 0xffffff82
	v_cndmask_b32_e32 v1, v8, v1, vcc
	v_mov_b32_e32 v8, 0x78
	v_or_b32_e32 v12, 0x800000, v58
	v_cndmask_b32_e32 v47, v9, v8, vcc
	v_cndmask_b32_e32 v58, v12, v58, vcc
	v_add_u32_e32 v8, 20, v47
	v_lshlrev_b64 v[8:9], v8, -1
	v_add_u32_e32 v12, 19, v47
	v_lshrrev_b64 v[34:35], v47, v[58:59]
	v_not_b32_e32 v9, v9
	v_not_b32_e32 v8, v8
	v_lshlrev_b64 v[32:33], v12, 1
	v_lshrrev_b32_e32 v12, 23, v34
	v_and_b32_e32 v9, 0, v9
	v_and_b32_e32 v8, v58, v8
	v_add3_u32 v58, v47, v1, v12
	v_bfe_u32 v1, v34, 20, 1
	v_add_u32_e32 v1, -1, v1
	v_cmp_eq_u64_e32 vcc, v[8:9], v[32:33]
	v_cndmask_b32_e32 v1, 0, v1, vcc
	v_add_u32_e32 v1, v1, v34
	v_and_b32_e32 v1, 0xfffff, v1
	v_add_co_u32_e32 v8, vcc, v1, v34
	v_add_u32_e32 v47, 6, v58
	v_addc_co_u32_e32 v9, vcc, 0, v35, vcc
	v_cmp_ne_u32_e32 vcc, 0, v47
                                        ; implicit-def: $vgpr12
	s_and_saveexec_b64 s[28:29], vcc
	s_xor_b64 s[28:29], exec, s[28:29]
; %bb.1292:                             ;   in Loop: Header=BB4_580 Depth=4
	v_add_u32_e32 v1, 7, v58
	v_cmp_lt_u64_e32 vcc, s[58:59], v[8:9]
	v_cndmask_b32_e32 v12, v47, v1, vcc
	v_cndmask_b32_e64 v1, 0, 1, vcc
	v_lshrrev_b64 v[8:9], v1, v[8:9]
; %bb.1293:                             ;   in Loop: Header=BB4_580 Depth=4
	s_andn2_saveexec_b64 s[28:29], s[28:29]
; %bb.1294:                             ;   in Loop: Header=BB4_580 Depth=4
	v_bfe_u32 v12, v8, 23, 1
; %bb.1295:                             ;   in Loop: Header=BB4_580 Depth=4
	s_or_b64 exec, exec, s[28:29]
	v_lshrrev_b64 v[8:9], 20, v[8:9]
	v_cmp_gt_i32_e32 vcc, 16, v12
	v_cndmask_b32_e32 v9, 0, v9, vcc
	v_cndmask_b32_e32 v8, 7, v8, vcc
	v_min_i32_e32 v1, 15, v12
	v_cmp_eq_u32_e32 vcc, 0, v12
	v_cmp_eq_u64_e64 s[28:29], 0, v[8:9]
	v_lshlrev_b32_e32 v1, 3, v1
	v_and_or_b32 v1, v8, 7, v1
	s_and_b64 s[28:29], vcc, s[28:29]
	v_cndmask_b32_e64 v1, v1, 0, s[28:29]
	v_or_b32_e32 v12, v1, v55
.LBB4_1296:                             ;   in Loop: Header=BB4_580 Depth=4
	s_or_b64 exec, exec, s[68:69]
.LBB4_1297:                             ;   in Loop: Header=BB4_580 Depth=4
	s_or_b64 exec, exec, s[66:67]
                                        ; implicit-def: $vgpr8
.LBB4_1298:                             ;   in Loop: Header=BB4_580 Depth=4
	s_andn2_saveexec_b64 s[28:29], s[64:65]
; %bb.1299:                             ;   in Loop: Header=BB4_580 Depth=4
	v_or_b32_sdwa v1, v8, s92 dst_sel:DWORD dst_unused:UNUSED_PAD src0_sel:BYTE_3 src1_sel:DWORD
	v_cmp_eq_u64_e32 vcc, 0, v[58:59]
	v_cndmask_b32_e32 v12, v1, v12, vcc
; %bb.1300:                             ;   in Loop: Header=BB4_580 Depth=4
	s_or_b64 exec, exec, s[28:29]
	v_lshrrev_b32_e32 v8, 16, v15
	v_cmp_ne_u16_sdwa vcc, v8, v59 src0_sel:BYTE_0 src1_sel:DWORD
	v_mov_b32_e32 v9, 0
	v_mov_b32_e32 v55, 0
	s_and_saveexec_b64 s[28:29], vcc
	s_cbranch_execz .LBB4_1306
; %bb.1301:                             ;   in Loop: Header=BB4_580 Depth=4
	v_cmp_ne_u16_sdwa vcc, v8, s91 src0_sel:BYTE_0 src1_sel:DWORD
	v_bfrev_b32_e32 v55, 1
	s_and_saveexec_b64 s[64:65], vcc
	s_cbranch_execz .LBB4_1305
; %bb.1302:                             ;   in Loop: Header=BB4_580 Depth=4
	v_bfe_u32 v1, v15, 16, 7
	v_cmp_ne_u32_e32 vcc, s92, v1
	v_mov_b32_e32 v55, 0x7f800001
	s_and_saveexec_b64 s[66:67], vcc
	s_cbranch_execz .LBB4_1304
; %bb.1303:                             ;   in Loop: Header=BB4_580 Depth=4
	v_and_b32_e32 v34, 7, v8
	v_ffbh_u32_e32 v32, v34
	v_min_u32_e32 v55, 32, v32
	v_subrev_u32_e32 v32, 28, v55
	v_lshlrev_b64 v[32:33], v32, v[8:9]
	v_lshrrev_b32_e32 v35, 3, v1
	v_sub_u32_e32 v33, 29, v55
	v_and_b32_e32 v32, 7, v32
	v_cmp_gt_u32_e32 vcc, 8, v1
	v_cndmask_b32_e32 v1, v35, v33, vcc
	v_cndmask_b32_e32 v32, v34, v32, vcc
	v_lshlrev_b32_e32 v8, 24, v8
	v_bfrev_b32_e32 v33, 60
	v_lshlrev_b32_e32 v32, 20, v32
	v_and_b32_e32 v8, 0x80000000, v8
	v_lshl_add_u32 v1, v1, 23, v33
	v_or3_b32 v55, v8, v1, v32
.LBB4_1304:                             ;   in Loop: Header=BB4_580 Depth=4
	s_or_b64 exec, exec, s[66:67]
.LBB4_1305:                             ;   in Loop: Header=BB4_580 Depth=4
	s_or_b64 exec, exec, s[64:65]
.LBB4_1306:                             ;   in Loop: Header=BB4_580 Depth=4
	s_or_b64 exec, exec, s[28:29]
	v_lshrrev_b32_e32 v8, 16, v11
	v_cmp_ne_u16_sdwa vcc, v8, v59 src0_sel:BYTE_0 src1_sel:DWORD
	s_and_saveexec_b64 s[28:29], vcc
	s_cbranch_execz .LBB4_1312
; %bb.1307:                             ;   in Loop: Header=BB4_580 Depth=4
	v_cmp_ne_u16_sdwa vcc, v8, s91 src0_sel:BYTE_0 src1_sel:DWORD
	v_bfrev_b32_e32 v9, 1
	s_and_saveexec_b64 s[64:65], vcc
	s_cbranch_execz .LBB4_1311
; %bb.1308:                             ;   in Loop: Header=BB4_580 Depth=4
	v_bfe_u32 v1, v11, 16, 7
	v_cmp_ne_u32_e32 vcc, s92, v1
	v_mov_b32_e32 v9, 0x7f800001
	s_and_saveexec_b64 s[66:67], vcc
	s_cbranch_execz .LBB4_1310
; %bb.1309:                             ;   in Loop: Header=BB4_580 Depth=4
	v_and_b32_e32 v32, 7, v8
	v_ffbh_u32_e32 v9, v32
	v_min_u32_e32 v34, 32, v9
	v_subrev_u32_e32 v9, 28, v34
	v_lshlrev_b64 v[8:9], v9, v[8:9]
	v_lshrrev_b32_e32 v33, 3, v1
	v_sub_u32_e32 v9, 29, v34
	v_and_b32_e32 v8, 7, v8
	v_cmp_gt_u32_e32 vcc, 8, v1
	v_cndmask_b32_e32 v1, v33, v9, vcc
	v_cndmask_b32_e32 v8, v32, v8, vcc
	v_lshlrev_b32_e32 v9, 8, v11
	v_bfrev_b32_e32 v32, 60
	v_lshlrev_b32_e32 v8, 20, v8
	v_and_b32_e32 v9, 0x80000000, v9
	v_lshl_add_u32 v1, v1, 23, v32
	v_or3_b32 v9, v9, v1, v8
.LBB4_1310:                             ;   in Loop: Header=BB4_580 Depth=4
	s_or_b64 exec, exec, s[66:67]
.LBB4_1311:                             ;   in Loop: Header=BB4_580 Depth=4
	s_or_b64 exec, exec, s[64:65]
.LBB4_1312:                             ;   in Loop: Header=BB4_580 Depth=4
	s_or_b64 exec, exec, s[28:29]
	v_add_f32_e32 v8, v55, v9
	v_and_b32_sdwa v55, v8, s91 dst_sel:DWORD dst_unused:UNUSED_PAD src0_sel:BYTE_3 src1_sel:DWORD
	v_and_b32_e32 v32, 0x7f800000, v8
	v_mov_b32_e32 v33, v59
	v_and_b32_e32 v58, 0x7fffff, v8
	v_or_b32_e32 v47, 0x7e, v55
	v_cmp_ne_u64_e32 vcc, s[54:55], v[32:33]
	s_and_saveexec_b64 s[28:29], vcc
	s_xor_b64 s[64:65], exec, s[28:29]
	s_cbranch_execz .LBB4_1322
; %bb.1313:                             ;   in Loop: Header=BB4_580 Depth=4
	v_and_b32_e32 v32, 0x7fffffff, v8
	v_mov_b32_e32 v33, v59
	v_cmp_gt_u64_e32 vcc, s[56:57], v[32:33]
	s_and_saveexec_b64 s[66:67], vcc
	s_cbranch_execz .LBB4_1321
; %bb.1314:                             ;   in Loop: Header=BB4_580 Depth=4
	v_cmp_ne_u32_e32 vcc, 0, v8
	v_mov_b32_e32 v47, 0
	s_and_saveexec_b64 s[68:69], vcc
	s_cbranch_execz .LBB4_1320
; %bb.1315:                             ;   in Loop: Header=BB4_580 Depth=4
	v_bfe_u32 v1, v8, 23, 8
	v_sub_u32_e32 v9, 0x79, v1
	v_cmp_gt_u32_e32 vcc, s93, v1
	v_add_u32_e32 v8, 0xffffff81, v1
	v_cndmask_b32_e32 v9, 0, v9, vcc
	v_cmp_eq_u32_e32 vcc, 0, v1
	v_mov_b32_e32 v1, 0xffffff82
	v_cndmask_b32_e32 v1, v8, v1, vcc
	v_mov_b32_e32 v8, 0x78
	v_cndmask_b32_e32 v47, v9, v8, vcc
	v_or_b32_e32 v32, 0x800000, v58
	v_add_u32_e32 v8, 20, v47
	v_cndmask_b32_e32 v58, v32, v58, vcc
	v_lshlrev_b64 v[8:9], v8, -1
	v_not_b32_e32 v8, v8
	v_lshrrev_b64 v[34:35], v47, v[58:59]
	v_not_b32_e32 v9, v9
	v_and_b32_e32 v8, v58, v8
	v_add_u32_e32 v32, 19, v47
	v_lshrrev_b32_e32 v58, 23, v34
	v_and_b32_e32 v9, 0, v9
	v_lshlrev_b64 v[32:33], v32, 1
	v_add3_u32 v1, v47, v1, v58
	v_bfe_u32 v47, v34, 20, 1
	v_add_u32_e32 v47, -1, v47
	v_cmp_eq_u64_e32 vcc, v[8:9], v[32:33]
	v_cndmask_b32_e32 v8, 0, v47, vcc
	v_add_u32_e32 v8, v8, v34
	v_and_b32_e32 v8, 0xfffff, v8
	v_add_co_u32_e32 v8, vcc, v8, v34
	v_add_u32_e32 v58, 6, v1
	v_addc_co_u32_e32 v9, vcc, 0, v35, vcc
	v_cmp_ne_u32_e32 vcc, 0, v58
                                        ; implicit-def: $vgpr47
	s_and_saveexec_b64 s[28:29], vcc
	s_xor_b64 s[28:29], exec, s[28:29]
; %bb.1316:                             ;   in Loop: Header=BB4_580 Depth=4
	v_add_u32_e32 v1, 7, v1
	v_cmp_lt_u64_e32 vcc, s[58:59], v[8:9]
	v_cndmask_b32_e32 v47, v58, v1, vcc
	v_cndmask_b32_e64 v1, 0, 1, vcc
	v_lshrrev_b64 v[8:9], v1, v[8:9]
; %bb.1317:                             ;   in Loop: Header=BB4_580 Depth=4
	s_andn2_saveexec_b64 s[28:29], s[28:29]
; %bb.1318:                             ;   in Loop: Header=BB4_580 Depth=4
	v_bfe_u32 v47, v8, 23, 1
; %bb.1319:                             ;   in Loop: Header=BB4_580 Depth=4
	s_or_b64 exec, exec, s[28:29]
	v_lshrrev_b64 v[8:9], 20, v[8:9]
	v_cmp_gt_i32_e32 vcc, 16, v47
	v_min_i32_e32 v1, 15, v47
	v_cndmask_b32_e32 v9, 0, v9, vcc
	v_cndmask_b32_e32 v8, 7, v8, vcc
	v_lshlrev_b32_e32 v1, 3, v1
	v_cmp_eq_u32_e32 vcc, 0, v47
	v_cmp_eq_u64_e64 s[28:29], 0, v[8:9]
	v_and_b32_e32 v1, 0xf8, v1
	v_and_or_b32 v1, v8, 7, v1
	s_and_b64 s[28:29], vcc, s[28:29]
	v_cndmask_b32_e64 v1, v1, 0, s[28:29]
	v_or_b32_e32 v47, v1, v55
.LBB4_1320:                             ;   in Loop: Header=BB4_580 Depth=4
	s_or_b64 exec, exec, s[68:69]
.LBB4_1321:                             ;   in Loop: Header=BB4_580 Depth=4
	s_or_b64 exec, exec, s[66:67]
                                        ; implicit-def: $vgpr8
.LBB4_1322:                             ;   in Loop: Header=BB4_580 Depth=4
	s_andn2_saveexec_b64 s[28:29], s[64:65]
; %bb.1323:                             ;   in Loop: Header=BB4_580 Depth=4
	v_or_b32_sdwa v1, v8, s92 dst_sel:DWORD dst_unused:UNUSED_PAD src0_sel:BYTE_3 src1_sel:DWORD
	v_cmp_eq_u64_e32 vcc, 0, v[58:59]
	v_cndmask_b32_e32 v47, v1, v47, vcc
; %bb.1324:                             ;   in Loop: Header=BB4_580 Depth=4
	s_or_b64 exec, exec, s[28:29]
	v_cmp_lt_u64_e32 vcc, s[44:45], v[14:15]
	v_mov_b32_e32 v9, 0
	v_mov_b32_e32 v14, 0
	s_and_saveexec_b64 s[28:29], vcc
	s_cbranch_execz .LBB4_1330
; %bb.1325:                             ;   in Loop: Header=BB4_580 Depth=4
	v_lshrrev_b32_e32 v8, 24, v15
	v_cmp_ne_u32_e32 vcc, s91, v8
	v_bfrev_b32_e32 v14, 1
	s_and_saveexec_b64 s[64:65], vcc
	s_cbranch_execz .LBB4_1329
; %bb.1326:                             ;   in Loop: Header=BB4_580 Depth=4
	v_bfe_u32 v1, v15, 24, 7
	v_cmp_ne_u32_e32 vcc, s92, v1
	v_mov_b32_e32 v14, 0x7f800001
	s_and_saveexec_b64 s[66:67], vcc
	s_cbranch_execz .LBB4_1328
; %bb.1327:                             ;   in Loop: Header=BB4_580 Depth=4
	v_and_b32_e32 v32, 7, v8
	v_ffbh_u32_e32 v14, v32
	v_min_u32_e32 v34, 32, v14
	v_subrev_u32_e32 v14, 28, v34
	v_lshlrev_b64 v[14:15], v14, v[8:9]
	v_lshrrev_b32_e32 v33, 3, v1
	v_sub_u32_e32 v15, 29, v34
	v_and_b32_e32 v14, 7, v14
	v_cmp_gt_u32_e32 vcc, 8, v1
	v_cndmask_b32_e32 v1, v33, v15, vcc
	v_cndmask_b32_e32 v14, v32, v14, vcc
	v_lshlrev_b32_e32 v8, 24, v8
	v_bfrev_b32_e32 v15, 60
	v_lshlrev_b32_e32 v14, 20, v14
	v_and_b32_e32 v8, 0x80000000, v8
	v_lshl_add_u32 v1, v1, 23, v15
	v_or3_b32 v14, v8, v1, v14
.LBB4_1328:                             ;   in Loop: Header=BB4_580 Depth=4
	s_or_b64 exec, exec, s[66:67]
.LBB4_1329:                             ;   in Loop: Header=BB4_580 Depth=4
	s_or_b64 exec, exec, s[64:65]
.LBB4_1330:                             ;   in Loop: Header=BB4_580 Depth=4
	s_or_b64 exec, exec, s[28:29]
	v_cmp_lt_u64_e32 vcc, s[44:45], v[10:11]
	s_and_saveexec_b64 s[28:29], vcc
	s_cbranch_execz .LBB4_1336
; %bb.1331:                             ;   in Loop: Header=BB4_580 Depth=4
	v_lshrrev_b32_e32 v8, 24, v11
	v_cmp_ne_u32_e32 vcc, s91, v8
	v_bfrev_b32_e32 v9, 1
	s_and_saveexec_b64 s[64:65], vcc
	s_cbranch_execz .LBB4_1335
; %bb.1332:                             ;   in Loop: Header=BB4_580 Depth=4
	v_bfe_u32 v1, v11, 24, 7
	v_cmp_ne_u32_e32 vcc, s92, v1
	v_mov_b32_e32 v9, 0x7f800001
	s_and_saveexec_b64 s[66:67], vcc
	s_cbranch_execz .LBB4_1334
; %bb.1333:                             ;   in Loop: Header=BB4_580 Depth=4
	v_and_b32_e32 v9, 7, v8
	v_ffbh_u32_e32 v10, v9
	v_min_u32_e32 v32, 32, v10
	v_subrev_u32_e32 v10, 28, v32
	v_lshlrev_b64 v[10:11], v10, v[8:9]
	v_lshrrev_b32_e32 v15, 3, v1
	v_sub_u32_e32 v11, 29, v32
	v_and_b32_e32 v10, 7, v10
	v_cmp_gt_u32_e32 vcc, 8, v1
	v_cndmask_b32_e32 v1, v15, v11, vcc
	v_cndmask_b32_e32 v9, v9, v10, vcc
	v_lshlrev_b32_e32 v8, 24, v8
	v_bfrev_b32_e32 v10, 60
	v_lshlrev_b32_e32 v9, 20, v9
	v_and_b32_e32 v8, 0x80000000, v8
	v_lshl_add_u32 v1, v1, 23, v10
	v_or3_b32 v9, v8, v1, v9
.LBB4_1334:                             ;   in Loop: Header=BB4_580 Depth=4
	s_or_b64 exec, exec, s[66:67]
.LBB4_1335:                             ;   in Loop: Header=BB4_580 Depth=4
	s_or_b64 exec, exec, s[64:65]
.LBB4_1336:                             ;   in Loop: Header=BB4_580 Depth=4
	s_or_b64 exec, exec, s[28:29]
	v_add_f32_e32 v9, v14, v9
	v_and_b32_sdwa v10, v9, s91 dst_sel:DWORD dst_unused:UNUSED_PAD src0_sel:BYTE_3 src1_sel:DWORD
	v_and_b32_e32 v14, 0x7f800000, v9
	v_mov_b32_e32 v15, v59
	v_and_b32_e32 v58, 0x7fffff, v9
	v_or_b32_e32 v8, 0x7e, v10
	v_cmp_ne_u64_e32 vcc, s[54:55], v[14:15]
	s_and_saveexec_b64 s[28:29], vcc
	s_xor_b64 s[64:65], exec, s[28:29]
	s_cbranch_execz .LBB4_1346
; %bb.1337:                             ;   in Loop: Header=BB4_580 Depth=4
	v_and_b32_e32 v14, 0x7fffffff, v9
	v_mov_b32_e32 v15, v59
	v_cmp_gt_u64_e32 vcc, s[56:57], v[14:15]
	s_and_saveexec_b64 s[66:67], vcc
	s_cbranch_execz .LBB4_1345
; %bb.1338:                             ;   in Loop: Header=BB4_580 Depth=4
	v_cmp_ne_u32_e32 vcc, 0, v9
	v_mov_b32_e32 v8, 0
	s_and_saveexec_b64 s[68:69], vcc
	s_cbranch_execz .LBB4_1344
; %bb.1339:                             ;   in Loop: Header=BB4_580 Depth=4
	v_bfe_u32 v1, v9, 23, 8
	v_sub_u32_e32 v9, 0x79, v1
	v_cmp_gt_u32_e32 vcc, s93, v1
	v_add_u32_e32 v8, 0xffffff81, v1
	v_cndmask_b32_e32 v9, 0, v9, vcc
	v_cmp_eq_u32_e32 vcc, 0, v1
	v_mov_b32_e32 v1, 0xffffff82
	v_cndmask_b32_e32 v1, v8, v1, vcc
	v_mov_b32_e32 v8, 0x78
	v_or_b32_e32 v11, 0x800000, v58
	v_cndmask_b32_e32 v14, v9, v8, vcc
	v_cndmask_b32_e32 v58, v11, v58, vcc
	v_add_u32_e32 v8, 20, v14
	v_lshlrev_b64 v[8:9], v8, -1
	v_add_u32_e32 v11, 19, v14
	v_lshrrev_b64 v[34:35], v14, v[58:59]
	v_not_b32_e32 v9, v9
	v_not_b32_e32 v8, v8
	v_lshlrev_b64 v[32:33], v11, 1
	v_lshrrev_b32_e32 v11, 23, v34
	v_and_b32_e32 v9, 0, v9
	v_and_b32_e32 v8, v58, v8
	v_add3_u32 v1, v14, v1, v11
	v_bfe_u32 v11, v34, 20, 1
	v_add_u32_e32 v11, -1, v11
	v_cmp_eq_u64_e32 vcc, v[8:9], v[32:33]
	v_cndmask_b32_e32 v8, 0, v11, vcc
	v_add_u32_e32 v8, v8, v34
	v_and_b32_e32 v8, 0xfffff, v8
	v_add_co_u32_e32 v8, vcc, v8, v34
	v_add_u32_e32 v14, 6, v1
	v_addc_co_u32_e32 v9, vcc, 0, v35, vcc
	v_cmp_ne_u32_e32 vcc, 0, v14
                                        ; implicit-def: $vgpr11
	s_and_saveexec_b64 s[28:29], vcc
	s_xor_b64 s[28:29], exec, s[28:29]
; %bb.1340:                             ;   in Loop: Header=BB4_580 Depth=4
	v_add_u32_e32 v1, 7, v1
	v_cmp_lt_u64_e32 vcc, s[58:59], v[8:9]
	v_cndmask_b32_e32 v11, v14, v1, vcc
	v_cndmask_b32_e64 v1, 0, 1, vcc
	v_lshrrev_b64 v[8:9], v1, v[8:9]
; %bb.1341:                             ;   in Loop: Header=BB4_580 Depth=4
	s_andn2_saveexec_b64 s[28:29], s[28:29]
; %bb.1342:                             ;   in Loop: Header=BB4_580 Depth=4
	v_bfe_u32 v11, v8, 23, 1
; %bb.1343:                             ;   in Loop: Header=BB4_580 Depth=4
	s_or_b64 exec, exec, s[28:29]
	v_lshrrev_b64 v[8:9], 20, v[8:9]
	v_cmp_gt_i32_e32 vcc, 16, v11
	v_min_i32_e32 v1, 15, v11
	v_cndmask_b32_e32 v9, 0, v9, vcc
	v_cndmask_b32_e32 v8, 7, v8, vcc
	v_lshlrev_b32_e32 v1, 3, v1
	v_cmp_eq_u32_e32 vcc, 0, v11
	v_cmp_eq_u64_e64 s[28:29], 0, v[8:9]
	v_and_b32_e32 v1, 0xf8, v1
	v_and_or_b32 v1, v8, 7, v1
	s_and_b64 s[28:29], vcc, s[28:29]
	v_cndmask_b32_e64 v1, v1, 0, s[28:29]
	v_or_b32_e32 v8, v1, v10
.LBB4_1344:                             ;   in Loop: Header=BB4_580 Depth=4
	s_or_b64 exec, exec, s[68:69]
.LBB4_1345:                             ;   in Loop: Header=BB4_580 Depth=4
	s_or_b64 exec, exec, s[66:67]
                                        ; implicit-def: $vgpr9
.LBB4_1346:                             ;   in Loop: Header=BB4_580 Depth=4
	s_andn2_saveexec_b64 s[28:29], s[64:65]
	s_cbranch_execz .LBB4_579
; %bb.1347:                             ;   in Loop: Header=BB4_580 Depth=4
	v_or_b32_sdwa v1, v9, s92 dst_sel:DWORD dst_unused:UNUSED_PAD src0_sel:BYTE_3 src1_sel:DWORD
	v_cmp_eq_u64_e32 vcc, 0, v[58:59]
	v_cndmask_b32_e32 v8, v1, v8, vcc
	s_branch .LBB4_579
.LBB4_1348:                             ;   in Loop: Header=BB4_274 Depth=3
	s_or_b64 exec, exec, s[64:65]
	v_mov_b32_e32 v19, v39
.LBB4_1349:                             ;   in Loop: Header=BB4_274 Depth=3
	s_or_b64 exec, exec, s[62:63]
	v_lshlrev_b32_e32 v1, 9, v16
	v_cmp_ne_u32_e32 vcc, v14, v1
	s_and_saveexec_b64 s[62:63], vcc
	s_cbranch_execz .LBB4_1381
; %bb.1350:                             ;   in Loop: Header=BB4_274 Depth=3
	v_add_u32_e32 v3, v15, v7
	v_and_b32_e32 v3, 0xffffffc0, v3
	v_sub_u32_e32 v3, v15, v3
	v_lshlrev_b32_e32 v4, 6, v6
	v_sub_u32_e32 v3, v3, v4
	v_add_u32_e32 v1, v1, v3
	v_sub_u32_e32 v3, v14, v1
	v_cmp_lt_i32_e32 vcc, 0, v3
	s_and_b64 exec, exec, vcc
	s_cbranch_execz .LBB4_1381
; %bb.1351:                             ;   in Loop: Header=BB4_274 Depth=3
	s_trap 2
	ds_read_b128 v[4:7], v0
	v_add_u32_e32 v10, v1, v0
	ds_read_b64 v[0:1], v0
	v_ashrrev_i32_e32 v11, 31, v10
	s_mov_b64 s[64:65], 0
	s_waitcnt lgkmcnt(0)
	v_add_co_u32_e32 v4, vcc, v4, v10
	v_addc_co_u32_e32 v5, vcc, v5, v11, vcc
	v_add_co_u32_e32 v8, vcc, v6, v10
	v_addc_co_u32_e32 v9, vcc, v7, v11, vcc
	;; [unrolled: 2-line block ×3, first 2 shown]
	s_branch .LBB4_1353
.LBB4_1352:                             ;   in Loop: Header=BB4_1353 Depth=4
	s_or_b64 exec, exec, s[28:29]
	v_add_co_u32_e32 v4, vcc, v4, v1
	v_accvgpr_read_b32 v0, a35
	v_addc_co_u32_e32 v5, vcc, v5, v0, vcc
	v_add_co_u32_e32 v8, vcc, v8, v1
	v_addc_co_u32_e32 v9, vcc, v9, v0, vcc
	v_sub_u32_e32 v3, v3, v41
	v_cmp_gt_i32_e32 vcc, 1, v3
	flat_store_byte v[10:11], v6 glc slc
	s_or_b64 s[64:65], vcc, s[64:65]
	v_add_co_u32_e32 v10, vcc, v10, v1
	v_addc_co_u32_e32 v11, vcc, v11, v0, vcc
	s_andn2_b64 exec, exec, s[64:65]
	s_cbranch_execz .LBB4_1381
.LBB4_1353:                             ;   Parent Loop BB4_47 Depth=1
                                        ;     Parent Loop BB4_271 Depth=2
                                        ;       Parent Loop BB4_274 Depth=3
                                        ; =>      This Inner Loop Header: Depth=4
	flat_load_ubyte v13, v[4:5] glc slc
	flat_load_ubyte v6, v[8:9] glc slc
	v_mov_b32_e32 v0, 0
	v_mov_b32_e32 v7, 0
	s_waitcnt vmcnt(0) lgkmcnt(0)
	v_cmp_ne_u16_e32 vcc, 0, v13
	s_and_saveexec_b64 s[28:29], vcc
	s_cbranch_execz .LBB4_1359
; %bb.1354:                             ;   in Loop: Header=BB4_1353 Depth=4
	v_cmp_ne_u16_e32 vcc, s91, v13
	v_bfrev_b32_e32 v7, 1
	s_and_saveexec_b64 s[66:67], vcc
	s_cbranch_execz .LBB4_1358
; %bb.1355:                             ;   in Loop: Header=BB4_1353 Depth=4
	v_and_b32_e32 v12, 0xffff, v13
	v_and_b32_e32 v1, 0x7f, v12
	v_cmp_ne_u32_e32 vcc, s92, v1
	v_mov_b32_e32 v7, 0x7f800001
	s_and_saveexec_b64 s[68:69], vcc
	s_cbranch_execz .LBB4_1357
; %bb.1356:                             ;   in Loop: Header=BB4_1353 Depth=4
	v_and_b32_e32 v7, 7, v12
	v_ffbh_u32_e32 v14, v7
	v_min_u32_e32 v17, 32, v14
	v_subrev_u32_e32 v14, 28, v17
	v_lshlrev_b64 v[14:15], v14, v[12:13]
	v_lshrrev_b32_e32 v16, 3, v1
	v_sub_u32_e32 v12, 29, v17
	v_and_b32_e32 v14, 7, v14
	v_cmp_gt_u32_e32 vcc, 8, v1
	v_cndmask_b32_e32 v1, v16, v12, vcc
	v_cndmask_b32_e32 v7, v7, v14, vcc
	v_lshlrev_b32_e32 v12, 24, v13
	v_bfrev_b32_e32 v13, 60
	v_lshlrev_b32_e32 v7, 20, v7
	v_and_b32_e32 v12, 0x80000000, v12
	v_lshl_add_u32 v1, v1, 23, v13
	v_or3_b32 v7, v12, v1, v7
.LBB4_1357:                             ;   in Loop: Header=BB4_1353 Depth=4
	s_or_b64 exec, exec, s[68:69]
.LBB4_1358:                             ;   in Loop: Header=BB4_1353 Depth=4
	s_or_b64 exec, exec, s[66:67]
.LBB4_1359:                             ;   in Loop: Header=BB4_1353 Depth=4
	s_or_b64 exec, exec, s[28:29]
	v_and_b32_e32 v12, 0xff, v6
	v_cmp_ne_u16_e32 vcc, 0, v12
	s_and_saveexec_b64 s[28:29], vcc
	s_cbranch_execz .LBB4_1365
; %bb.1360:                             ;   in Loop: Header=BB4_1353 Depth=4
	v_cmp_ne_u16_e32 vcc, s91, v12
	v_bfrev_b32_e32 v0, 1
	s_and_saveexec_b64 s[66:67], vcc
	s_cbranch_execz .LBB4_1364
; %bb.1361:                             ;   in Loop: Header=BB4_1353 Depth=4
	v_and_b32_e32 v1, 0x7f, v6
	v_cmp_ne_u32_e32 vcc, s92, v1
	v_mov_b32_e32 v0, 0x7f800001
	s_and_saveexec_b64 s[68:69], vcc
	s_cbranch_execz .LBB4_1363
; %bb.1362:                             ;   in Loop: Header=BB4_1353 Depth=4
	v_and_b32_e32 v0, 7, v12
	v_ffbh_u32_e32 v13, v0
	v_min_u32_e32 v15, 32, v13
	v_subrev_u32_e32 v13, 28, v15
	v_lshlrev_b64 v[12:13], v13, v[12:13]
	v_lshrrev_b32_e32 v14, 3, v1
	v_sub_u32_e32 v13, 29, v15
	v_and_b32_e32 v12, 7, v12
	v_cmp_gt_u32_e32 vcc, 8, v1
	v_lshlrev_b32_e32 v6, 24, v6
	v_cndmask_b32_e32 v1, v14, v13, vcc
	v_cndmask_b32_e32 v0, v0, v12, vcc
	v_bfrev_b32_e32 v12, 60
	v_and_b32_e32 v6, 0x80000000, v6
	v_lshlrev_b32_e32 v0, 20, v0
	v_lshl_add_u32 v1, v1, 23, v12
	v_or3_b32 v0, v6, v1, v0
.LBB4_1363:                             ;   in Loop: Header=BB4_1353 Depth=4
	s_or_b64 exec, exec, s[68:69]
.LBB4_1364:                             ;   in Loop: Header=BB4_1353 Depth=4
	s_or_b64 exec, exec, s[66:67]
.LBB4_1365:                             ;   in Loop: Header=BB4_1353 Depth=4
	s_or_b64 exec, exec, s[28:29]
	v_add_f32_e32 v7, v7, v0
	v_and_b32_sdwa v0, v7, s91 dst_sel:DWORD dst_unused:UNUSED_PAD src0_sel:BYTE_3 src1_sel:DWORD
	v_and_b32_e32 v58, 0x7fffff, v7
	v_or_b32_e32 v6, 0x7e, v0
	v_and_b32_e32 v12, 0x7f800000, v7
	v_mov_b32_e32 v13, v59
	v_cmp_ne_u64_e32 vcc, s[54:55], v[12:13]
	s_mov_b64 s[28:29], exec
	s_and_b64 vcc, s[28:29], vcc
	s_xor_b64 s[66:67], vcc, s[28:29]
	v_accvgpr_read_b32 v1, a34
	s_mov_b64 exec, vcc
	s_cbranch_execz .LBB4_1379
; %bb.1366:                             ;   in Loop: Header=BB4_1353 Depth=4
	v_and_b32_e32 v12, 0x7fffffff, v7
	v_mov_b32_e32 v13, v59
	v_cmp_gt_u64_e32 vcc, s[56:57], v[12:13]
	s_and_saveexec_b64 s[28:29], vcc
	s_xor_b64 s[68:69], exec, s[28:29]
	s_cbranch_execz .LBB4_1378
; %bb.1367:                             ;   in Loop: Header=BB4_1353 Depth=4
	v_cmp_ne_u32_e32 vcc, 0, v7
	v_mov_b32_e32 v6, 0
	s_and_saveexec_b64 s[70:71], vcc
	s_cbranch_execz .LBB4_1377
; %bb.1368:                             ;   in Loop: Header=BB4_1353 Depth=4
	v_bfe_u32 v1, v7, 23, 8
	v_sub_u32_e32 v7, 0x79, v1
	v_cmp_gt_u32_e32 vcc, s93, v1
	v_add_u32_e32 v6, 0xffffff81, v1
	v_cndmask_b32_e32 v7, 0, v7, vcc
	v_cmp_eq_u32_e32 vcc, 0, v1
	v_mov_b32_e32 v1, 0xffffff82
	v_cndmask_b32_e32 v1, v6, v1, vcc
	v_mov_b32_e32 v6, 0x78
	v_cndmask_b32_e32 v18, v7, v6, vcc
	v_add_u32_e32 v6, 20, v18
	v_or_b32_e32 v12, 0x800000, v58
	v_lshlrev_b64 v[6:7], v6, -1
	v_cndmask_b32_e32 v58, v12, v58, vcc
	v_not_b32_e32 v6, v6
	v_not_b32_e32 v7, v7
	v_and_b32_e32 v12, v58, v6
	v_add_u32_e32 v6, 19, v18
	v_lshrrev_b64 v[16:17], v18, v[58:59]
	v_and_b32_e32 v13, 0, v7
	v_lshlrev_b64 v[14:15], v6, 1
	v_bfe_u32 v7, v16, 20, 1
	v_add_u32_e32 v7, -1, v7
	v_cmp_eq_u64_e32 vcc, v[12:13], v[14:15]
	v_cndmask_b32_e32 v7, 0, v7, vcc
	v_add_u32_e32 v7, v7, v16
	v_lshrrev_b32_e32 v6, 23, v16
	v_and_b32_e32 v7, 0xfffff, v7
	v_add3_u32 v1, v18, v1, v6
	v_add_co_u32_e32 v12, vcc, v7, v16
	v_add_u32_e32 v6, 6, v1
	v_addc_co_u32_e32 v13, vcc, 0, v17, vcc
	v_cmp_ne_u32_e32 vcc, 0, v6
                                        ; implicit-def: $vgpr7
	s_and_saveexec_b64 s[28:29], vcc
	s_xor_b64 s[28:29], exec, s[28:29]
; %bb.1369:                             ;   in Loop: Header=BB4_1353 Depth=4
	v_add_u32_e32 v1, 7, v1
	v_cmp_lt_u64_e32 vcc, s[58:59], v[12:13]
	v_cndmask_b32_e32 v7, v6, v1, vcc
	v_cndmask_b32_e64 v1, 0, 1, vcc
	v_lshrrev_b64 v[12:13], v1, v[12:13]
; %bb.1370:                             ;   in Loop: Header=BB4_1353 Depth=4
	s_andn2_saveexec_b64 s[28:29], s[28:29]
; %bb.1371:                             ;   in Loop: Header=BB4_1353 Depth=4
	v_bfe_u32 v7, v12, 23, 1
; %bb.1372:                             ;   in Loop: Header=BB4_1353 Depth=4
	s_or_b64 exec, exec, s[28:29]
	v_lshrrev_b64 v[12:13], 20, v[12:13]
	v_cmp_gt_i32_e32 vcc, 16, v7
	v_cndmask_b32_e32 v13, 0, v13, vcc
	v_cndmask_b32_e32 v12, 7, v12, vcc
	v_cmp_ne_u32_e32 vcc, 0, v7
	v_cmp_ne_u64_e64 s[28:29], 0, v[12:13]
	s_or_b64 s[28:29], vcc, s[28:29]
                                        ; implicit-def: $vgpr6
	s_and_saveexec_b64 vcc, s[28:29]
	s_xor_b64 s[28:29], exec, vcc
; %bb.1373:                             ;   in Loop: Header=BB4_1353 Depth=4
	v_min_i32_e32 v1, 15, v7
	v_lshl_or_b32 v0, v1, 3, v0
	v_and_or_b32 v6, v12, 7, v0
                                        ; implicit-def: $vgpr0
; %bb.1374:                             ;   in Loop: Header=BB4_1353 Depth=4
	s_or_saveexec_b64 s[28:29], s[28:29]
	v_accvgpr_read_b32 v1, a34
	s_xor_b64 exec, exec, s[28:29]
; %bb.1375:                             ;   in Loop: Header=BB4_1353 Depth=4
	v_mov_b32_e32 v6, v0
; %bb.1376:                             ;   in Loop: Header=BB4_1353 Depth=4
	s_or_b64 exec, exec, s[28:29]
.LBB4_1377:                             ;   in Loop: Header=BB4_1353 Depth=4
	s_or_b64 exec, exec, s[70:71]
.LBB4_1378:                             ;   in Loop: Header=BB4_1353 Depth=4
	s_andn2_saveexec_b64 s[28:29], s[68:69]
	s_or_b64 exec, exec, s[28:29]
                                        ; implicit-def: $vgpr7
.LBB4_1379:                             ;   in Loop: Header=BB4_1353 Depth=4
	s_andn2_saveexec_b64 s[28:29], s[66:67]
	s_cbranch_execz .LBB4_1352
; %bb.1380:                             ;   in Loop: Header=BB4_1353 Depth=4
	v_or_b32_sdwa v0, v7, s92 dst_sel:DWORD dst_unused:UNUSED_PAD src0_sel:BYTE_3 src1_sel:DWORD
	v_cmp_eq_u64_e32 vcc, 0, v[58:59]
	v_cndmask_b32_e32 v6, v0, v6, vcc
	s_branch .LBB4_1352
.LBB4_1381:                             ;   in Loop: Header=BB4_274 Depth=3
	s_or_b64 exec, exec, s[62:63]
	s_or_b64 exec, exec, s[30:31]
	s_and_saveexec_b64 s[28:29], s[10:11]
	s_cbranch_execz .LBB4_573
	s_branch .LBB4_1777
.LBB4_1382:                             ;   in Loop: Header=BB4_274 Depth=3
	s_or_b64 exec, exec, s[62:63]
	v_accvgpr_read_b32 v40, a3
	v_accvgpr_read_b32 v41, a23
	;; [unrolled: 1-line block ×4, first 2 shown]
.LBB4_1383:                             ;   in Loop: Header=BB4_274 Depth=3
	s_or_b64 exec, exec, s[30:31]
	v_lshlrev_b32_e32 v6, 11, v1
	v_cmp_ne_u32_e32 vcc, v19, v6
	s_mov_b64 s[28:29], 0
	v_mov_b32_e32 v0, 0
                                        ; implicit-def: $vgpr14
                                        ; implicit-def: $vgpr15
                                        ; implicit-def: $vgpr3
	s_and_saveexec_b64 s[62:63], vcc
	s_cbranch_execz .LBB4_1775
; %bb.1384:                             ;   in Loop: Header=BB4_274 Depth=3
	v_lshlrev_b32_e32 v0, 6, v38
	v_accvgpr_read_b32 v3, a38
	v_sub_u32_e32 v0, v3, v0
	v_ashrrev_i32_e32 v3, 31, v0
	v_lshrrev_b32_e32 v3, 26, v3
	v_add_u32_e32 v3, v0, v3
	v_sub_u32_e32 v1, v19, v6
	v_ashrrev_i32_e32 v4, 6, v3
	v_and_b32_e32 v3, 0xffffffc0, v3
	v_sub_u32_e32 v7, v0, v3
	v_ashrrev_i32_e32 v3, 31, v1
	v_lshrrev_b32_e32 v3, 22, v3
	v_add_u32_e32 v3, v1, v3
	v_and_b32_e32 v23, 0xfffffc00, v3
	v_lshlrev_b32_e32 v0, 4, v7
	v_sub_u32_e32 v25, v1, v23
	v_lshl_add_u32 v0, v4, 10, v0
	v_ashrrev_i32_e32 v5, 10, v3
	v_cmp_lt_i32_e32 vcc, 15, v25
	v_sub_u32_e32 v26, v1, v0
	v_addc_co_u32_e64 v1, s[28:29], 0, v5, vcc
	v_sub_u32_e32 v24, v1, v4
	v_cmp_lt_i32_e64 s[28:29], 15, v26
	s_and_saveexec_b64 s[64:65], s[28:29]
	s_cbranch_execz .LBB4_1772
; %bb.1385:                             ;   in Loop: Header=BB4_274 Depth=3
	s_trap 2
	ds_read_b128 v[8:11], v0
	v_add_u32_e32 v3, v0, v6
	ds_read_b64 v[0:1], v0
	v_ashrrev_i32_e32 v12, 31, v3
	s_mov_b64 s[66:67], 0
	s_waitcnt lgkmcnt(0)
	v_add_co_u32_e64 v4, s[28:29], v8, v3
	v_addc_co_u32_e64 v5, s[28:29], v9, v12, s[28:29]
	v_add_co_u32_e64 v16, s[28:29], v10, v3
	v_addc_co_u32_e64 v17, s[28:29], v11, v12, s[28:29]
	;; [unrolled: 2-line block ×3, first 2 shown]
	s_branch .LBB4_1387
.LBB4_1386:                             ;   in Loop: Header=BB4_1387 Depth=4
	s_or_b64 exec, exec, s[30:31]
	v_lshlrev_b32_e32 v1, 8, v22
	v_perm_b32 v1, v1, v36, s94
	v_lshl_or_b32 v1, v20, 16, v1
	v_lshl_or_b32 v33, v13, 24, v1
	v_and_b32_e32 v1, 0xff, v30
	v_lshlrev_b32_e32 v9, 8, v29
	v_lshlrev_b32_e32 v0, 24, v0
	;; [unrolled: 1-line block ×3, first 2 shown]
	v_perm_b32 v9, v9, v28, s94
	v_or3_b32 v32, v0, v1, v9
	v_and_b32_e32 v0, 0xff, v3
	v_lshlrev_b32_e32 v3, 8, v37
	v_lshlrev_b32_e32 v1, 24, v38
	;; [unrolled: 1-line block ×3, first 2 shown]
	v_perm_b32 v3, v3, v21, s94
	v_or3_b32 v34, v1, v0, v3
	v_lshlrev_b32_e32 v0, 8, v12
	v_perm_b32 v0, v0, v31, s94
	v_lshl_or_b32 v0, v39, 16, v0
	v_lshl_or_b32 v35, v8, 24, v0
	v_accvgpr_read_b32 v0, a39
	v_add_co_u32_e64 v4, s[28:29], v4, v0
	v_accvgpr_read_b32 v1, a40
	v_addc_co_u32_e64 v5, s[28:29], v5, v1, s[28:29]
	v_add_co_u32_e64 v16, s[28:29], v16, v0
	v_addc_co_u32_e64 v17, s[28:29], v17, v1, s[28:29]
	global_store_dwordx4 v[18:19], v[32:35], off glc slc
	v_add_co_u32_e64 v18, s[28:29], v18, v0
	v_accvgpr_read_b32 v0, a26
	v_addc_co_u32_e64 v19, s[28:29], v19, v1, s[28:29]
	v_sub_u32_e32 v26, v26, v0
	v_cmp_gt_i32_e64 s[28:29], 16, v26
	v_accvgpr_read_b32 v0, a22
	s_or_b64 s[66:67], s[28:29], s[66:67]
	v_sub_u32_e32 v24, v24, v0
	s_andn2_b64 exec, exec, s[66:67]
	s_cbranch_execz .LBB4_1771
.LBB4_1387:                             ;   Parent Loop BB4_47 Depth=1
                                        ;     Parent Loop BB4_271 Depth=2
                                        ;       Parent Loop BB4_274 Depth=3
                                        ; =>      This Inner Loop Header: Depth=4
	global_load_dwordx4 v[12:15], v[4:5], off glc slc
	global_load_dwordx4 v[8:11], v[16:17], off glc slc
	v_mov_b32_e32 v0, 0
	v_mov_b32_e32 v3, 0
	s_waitcnt vmcnt(0)
	v_cmp_ne_u16_sdwa s[28:29], v12, v59 src0_sel:BYTE_0 src1_sel:DWORD
	s_and_saveexec_b64 s[30:31], s[28:29]
	s_cbranch_execz .LBB4_1393
; %bb.1388:                             ;   in Loop: Header=BB4_1387 Depth=4
	v_cmp_ne_u16_sdwa s[28:29], v12, s91 src0_sel:BYTE_0 src1_sel:DWORD
	v_bfrev_b32_e32 v3, 1
	s_and_saveexec_b64 s[68:69], s[28:29]
	s_cbranch_execz .LBB4_1392
; %bb.1389:                             ;   in Loop: Header=BB4_1387 Depth=4
	v_and_b32_e32 v1, 0x7f, v12
	v_cmp_ne_u32_e64 s[28:29], s92, v1
	v_mov_b32_e32 v3, 0x7f800001
	s_and_saveexec_b64 s[70:71], s[28:29]
	s_cbranch_execz .LBB4_1391
; %bb.1390:                             ;   in Loop: Header=BB4_1387 Depth=4
	v_and_b32_e32 v3, 7, v12
	v_ffbh_u32_e32 v3, v3
	v_min_u32_e32 v3, 32, v3
	v_lshrrev_b32_e32 v20, 3, v1
	v_subrev_u32_e32 v21, 28, v3
	v_sub_u32_e32 v3, 29, v3
	v_cmp_gt_u32_e64 s[28:29], 8, v1
	v_cndmask_b32_e64 v1, v20, v3, s[28:29]
	v_cndmask_b32_e64 v3, 0, v21, s[28:29]
	v_lshlrev_b64 v[20:21], v3, v[12:13]
	v_lshlrev_b32_e32 v3, 20, v20
	v_lshlrev_b32_e32 v20, 24, v12
	v_bfrev_b32_e32 v21, 60
	v_and_b32_e32 v3, 0x700000, v3
	v_and_b32_e32 v20, 0x80000000, v20
	v_lshl_add_u32 v1, v1, 23, v21
	v_or3_b32 v3, v20, v1, v3
.LBB4_1391:                             ;   in Loop: Header=BB4_1387 Depth=4
	s_or_b64 exec, exec, s[70:71]
.LBB4_1392:                             ;   in Loop: Header=BB4_1387 Depth=4
	s_or_b64 exec, exec, s[68:69]
.LBB4_1393:                             ;   in Loop: Header=BB4_1387 Depth=4
	s_or_b64 exec, exec, s[30:31]
	v_cmp_ne_u16_sdwa s[28:29], v8, v59 src0_sel:BYTE_0 src1_sel:DWORD
	s_and_saveexec_b64 s[30:31], s[28:29]
	s_cbranch_execz .LBB4_1399
; %bb.1394:                             ;   in Loop: Header=BB4_1387 Depth=4
	v_cmp_ne_u16_sdwa s[28:29], v8, s91 src0_sel:BYTE_0 src1_sel:DWORD
	v_bfrev_b32_e32 v0, 1
	s_and_saveexec_b64 s[68:69], s[28:29]
	s_cbranch_execz .LBB4_1398
; %bb.1395:                             ;   in Loop: Header=BB4_1387 Depth=4
	v_and_b32_e32 v1, 0x7f, v8
	v_cmp_ne_u32_e64 s[28:29], s92, v1
	v_mov_b32_e32 v0, 0x7f800001
	s_and_saveexec_b64 s[70:71], s[28:29]
	s_cbranch_execz .LBB4_1397
; %bb.1396:                             ;   in Loop: Header=BB4_1387 Depth=4
	v_and_b32_e32 v0, 7, v8
	v_ffbh_u32_e32 v0, v0
	v_min_u32_e32 v0, 32, v0
	v_lshrrev_b32_e32 v20, 3, v1
	v_subrev_u32_e32 v21, 28, v0
	v_sub_u32_e32 v0, 29, v0
	v_cmp_gt_u32_e64 s[28:29], 8, v1
	v_cndmask_b32_e64 v20, v20, v0, s[28:29]
	v_cndmask_b32_e64 v0, 0, v21, s[28:29]
	v_lshlrev_b64 v[0:1], v0, v[8:9]
	v_lshlrev_b32_e32 v0, 20, v0
	v_lshlrev_b32_e32 v1, 24, v8
	v_bfrev_b32_e32 v21, 60
	v_and_b32_e32 v0, 0x700000, v0
	v_and_b32_e32 v1, 0x80000000, v1
	v_lshl_add_u32 v20, v20, 23, v21
	v_or3_b32 v0, v1, v20, v0
.LBB4_1397:                             ;   in Loop: Header=BB4_1387 Depth=4
	s_or_b64 exec, exec, s[70:71]
.LBB4_1398:                             ;   in Loop: Header=BB4_1387 Depth=4
	s_or_b64 exec, exec, s[68:69]
.LBB4_1399:                             ;   in Loop: Header=BB4_1387 Depth=4
	s_or_b64 exec, exec, s[30:31]
	v_add_f32_e32 v3, v3, v0
	v_and_b32_sdwa v0, v3, s91 dst_sel:DWORD dst_unused:UNUSED_PAD src0_sel:BYTE_3 src1_sel:DWORD
	v_and_b32_e32 v20, 0x7f800000, v3
	v_mov_b32_e32 v21, v59
	v_and_b32_e32 v58, 0x7fffff, v3
	v_or_b32_e32 v28, 0x7e, v0
	v_cmp_ne_u64_e64 s[28:29], s[54:55], v[20:21]
	s_and_saveexec_b64 s[30:31], s[28:29]
	s_xor_b64 s[68:69], exec, s[30:31]
	s_cbranch_execz .LBB4_1409
; %bb.1400:                             ;   in Loop: Header=BB4_1387 Depth=4
	v_and_b32_e32 v20, 0x7fffffff, v3
	v_mov_b32_e32 v21, v59
	v_cmp_gt_u64_e64 s[28:29], s[56:57], v[20:21]
	s_and_saveexec_b64 s[70:71], s[28:29]
	s_cbranch_execz .LBB4_1408
; %bb.1401:                             ;   in Loop: Header=BB4_1387 Depth=4
	v_cmp_ne_u32_e64 s[28:29], 0, v3
	v_mov_b32_e32 v28, 0
	s_and_saveexec_b64 s[72:73], s[28:29]
	s_cbranch_execz .LBB4_1407
; %bb.1402:                             ;   in Loop: Header=BB4_1387 Depth=4
	v_bfe_u32 v1, v3, 23, 8
	v_sub_u32_e32 v20, 0x79, v1
	v_cmp_gt_u32_e64 s[28:29], s93, v1
	v_add_u32_e32 v3, 0xffffff81, v1
	v_cndmask_b32_e64 v20, 0, v20, s[28:29]
	v_cmp_eq_u32_e64 s[28:29], 0, v1
	v_mov_b32_e32 v1, 0xffffff82
	v_cndmask_b32_e64 v1, v3, v1, s[28:29]
	v_mov_b32_e32 v3, 0x78
	v_or_b32_e32 v21, 0x800000, v58
	v_cndmask_b32_e64 v3, v20, v3, s[28:29]
	v_cndmask_b32_e64 v58, v21, v58, s[28:29]
	v_add_u32_e32 v20, 20, v3
	v_lshlrev_b64 v[20:21], v20, -1
	v_add_u32_e32 v22, 19, v3
	v_lshrrev_b64 v[30:31], v3, v[58:59]
	v_not_b32_e32 v21, v21
	v_not_b32_e32 v20, v20
	v_lshlrev_b64 v[28:29], v22, 1
	v_lshrrev_b32_e32 v22, 23, v30
	v_and_b32_e32 v21, 0, v21
	v_and_b32_e32 v20, v58, v20
	v_add3_u32 v1, v3, v1, v22
	v_bfe_u32 v3, v30, 20, 1
	v_add_u32_e32 v3, -1, v3
	v_cmp_eq_u64_e64 s[28:29], v[20:21], v[28:29]
	v_cndmask_b32_e64 v3, 0, v3, s[28:29]
	v_add_u32_e32 v3, v3, v30
	v_and_b32_e32 v3, 0xfffff, v3
	v_add_co_u32_e64 v20, s[28:29], v3, v30
	v_add_u32_e32 v22, 6, v1
	v_addc_co_u32_e64 v21, s[28:29], 0, v31, s[28:29]
	v_cmp_ne_u32_e64 s[28:29], 0, v22
                                        ; implicit-def: $vgpr3
	s_and_saveexec_b64 s[30:31], s[28:29]
	s_xor_b64 s[30:31], exec, s[30:31]
; %bb.1403:                             ;   in Loop: Header=BB4_1387 Depth=4
	v_add_u32_e32 v1, 7, v1
	v_cmp_lt_u64_e64 s[28:29], s[58:59], v[20:21]
	v_cndmask_b32_e64 v3, v22, v1, s[28:29]
	v_cndmask_b32_e64 v1, 0, 1, s[28:29]
	v_lshrrev_b64 v[20:21], v1, v[20:21]
; %bb.1404:                             ;   in Loop: Header=BB4_1387 Depth=4
	s_andn2_saveexec_b64 s[28:29], s[30:31]
; %bb.1405:                             ;   in Loop: Header=BB4_1387 Depth=4
	v_bfe_u32 v3, v20, 23, 1
; %bb.1406:                             ;   in Loop: Header=BB4_1387 Depth=4
	s_or_b64 exec, exec, s[28:29]
	v_lshrrev_b64 v[20:21], 20, v[20:21]
	v_cmp_gt_i32_e64 s[28:29], 16, v3
	v_cndmask_b32_e64 v21, 0, v21, s[28:29]
	v_cndmask_b32_e64 v20, 7, v20, s[28:29]
	v_min_i32_e32 v1, 15, v3
	v_cmp_eq_u32_e64 s[28:29], 0, v3
	v_cmp_eq_u64_e64 s[30:31], 0, v[20:21]
	v_lshlrev_b32_e32 v1, 3, v1
	v_and_or_b32 v1, v20, 7, v1
	s_and_b64 s[28:29], s[28:29], s[30:31]
	v_cndmask_b32_e64 v1, v1, 0, s[28:29]
	v_or_b32_e32 v28, v1, v0
.LBB4_1407:                             ;   in Loop: Header=BB4_1387 Depth=4
	s_or_b64 exec, exec, s[72:73]
.LBB4_1408:                             ;   in Loop: Header=BB4_1387 Depth=4
	s_or_b64 exec, exec, s[70:71]
                                        ; implicit-def: $vgpr3
.LBB4_1409:                             ;   in Loop: Header=BB4_1387 Depth=4
	s_andn2_saveexec_b64 s[30:31], s[68:69]
; %bb.1410:                             ;   in Loop: Header=BB4_1387 Depth=4
	v_or_b32_sdwa v0, v3, s92 dst_sel:DWORD dst_unused:UNUSED_PAD src0_sel:BYTE_3 src1_sel:DWORD
	v_cmp_eq_u64_e64 s[28:29], 0, v[58:59]
	v_cndmask_b32_e64 v28, v0, v28, s[28:29]
; %bb.1411:                             ;   in Loop: Header=BB4_1387 Depth=4
	s_or_b64 exec, exec, s[30:31]
	v_lshrrev_b16_e32 v20, 8, v12
	v_cmp_ne_u16_e64 s[28:29], 0, v20
	v_mov_b32_e32 v0, 0
	v_mov_b32_e32 v3, 0
	s_and_saveexec_b64 s[30:31], s[28:29]
	s_cbranch_execz .LBB4_1417
; %bb.1412:                             ;   in Loop: Header=BB4_1387 Depth=4
	v_cmp_ne_u16_e64 s[28:29], s91, v20
	v_bfrev_b32_e32 v3, 1
	s_and_saveexec_b64 s[68:69], s[28:29]
	s_cbranch_execz .LBB4_1416
; %bb.1413:                             ;   in Loop: Header=BB4_1387 Depth=4
	v_and_b32_e32 v1, 0x7f, v20
	v_cmp_ne_u32_e64 s[28:29], s92, v1
	v_mov_b32_e32 v3, 0x7f800001
	s_and_saveexec_b64 s[70:71], s[28:29]
	s_cbranch_execz .LBB4_1415
; %bb.1414:                             ;   in Loop: Header=BB4_1387 Depth=4
	v_and_b32_e32 v3, 7, v20
	v_ffbh_u32_e32 v21, v3
	v_min_u32_e32 v29, 32, v21
	v_subrev_u32_e32 v21, 28, v29
	v_lshlrev_b64 v[20:21], v21, v[20:21]
	v_lshrrev_b32_e32 v22, 3, v1
	v_sub_u32_e32 v21, 29, v29
	v_and_b32_e32 v20, 7, v20
	v_cmp_gt_u32_e64 s[28:29], 8, v1
	v_cndmask_b32_e64 v1, v22, v21, s[28:29]
	v_cndmask_b32_e64 v3, v3, v20, s[28:29]
	v_lshlrev_b32_e32 v20, 16, v12
	v_bfrev_b32_e32 v21, 60
	v_lshlrev_b32_e32 v3, 20, v3
	v_and_b32_e32 v20, 0x80000000, v20
	v_lshl_add_u32 v1, v1, 23, v21
	v_or3_b32 v3, v20, v1, v3
.LBB4_1415:                             ;   in Loop: Header=BB4_1387 Depth=4
	s_or_b64 exec, exec, s[70:71]
.LBB4_1416:                             ;   in Loop: Header=BB4_1387 Depth=4
	s_or_b64 exec, exec, s[68:69]
.LBB4_1417:                             ;   in Loop: Header=BB4_1387 Depth=4
	s_or_b64 exec, exec, s[30:31]
	v_lshrrev_b16_e32 v20, 8, v8
	v_cmp_ne_u16_e64 s[28:29], 0, v20
	s_and_saveexec_b64 s[30:31], s[28:29]
	s_cbranch_execz .LBB4_1423
; %bb.1418:                             ;   in Loop: Header=BB4_1387 Depth=4
	v_cmp_ne_u16_e64 s[28:29], s91, v20
	v_bfrev_b32_e32 v0, 1
	s_and_saveexec_b64 s[68:69], s[28:29]
	s_cbranch_execz .LBB4_1422
; %bb.1419:                             ;   in Loop: Header=BB4_1387 Depth=4
	v_and_b32_e32 v1, 0x7f, v20
	v_cmp_ne_u32_e64 s[28:29], s92, v1
	v_mov_b32_e32 v0, 0x7f800001
	s_and_saveexec_b64 s[70:71], s[28:29]
	s_cbranch_execz .LBB4_1421
; %bb.1420:                             ;   in Loop: Header=BB4_1387 Depth=4
	v_and_b32_e32 v0, 7, v20
	v_ffbh_u32_e32 v21, v0
	v_min_u32_e32 v29, 32, v21
	v_subrev_u32_e32 v21, 28, v29
	v_lshlrev_b64 v[20:21], v21, v[20:21]
	v_lshrrev_b32_e32 v22, 3, v1
	v_sub_u32_e32 v21, 29, v29
	v_and_b32_e32 v20, 7, v20
	v_cmp_gt_u32_e64 s[28:29], 8, v1
	v_cndmask_b32_e64 v1, v22, v21, s[28:29]
	v_cndmask_b32_e64 v0, v0, v20, s[28:29]
	v_lshlrev_b32_e32 v20, 16, v8
	v_bfrev_b32_e32 v21, 60
	v_lshlrev_b32_e32 v0, 20, v0
	v_and_b32_e32 v20, 0x80000000, v20
	v_lshl_add_u32 v1, v1, 23, v21
	v_or3_b32 v0, v20, v1, v0
.LBB4_1421:                             ;   in Loop: Header=BB4_1387 Depth=4
	s_or_b64 exec, exec, s[70:71]
.LBB4_1422:                             ;   in Loop: Header=BB4_1387 Depth=4
	s_or_b64 exec, exec, s[68:69]
.LBB4_1423:                             ;   in Loop: Header=BB4_1387 Depth=4
	s_or_b64 exec, exec, s[30:31]
	v_add_f32_e32 v3, v3, v0
	v_and_b32_sdwa v0, v3, s91 dst_sel:DWORD dst_unused:UNUSED_PAD src0_sel:BYTE_3 src1_sel:DWORD
	v_and_b32_e32 v20, 0x7f800000, v3
	v_mov_b32_e32 v21, v59
	v_and_b32_e32 v58, 0x7fffff, v3
	v_or_b32_e32 v29, 0x7e, v0
	v_cmp_ne_u64_e64 s[28:29], s[54:55], v[20:21]
	s_and_saveexec_b64 s[30:31], s[28:29]
	s_xor_b64 s[68:69], exec, s[30:31]
	s_cbranch_execz .LBB4_1433
; %bb.1424:                             ;   in Loop: Header=BB4_1387 Depth=4
	v_and_b32_e32 v20, 0x7fffffff, v3
	v_mov_b32_e32 v21, v59
	v_cmp_gt_u64_e64 s[28:29], s[56:57], v[20:21]
	s_and_saveexec_b64 s[70:71], s[28:29]
	s_cbranch_execz .LBB4_1432
; %bb.1425:                             ;   in Loop: Header=BB4_1387 Depth=4
	v_cmp_ne_u32_e64 s[28:29], 0, v3
	v_mov_b32_e32 v29, 0
	s_and_saveexec_b64 s[72:73], s[28:29]
	s_cbranch_execz .LBB4_1431
; %bb.1426:                             ;   in Loop: Header=BB4_1387 Depth=4
	v_bfe_u32 v1, v3, 23, 8
	v_sub_u32_e32 v20, 0x79, v1
	v_cmp_gt_u32_e64 s[28:29], s93, v1
	v_add_u32_e32 v3, 0xffffff81, v1
	v_cndmask_b32_e64 v20, 0, v20, s[28:29]
	v_cmp_eq_u32_e64 s[28:29], 0, v1
	v_mov_b32_e32 v1, 0xffffff82
	v_cndmask_b32_e64 v1, v3, v1, s[28:29]
	v_mov_b32_e32 v3, 0x78
	v_or_b32_e32 v21, 0x800000, v58
	v_cndmask_b32_e64 v3, v20, v3, s[28:29]
	v_cndmask_b32_e64 v58, v21, v58, s[28:29]
	v_add_u32_e32 v20, 20, v3
	v_lshlrev_b64 v[20:21], v20, -1
	v_add_u32_e32 v22, 19, v3
	v_lshrrev_b64 v[32:33], v3, v[58:59]
	v_not_b32_e32 v21, v21
	v_not_b32_e32 v20, v20
	v_lshlrev_b64 v[30:31], v22, 1
	v_lshrrev_b32_e32 v22, 23, v32
	v_and_b32_e32 v21, 0, v21
	v_and_b32_e32 v20, v58, v20
	v_add3_u32 v1, v3, v1, v22
	v_bfe_u32 v3, v32, 20, 1
	v_add_u32_e32 v3, -1, v3
	v_cmp_eq_u64_e64 s[28:29], v[20:21], v[30:31]
	v_cndmask_b32_e64 v3, 0, v3, s[28:29]
	v_add_u32_e32 v3, v3, v32
	v_and_b32_e32 v3, 0xfffff, v3
	v_add_co_u32_e64 v20, s[28:29], v3, v32
	v_add_u32_e32 v22, 6, v1
	v_addc_co_u32_e64 v21, s[28:29], 0, v33, s[28:29]
	v_cmp_ne_u32_e64 s[28:29], 0, v22
                                        ; implicit-def: $vgpr3
	s_and_saveexec_b64 s[30:31], s[28:29]
	s_xor_b64 s[30:31], exec, s[30:31]
; %bb.1427:                             ;   in Loop: Header=BB4_1387 Depth=4
	v_add_u32_e32 v1, 7, v1
	v_cmp_lt_u64_e64 s[28:29], s[58:59], v[20:21]
	v_cndmask_b32_e64 v3, v22, v1, s[28:29]
	v_cndmask_b32_e64 v1, 0, 1, s[28:29]
	v_lshrrev_b64 v[20:21], v1, v[20:21]
; %bb.1428:                             ;   in Loop: Header=BB4_1387 Depth=4
	s_andn2_saveexec_b64 s[28:29], s[30:31]
; %bb.1429:                             ;   in Loop: Header=BB4_1387 Depth=4
	v_bfe_u32 v3, v20, 23, 1
; %bb.1430:                             ;   in Loop: Header=BB4_1387 Depth=4
	s_or_b64 exec, exec, s[28:29]
	v_lshrrev_b64 v[20:21], 20, v[20:21]
	v_cmp_gt_i32_e64 s[28:29], 16, v3
	v_cndmask_b32_e64 v21, 0, v21, s[28:29]
	v_cndmask_b32_e64 v20, 7, v20, s[28:29]
	v_min_i32_e32 v1, 15, v3
	v_cmp_eq_u32_e64 s[28:29], 0, v3
	v_cmp_eq_u64_e64 s[30:31], 0, v[20:21]
	v_lshlrev_b32_e32 v1, 3, v1
	v_and_or_b32 v1, v20, 7, v1
	s_and_b64 s[28:29], s[28:29], s[30:31]
	v_cndmask_b32_e64 v1, v1, 0, s[28:29]
	v_or_b32_e32 v29, v1, v0
.LBB4_1431:                             ;   in Loop: Header=BB4_1387 Depth=4
	s_or_b64 exec, exec, s[72:73]
.LBB4_1432:                             ;   in Loop: Header=BB4_1387 Depth=4
	s_or_b64 exec, exec, s[70:71]
                                        ; implicit-def: $vgpr3
.LBB4_1433:                             ;   in Loop: Header=BB4_1387 Depth=4
	s_andn2_saveexec_b64 s[30:31], s[68:69]
; %bb.1434:                             ;   in Loop: Header=BB4_1387 Depth=4
	v_or_b32_sdwa v0, v3, s92 dst_sel:DWORD dst_unused:UNUSED_PAD src0_sel:BYTE_3 src1_sel:DWORD
	v_cmp_eq_u64_e64 s[28:29], 0, v[58:59]
	v_cndmask_b32_e64 v29, v0, v29, s[28:29]
; %bb.1435:                             ;   in Loop: Header=BB4_1387 Depth=4
	s_or_b64 exec, exec, s[30:31]
	v_lshrrev_b32_e32 v20, 16, v12
	v_cmp_ne_u16_sdwa s[28:29], v20, v59 src0_sel:BYTE_0 src1_sel:DWORD
	v_mov_b32_e32 v0, 0
	v_mov_b32_e32 v3, 0
	s_and_saveexec_b64 s[30:31], s[28:29]
	s_cbranch_execz .LBB4_1441
; %bb.1436:                             ;   in Loop: Header=BB4_1387 Depth=4
	v_cmp_ne_u16_sdwa s[28:29], v20, s91 src0_sel:BYTE_0 src1_sel:DWORD
	v_bfrev_b32_e32 v3, 1
	s_and_saveexec_b64 s[68:69], s[28:29]
	s_cbranch_execz .LBB4_1440
; %bb.1437:                             ;   in Loop: Header=BB4_1387 Depth=4
	v_bfe_u32 v1, v12, 16, 7
	v_cmp_ne_u32_e64 s[28:29], s92, v1
	v_mov_b32_e32 v3, 0x7f800001
	s_and_saveexec_b64 s[70:71], s[28:29]
	s_cbranch_execz .LBB4_1439
; %bb.1438:                             ;   in Loop: Header=BB4_1387 Depth=4
	v_and_b32_e32 v3, 7, v20
	v_ffbh_u32_e32 v22, v3
	v_min_u32_e32 v22, 32, v22
	v_lshrrev_b32_e32 v21, 3, v1
	v_subrev_u32_e32 v30, 28, v22
	v_lshlrev_b64 v[30:31], v30, v[20:21]
	v_sub_u32_e32 v22, 29, v22
	v_and_b32_e32 v30, 7, v30
	v_cmp_gt_u32_e64 s[28:29], 8, v1
	v_cndmask_b32_e64 v1, v21, v22, s[28:29]
	v_cndmask_b32_e64 v3, v3, v30, s[28:29]
	v_lshlrev_b32_e32 v20, 24, v20
	v_bfrev_b32_e32 v21, 60
	v_lshlrev_b32_e32 v3, 20, v3
	v_and_b32_e32 v20, 0x80000000, v20
	v_lshl_add_u32 v1, v1, 23, v21
	v_or3_b32 v3, v20, v1, v3
.LBB4_1439:                             ;   in Loop: Header=BB4_1387 Depth=4
	s_or_b64 exec, exec, s[70:71]
.LBB4_1440:                             ;   in Loop: Header=BB4_1387 Depth=4
	s_or_b64 exec, exec, s[68:69]
.LBB4_1441:                             ;   in Loop: Header=BB4_1387 Depth=4
	s_or_b64 exec, exec, s[30:31]
	v_lshrrev_b32_e32 v20, 16, v8
	v_cmp_ne_u16_sdwa s[28:29], v20, v59 src0_sel:BYTE_0 src1_sel:DWORD
	s_and_saveexec_b64 s[30:31], s[28:29]
	s_cbranch_execz .LBB4_1447
; %bb.1442:                             ;   in Loop: Header=BB4_1387 Depth=4
	v_cmp_ne_u16_sdwa s[28:29], v20, s91 src0_sel:BYTE_0 src1_sel:DWORD
	v_bfrev_b32_e32 v0, 1
	s_and_saveexec_b64 s[68:69], s[28:29]
	s_cbranch_execz .LBB4_1446
; %bb.1443:                             ;   in Loop: Header=BB4_1387 Depth=4
	v_bfe_u32 v1, v8, 16, 7
	v_cmp_ne_u32_e64 s[28:29], s92, v1
	v_mov_b32_e32 v0, 0x7f800001
	s_and_saveexec_b64 s[70:71], s[28:29]
	s_cbranch_execz .LBB4_1445
; %bb.1444:                             ;   in Loop: Header=BB4_1387 Depth=4
	v_and_b32_e32 v0, 7, v20
	v_ffbh_u32_e32 v21, v0
	v_min_u32_e32 v30, 32, v21
	v_subrev_u32_e32 v21, 28, v30
	v_lshlrev_b64 v[20:21], v21, v[20:21]
	v_lshrrev_b32_e32 v22, 3, v1
	v_sub_u32_e32 v21, 29, v30
	v_and_b32_e32 v20, 7, v20
	v_cmp_gt_u32_e64 s[28:29], 8, v1
	v_cndmask_b32_e64 v1, v22, v21, s[28:29]
	v_cndmask_b32_e64 v0, v0, v20, s[28:29]
	v_lshlrev_b32_e32 v20, 8, v8
	v_bfrev_b32_e32 v21, 60
	v_lshlrev_b32_e32 v0, 20, v0
	v_and_b32_e32 v20, 0x80000000, v20
	v_lshl_add_u32 v1, v1, 23, v21
	v_or3_b32 v0, v20, v1, v0
.LBB4_1445:                             ;   in Loop: Header=BB4_1387 Depth=4
	s_or_b64 exec, exec, s[70:71]
.LBB4_1446:                             ;   in Loop: Header=BB4_1387 Depth=4
	s_or_b64 exec, exec, s[68:69]
.LBB4_1447:                             ;   in Loop: Header=BB4_1387 Depth=4
	s_or_b64 exec, exec, s[30:31]
	v_add_f32_e32 v3, v3, v0
	v_and_b32_sdwa v0, v3, s91 dst_sel:DWORD dst_unused:UNUSED_PAD src0_sel:BYTE_3 src1_sel:DWORD
	v_and_b32_e32 v20, 0x7f800000, v3
	v_mov_b32_e32 v21, v59
	v_and_b32_e32 v58, 0x7fffff, v3
	v_or_b32_e32 v30, 0x7e, v0
	v_cmp_ne_u64_e64 s[28:29], s[54:55], v[20:21]
	s_and_saveexec_b64 s[30:31], s[28:29]
	s_xor_b64 s[68:69], exec, s[30:31]
	s_cbranch_execz .LBB4_1457
; %bb.1448:                             ;   in Loop: Header=BB4_1387 Depth=4
	v_and_b32_e32 v20, 0x7fffffff, v3
	v_mov_b32_e32 v21, v59
	v_cmp_gt_u64_e64 s[28:29], s[56:57], v[20:21]
	s_and_saveexec_b64 s[70:71], s[28:29]
	s_cbranch_execz .LBB4_1456
; %bb.1449:                             ;   in Loop: Header=BB4_1387 Depth=4
	v_cmp_ne_u32_e64 s[28:29], 0, v3
	v_mov_b32_e32 v30, 0
	s_and_saveexec_b64 s[72:73], s[28:29]
	s_cbranch_execz .LBB4_1455
; %bb.1450:                             ;   in Loop: Header=BB4_1387 Depth=4
	v_bfe_u32 v1, v3, 23, 8
	v_sub_u32_e32 v20, 0x79, v1
	v_cmp_gt_u32_e64 s[28:29], s93, v1
	v_add_u32_e32 v3, 0xffffff81, v1
	v_cndmask_b32_e64 v20, 0, v20, s[28:29]
	v_cmp_eq_u32_e64 s[28:29], 0, v1
	v_mov_b32_e32 v1, 0xffffff82
	v_cndmask_b32_e64 v1, v3, v1, s[28:29]
	v_mov_b32_e32 v3, 0x78
	v_or_b32_e32 v21, 0x800000, v58
	v_cndmask_b32_e64 v3, v20, v3, s[28:29]
	v_cndmask_b32_e64 v58, v21, v58, s[28:29]
	v_add_u32_e32 v20, 20, v3
	v_lshlrev_b64 v[20:21], v20, -1
	v_add_u32_e32 v22, 19, v3
	v_lshrrev_b64 v[32:33], v3, v[58:59]
	v_not_b32_e32 v21, v21
	v_not_b32_e32 v20, v20
	v_lshlrev_b64 v[30:31], v22, 1
	v_lshrrev_b32_e32 v22, 23, v32
	v_and_b32_e32 v21, 0, v21
	v_and_b32_e32 v20, v58, v20
	v_add3_u32 v1, v3, v1, v22
	v_bfe_u32 v3, v32, 20, 1
	v_add_u32_e32 v3, -1, v3
	v_cmp_eq_u64_e64 s[28:29], v[20:21], v[30:31]
	v_cndmask_b32_e64 v3, 0, v3, s[28:29]
	v_add_u32_e32 v3, v3, v32
	v_and_b32_e32 v3, 0xfffff, v3
	v_add_co_u32_e64 v20, s[28:29], v3, v32
	v_add_u32_e32 v22, 6, v1
	v_addc_co_u32_e64 v21, s[28:29], 0, v33, s[28:29]
	v_cmp_ne_u32_e64 s[28:29], 0, v22
                                        ; implicit-def: $vgpr3
	s_and_saveexec_b64 s[30:31], s[28:29]
	s_xor_b64 s[30:31], exec, s[30:31]
; %bb.1451:                             ;   in Loop: Header=BB4_1387 Depth=4
	v_add_u32_e32 v1, 7, v1
	v_cmp_lt_u64_e64 s[28:29], s[58:59], v[20:21]
	v_cndmask_b32_e64 v3, v22, v1, s[28:29]
	v_cndmask_b32_e64 v1, 0, 1, s[28:29]
	v_lshrrev_b64 v[20:21], v1, v[20:21]
; %bb.1452:                             ;   in Loop: Header=BB4_1387 Depth=4
	s_andn2_saveexec_b64 s[28:29], s[30:31]
; %bb.1453:                             ;   in Loop: Header=BB4_1387 Depth=4
	v_bfe_u32 v3, v20, 23, 1
; %bb.1454:                             ;   in Loop: Header=BB4_1387 Depth=4
	s_or_b64 exec, exec, s[28:29]
	v_lshrrev_b64 v[20:21], 20, v[20:21]
	v_cmp_gt_i32_e64 s[28:29], 16, v3
	v_cndmask_b32_e64 v21, 0, v21, s[28:29]
	v_cndmask_b32_e64 v20, 7, v20, s[28:29]
	v_min_i32_e32 v1, 15, v3
	v_cmp_eq_u32_e64 s[28:29], 0, v3
	v_cmp_eq_u64_e64 s[30:31], 0, v[20:21]
	v_lshlrev_b32_e32 v1, 3, v1
	v_and_or_b32 v1, v20, 7, v1
	s_and_b64 s[28:29], s[28:29], s[30:31]
	v_cndmask_b32_e64 v1, v1, 0, s[28:29]
	v_or_b32_e32 v30, v1, v0
.LBB4_1455:                             ;   in Loop: Header=BB4_1387 Depth=4
	s_or_b64 exec, exec, s[72:73]
.LBB4_1456:                             ;   in Loop: Header=BB4_1387 Depth=4
	s_or_b64 exec, exec, s[70:71]
                                        ; implicit-def: $vgpr3
.LBB4_1457:                             ;   in Loop: Header=BB4_1387 Depth=4
	s_andn2_saveexec_b64 s[30:31], s[68:69]
; %bb.1458:                             ;   in Loop: Header=BB4_1387 Depth=4
	v_or_b32_sdwa v0, v3, s92 dst_sel:DWORD dst_unused:UNUSED_PAD src0_sel:BYTE_3 src1_sel:DWORD
	v_cmp_eq_u64_e64 s[28:29], 0, v[58:59]
	v_cndmask_b32_e64 v30, v0, v30, s[28:29]
; %bb.1459:                             ;   in Loop: Header=BB4_1387 Depth=4
	s_or_b64 exec, exec, s[30:31]
	v_cmp_lt_u32_e64 s[28:29], s45, v12
	v_mov_b32_e32 v0, 0
	v_mov_b32_e32 v3, 0
	s_and_saveexec_b64 s[30:31], s[28:29]
	s_cbranch_execz .LBB4_1465
; %bb.1460:                             ;   in Loop: Header=BB4_1387 Depth=4
	v_lshrrev_b32_e32 v20, 24, v12
	v_cmp_ne_u32_e64 s[28:29], s91, v20
	v_bfrev_b32_e32 v3, 1
	s_and_saveexec_b64 s[68:69], s[28:29]
	s_cbranch_execz .LBB4_1464
; %bb.1461:                             ;   in Loop: Header=BB4_1387 Depth=4
	v_bfe_u32 v1, v12, 24, 7
	v_cmp_ne_u32_e64 s[28:29], s92, v1
	v_mov_b32_e32 v3, 0x7f800001
	s_and_saveexec_b64 s[70:71], s[28:29]
	s_cbranch_execz .LBB4_1463
; %bb.1462:                             ;   in Loop: Header=BB4_1387 Depth=4
	v_and_b32_e32 v3, 7, v20
	v_ffbh_u32_e32 v22, v3
	v_min_u32_e32 v22, 32, v22
	v_lshrrev_b32_e32 v21, 3, v1
	v_subrev_u32_e32 v31, 28, v22
	v_lshlrev_b64 v[32:33], v31, v[20:21]
	v_sub_u32_e32 v22, 29, v22
	v_and_b32_e32 v31, 7, v32
	v_cmp_gt_u32_e64 s[28:29], 8, v1
	v_cndmask_b32_e64 v1, v21, v22, s[28:29]
	v_cndmask_b32_e64 v3, v3, v31, s[28:29]
	v_lshlrev_b32_e32 v20, 24, v20
	v_bfrev_b32_e32 v21, 60
	v_lshlrev_b32_e32 v3, 20, v3
	v_and_b32_e32 v20, 0x80000000, v20
	v_lshl_add_u32 v1, v1, 23, v21
	v_or3_b32 v3, v20, v1, v3
.LBB4_1463:                             ;   in Loop: Header=BB4_1387 Depth=4
	s_or_b64 exec, exec, s[70:71]
.LBB4_1464:                             ;   in Loop: Header=BB4_1387 Depth=4
	s_or_b64 exec, exec, s[68:69]
.LBB4_1465:                             ;   in Loop: Header=BB4_1387 Depth=4
	s_or_b64 exec, exec, s[30:31]
	v_cmp_lt_u32_e64 s[28:29], s45, v8
	s_and_saveexec_b64 s[30:31], s[28:29]
	s_cbranch_execz .LBB4_1471
; %bb.1466:                             ;   in Loop: Header=BB4_1387 Depth=4
	v_lshrrev_b32_e32 v20, 24, v8
	v_cmp_ne_u32_e64 s[28:29], s91, v20
	v_bfrev_b32_e32 v0, 1
	s_and_saveexec_b64 s[68:69], s[28:29]
	s_cbranch_execz .LBB4_1470
; %bb.1467:                             ;   in Loop: Header=BB4_1387 Depth=4
	v_bfe_u32 v1, v8, 24, 7
	v_cmp_ne_u32_e64 s[28:29], s92, v1
	v_mov_b32_e32 v0, 0x7f800001
	s_and_saveexec_b64 s[70:71], s[28:29]
	s_cbranch_execz .LBB4_1469
; %bb.1468:                             ;   in Loop: Header=BB4_1387 Depth=4
	v_and_b32_e32 v0, 7, v20
	v_ffbh_u32_e32 v22, v0
	v_min_u32_e32 v22, 32, v22
	v_lshrrev_b32_e32 v21, 3, v1
	v_subrev_u32_e32 v31, 28, v22
	v_lshlrev_b64 v[32:33], v31, v[20:21]
	v_sub_u32_e32 v22, 29, v22
	v_and_b32_e32 v31, 7, v32
	v_cmp_gt_u32_e64 s[28:29], 8, v1
	v_cndmask_b32_e64 v1, v21, v22, s[28:29]
	v_cndmask_b32_e64 v0, v0, v31, s[28:29]
	v_lshlrev_b32_e32 v20, 24, v20
	v_bfrev_b32_e32 v21, 60
	v_lshlrev_b32_e32 v0, 20, v0
	v_and_b32_e32 v20, 0x80000000, v20
	v_lshl_add_u32 v1, v1, 23, v21
	v_or3_b32 v0, v20, v1, v0
.LBB4_1469:                             ;   in Loop: Header=BB4_1387 Depth=4
	s_or_b64 exec, exec, s[70:71]
.LBB4_1470:                             ;   in Loop: Header=BB4_1387 Depth=4
	s_or_b64 exec, exec, s[68:69]
.LBB4_1471:                             ;   in Loop: Header=BB4_1387 Depth=4
	s_or_b64 exec, exec, s[30:31]
	v_add_f32_e32 v20, v3, v0
	v_and_b32_sdwa v3, v20, s91 dst_sel:DWORD dst_unused:UNUSED_PAD src0_sel:BYTE_3 src1_sel:DWORD
	v_and_b32_e32 v32, 0x7f800000, v20
	v_mov_b32_e32 v33, v59
	v_and_b32_e32 v58, 0x7fffff, v20
	v_or_b32_e32 v0, 0x7e, v3
	v_cmp_ne_u64_e64 s[28:29], s[54:55], v[32:33]
	s_and_saveexec_b64 s[30:31], s[28:29]
	s_xor_b64 s[68:69], exec, s[30:31]
	s_cbranch_execz .LBB4_1481
; %bb.1472:                             ;   in Loop: Header=BB4_1387 Depth=4
	v_and_b32_e32 v32, 0x7fffffff, v20
	v_mov_b32_e32 v33, v59
	v_cmp_gt_u64_e64 s[28:29], s[56:57], v[32:33]
	s_and_saveexec_b64 s[70:71], s[28:29]
	s_cbranch_execz .LBB4_1480
; %bb.1473:                             ;   in Loop: Header=BB4_1387 Depth=4
	v_cmp_ne_u32_e64 s[28:29], 0, v20
	v_mov_b32_e32 v0, 0
	s_and_saveexec_b64 s[72:73], s[28:29]
	s_cbranch_execz .LBB4_1479
; %bb.1474:                             ;   in Loop: Header=BB4_1387 Depth=4
	v_bfe_u32 v0, v20, 23, 8
	v_sub_u32_e32 v20, 0x79, v0
	v_cmp_gt_u32_e64 s[28:29], s93, v0
	v_add_u32_e32 v1, 0xffffff81, v0
	v_cndmask_b32_e64 v20, 0, v20, s[28:29]
	v_cmp_eq_u32_e64 s[28:29], 0, v0
	v_mov_b32_e32 v0, 0xffffff82
	v_cndmask_b32_e64 v22, v1, v0, s[28:29]
	v_mov_b32_e32 v0, 0x78
	v_cndmask_b32_e64 v31, v20, v0, s[28:29]
	v_add_u32_e32 v0, 20, v31
	v_or_b32_e32 v21, 0x800000, v58
	v_lshlrev_b64 v[0:1], v0, -1
	v_cndmask_b32_e64 v58, v21, v58, s[28:29]
	v_not_b32_e32 v0, v0
	v_and_b32_e32 v20, v58, v0
	v_add_u32_e32 v0, 19, v31
	v_lshrrev_b64 v[34:35], v31, v[58:59]
	v_not_b32_e32 v1, v1
	v_lshlrev_b64 v[32:33], v0, 1
	v_lshrrev_b32_e32 v0, 23, v34
	v_and_b32_e32 v21, 0, v1
	v_add3_u32 v1, v31, v22, v0
	v_bfe_u32 v0, v34, 20, 1
	v_add_u32_e32 v0, -1, v0
	v_cmp_eq_u64_e64 s[28:29], v[20:21], v[32:33]
	v_cndmask_b32_e64 v0, 0, v0, s[28:29]
	v_add_u32_e32 v0, v0, v34
	v_and_b32_e32 v0, 0xfffff, v0
	v_add_co_u32_e64 v20, s[28:29], v0, v34
	v_add_u32_e32 v22, 6, v1
	v_addc_co_u32_e64 v21, s[28:29], 0, v35, s[28:29]
	v_cmp_ne_u32_e64 s[28:29], 0, v22
                                        ; implicit-def: $vgpr0
	s_and_saveexec_b64 s[30:31], s[28:29]
	s_xor_b64 s[30:31], exec, s[30:31]
; %bb.1475:                             ;   in Loop: Header=BB4_1387 Depth=4
	v_cmp_lt_u64_e64 s[28:29], s[58:59], v[20:21]
	v_add_u32_e32 v0, 7, v1
	v_cndmask_b32_e64 v1, 0, 1, s[28:29]
	v_cndmask_b32_e64 v0, v22, v0, s[28:29]
	v_lshrrev_b64 v[20:21], v1, v[20:21]
; %bb.1476:                             ;   in Loop: Header=BB4_1387 Depth=4
	s_andn2_saveexec_b64 s[28:29], s[30:31]
; %bb.1477:                             ;   in Loop: Header=BB4_1387 Depth=4
	v_bfe_u32 v0, v20, 23, 1
; %bb.1478:                             ;   in Loop: Header=BB4_1387 Depth=4
	s_or_b64 exec, exec, s[28:29]
	v_lshrrev_b64 v[20:21], 20, v[20:21]
	v_cmp_gt_i32_e64 s[28:29], 16, v0
	v_cndmask_b32_e64 v21, 0, v21, s[28:29]
	v_cndmask_b32_e64 v20, 7, v20, s[28:29]
	v_cmp_eq_u32_e64 s[28:29], 0, v0
	v_min_i32_e32 v0, 15, v0
	v_cmp_eq_u64_e64 s[30:31], 0, v[20:21]
	v_lshlrev_b32_e32 v0, 3, v0
	v_and_or_b32 v0, v20, 7, v0
	s_and_b64 s[28:29], s[28:29], s[30:31]
	v_cndmask_b32_e64 v0, v0, 0, s[28:29]
	v_or_b32_e32 v0, v0, v3
.LBB4_1479:                             ;   in Loop: Header=BB4_1387 Depth=4
	s_or_b64 exec, exec, s[72:73]
.LBB4_1480:                             ;   in Loop: Header=BB4_1387 Depth=4
	s_or_b64 exec, exec, s[70:71]
                                        ; implicit-def: $vgpr20
.LBB4_1481:                             ;   in Loop: Header=BB4_1387 Depth=4
	s_andn2_saveexec_b64 s[30:31], s[68:69]
; %bb.1482:                             ;   in Loop: Header=BB4_1387 Depth=4
	v_or_b32_sdwa v1, v20, s92 dst_sel:DWORD dst_unused:UNUSED_PAD src0_sel:BYTE_3 src1_sel:DWORD
	v_cmp_eq_u64_e64 s[28:29], 0, v[58:59]
	v_cndmask_b32_e64 v0, v1, v0, s[28:29]
; %bb.1483:                             ;   in Loop: Header=BB4_1387 Depth=4
	s_or_b64 exec, exec, s[30:31]
	v_mov_b32_e32 v58, v13
	v_cmp_ne_u16_sdwa s[28:29], v13, v59 src0_sel:BYTE_0 src1_sel:DWORD
	v_mov_b32_e32 v20, 0
	v_mov_b32_e32 v3, 0
	s_and_saveexec_b64 s[30:31], s[28:29]
	s_cbranch_execz .LBB4_1489
; %bb.1484:                             ;   in Loop: Header=BB4_1387 Depth=4
	v_cmp_ne_u16_sdwa s[28:29], v13, s91 src0_sel:BYTE_0 src1_sel:DWORD
	v_bfrev_b32_e32 v3, 1
	s_and_saveexec_b64 s[68:69], s[28:29]
	s_cbranch_execz .LBB4_1488
; %bb.1485:                             ;   in Loop: Header=BB4_1387 Depth=4
	v_and_b32_e32 v1, 0x7f, v13
	v_cmp_ne_u32_e64 s[28:29], s92, v1
	v_mov_b32_e32 v3, 0x7f800001
	s_and_saveexec_b64 s[70:71], s[28:29]
	s_cbranch_execz .LBB4_1487
; %bb.1486:                             ;   in Loop: Header=BB4_1387 Depth=4
	v_and_b32_e32 v3, 7, v13
	v_ffbh_u32_e32 v3, v3
	v_min_u32_e32 v3, 32, v3
	v_lshrrev_b32_e32 v21, 3, v1
	v_subrev_u32_e32 v22, 28, v3
	v_sub_u32_e32 v3, 29, v3
	v_cmp_gt_u32_e64 s[28:29], 8, v1
	v_cndmask_b32_e64 v1, v21, v3, s[28:29]
	v_cndmask_b32_e64 v3, 0, v22, s[28:29]
	v_lshlrev_b64 v[32:33], v3, v[58:59]
	v_lshlrev_b32_e32 v3, 20, v32
	v_lshlrev_b32_e32 v21, 24, v58
	v_bfrev_b32_e32 v22, 60
	v_and_b32_e32 v3, 0x700000, v3
	v_and_b32_e32 v21, 0x80000000, v21
	v_lshl_add_u32 v1, v1, 23, v22
	v_or3_b32 v3, v21, v1, v3
.LBB4_1487:                             ;   in Loop: Header=BB4_1387 Depth=4
	s_or_b64 exec, exec, s[70:71]
.LBB4_1488:                             ;   in Loop: Header=BB4_1387 Depth=4
	s_or_b64 exec, exec, s[68:69]
.LBB4_1489:                             ;   in Loop: Header=BB4_1387 Depth=4
	s_or_b64 exec, exec, s[30:31]
	v_cmp_ne_u16_sdwa s[28:29], v9, v59 src0_sel:BYTE_0 src1_sel:DWORD
	s_and_saveexec_b64 s[30:31], s[28:29]
	s_cbranch_execz .LBB4_1495
; %bb.1490:                             ;   in Loop: Header=BB4_1387 Depth=4
	v_cmp_ne_u16_sdwa s[28:29], v9, s91 src0_sel:BYTE_0 src1_sel:DWORD
	v_bfrev_b32_e32 v20, 1
	s_and_saveexec_b64 s[68:69], s[28:29]
	s_cbranch_execz .LBB4_1494
; %bb.1491:                             ;   in Loop: Header=BB4_1387 Depth=4
	v_and_b32_e32 v1, 0x7f, v9
	v_cmp_ne_u32_e64 s[28:29], s92, v1
	v_mov_b32_e32 v20, 0x7f800001
	s_and_saveexec_b64 s[70:71], s[28:29]
	s_cbranch_execz .LBB4_1493
; %bb.1492:                             ;   in Loop: Header=BB4_1387 Depth=4
	v_and_b32_e32 v22, 7, v9
	v_ffbh_u32_e32 v22, v22
	v_min_u32_e32 v22, 32, v22
	v_lshrrev_b32_e32 v31, 3, v1
	v_subrev_u32_e32 v32, 28, v22
	v_sub_u32_e32 v22, 29, v22
	v_cmp_gt_u32_e64 s[28:29], 8, v1
	v_mov_b32_e32 v20, v9
	v_mov_b32_e32 v21, v59
	v_cndmask_b32_e64 v1, v31, v22, s[28:29]
	v_cndmask_b32_e64 v22, 0, v32, s[28:29]
	v_lshlrev_b64 v[32:33], v22, v[20:21]
	v_lshlrev_b32_e32 v21, 20, v32
	v_lshlrev_b32_e32 v20, 24, v20
	v_bfrev_b32_e32 v22, 60
	v_and_b32_e32 v21, 0x700000, v21
	v_and_b32_e32 v20, 0x80000000, v20
	v_lshl_add_u32 v1, v1, 23, v22
	v_or3_b32 v20, v20, v1, v21
.LBB4_1493:                             ;   in Loop: Header=BB4_1387 Depth=4
	s_or_b64 exec, exec, s[70:71]
.LBB4_1494:                             ;   in Loop: Header=BB4_1387 Depth=4
	s_or_b64 exec, exec, s[68:69]
.LBB4_1495:                             ;   in Loop: Header=BB4_1387 Depth=4
	s_or_b64 exec, exec, s[30:31]
	v_add_f32_e32 v22, v3, v20
	v_and_b32_sdwa v3, v22, s91 dst_sel:DWORD dst_unused:UNUSED_PAD src0_sel:BYTE_3 src1_sel:DWORD
	v_and_b32_e32 v32, 0x7f800000, v22
	v_mov_b32_e32 v33, v59
	v_and_b32_e32 v20, 0x7fffff, v22
	v_mov_b32_e32 v21, v59
	v_or_b32_e32 v36, 0x7e, v3
	v_cmp_ne_u64_e64 s[28:29], s[54:55], v[32:33]
	s_and_saveexec_b64 s[30:31], s[28:29]
	s_xor_b64 s[68:69], exec, s[30:31]
	s_cbranch_execz .LBB4_1505
; %bb.1496:                             ;   in Loop: Header=BB4_1387 Depth=4
	v_and_b32_e32 v32, 0x7fffffff, v22
	v_mov_b32_e32 v33, v59
	v_cmp_gt_u64_e64 s[28:29], s[56:57], v[32:33]
	s_and_saveexec_b64 s[70:71], s[28:29]
	s_cbranch_execz .LBB4_1504
; %bb.1497:                             ;   in Loop: Header=BB4_1387 Depth=4
	v_cmp_ne_u32_e64 s[28:29], 0, v22
	v_mov_b32_e32 v36, 0
	s_and_saveexec_b64 s[72:73], s[28:29]
	s_cbranch_execz .LBB4_1503
; %bb.1498:                             ;   in Loop: Header=BB4_1387 Depth=4
	v_bfe_u32 v1, v22, 23, 8
	v_sub_u32_e32 v31, 0x79, v1
	v_cmp_gt_u32_e64 s[28:29], s93, v1
	v_add_u32_e32 v22, 0xffffff81, v1
	v_cndmask_b32_e64 v31, 0, v31, s[28:29]
	v_cmp_eq_u32_e64 s[28:29], 0, v1
	v_mov_b32_e32 v1, 0xffffff82
	v_cndmask_b32_e64 v1, v22, v1, s[28:29]
	v_mov_b32_e32 v22, 0x78
	v_cndmask_b32_e64 v22, v31, v22, s[28:29]
	v_or_b32_e32 v32, 0x800000, v20
	v_add_u32_e32 v31, 20, v22
	v_cndmask_b32_e64 v20, v32, v20, s[28:29]
	v_lshlrev_b64 v[32:33], v31, -1
	v_not_b32_e32 v31, v33
	v_not_b32_e32 v32, v32
	v_and_b32_e32 v33, 0, v31
	v_and_b32_e32 v32, v20, v32
	v_add_u32_e32 v31, 19, v22
	v_lshrrev_b64 v[20:21], v22, v[20:21]
	v_lshlrev_b64 v[34:35], v31, 1
	v_lshrrev_b32_e32 v31, 23, v20
	v_add3_u32 v1, v22, v1, v31
	v_bfe_u32 v22, v20, 20, 1
	v_add_u32_e32 v22, -1, v22
	v_cmp_eq_u64_e64 s[28:29], v[32:33], v[34:35]
	v_cndmask_b32_e64 v22, 0, v22, s[28:29]
	v_add_u32_e32 v22, v22, v20
	v_and_b32_e32 v22, 0xfffff, v22
	v_add_co_u32_e64 v20, s[28:29], v22, v20
	v_add_u32_e32 v31, 6, v1
	v_addc_co_u32_e64 v21, s[28:29], 0, v21, s[28:29]
	v_cmp_ne_u32_e64 s[28:29], 0, v31
                                        ; implicit-def: $vgpr22
	s_and_saveexec_b64 s[30:31], s[28:29]
	s_xor_b64 s[30:31], exec, s[30:31]
; %bb.1499:                             ;   in Loop: Header=BB4_1387 Depth=4
	v_add_u32_e32 v1, 7, v1
	v_cmp_lt_u64_e64 s[28:29], s[58:59], v[20:21]
	v_cndmask_b32_e64 v22, v31, v1, s[28:29]
	v_cndmask_b32_e64 v1, 0, 1, s[28:29]
	v_lshrrev_b64 v[20:21], v1, v[20:21]
; %bb.1500:                             ;   in Loop: Header=BB4_1387 Depth=4
	s_andn2_saveexec_b64 s[28:29], s[30:31]
; %bb.1501:                             ;   in Loop: Header=BB4_1387 Depth=4
	v_bfe_u32 v22, v20, 23, 1
; %bb.1502:                             ;   in Loop: Header=BB4_1387 Depth=4
	s_or_b64 exec, exec, s[28:29]
	v_lshrrev_b64 v[20:21], 20, v[20:21]
	v_cmp_gt_i32_e64 s[28:29], 16, v22
	v_cndmask_b32_e64 v21, 0, v21, s[28:29]
	v_cndmask_b32_e64 v20, 7, v20, s[28:29]
	v_min_i32_e32 v1, 15, v22
	v_cmp_eq_u32_e64 s[28:29], 0, v22
	v_cmp_eq_u64_e64 s[30:31], 0, v[20:21]
	v_lshlrev_b32_e32 v1, 3, v1
	v_and_or_b32 v1, v20, 7, v1
	s_and_b64 s[28:29], s[28:29], s[30:31]
	v_cndmask_b32_e64 v1, v1, 0, s[28:29]
	v_or_b32_e32 v36, v1, v3
.LBB4_1503:                             ;   in Loop: Header=BB4_1387 Depth=4
	s_or_b64 exec, exec, s[72:73]
.LBB4_1504:                             ;   in Loop: Header=BB4_1387 Depth=4
	s_or_b64 exec, exec, s[70:71]
                                        ; implicit-def: $vgpr22
                                        ; implicit-def: $vgpr20_vgpr21
.LBB4_1505:                             ;   in Loop: Header=BB4_1387 Depth=4
	s_andn2_saveexec_b64 s[30:31], s[68:69]
; %bb.1506:                             ;   in Loop: Header=BB4_1387 Depth=4
	v_or_b32_sdwa v1, v22, s92 dst_sel:DWORD dst_unused:UNUSED_PAD src0_sel:BYTE_3 src1_sel:DWORD
	v_cmp_eq_u64_e64 s[28:29], 0, v[20:21]
	v_cndmask_b32_e64 v36, v1, v36, s[28:29]
; %bb.1507:                             ;   in Loop: Header=BB4_1387 Depth=4
	s_or_b64 exec, exec, s[30:31]
	v_lshrrev_b16_e32 v20, 8, v58
	v_cmp_ne_u16_e64 s[28:29], 0, v20
	v_mov_b32_e32 v3, 0
	v_mov_b32_e32 v21, 0
	s_and_saveexec_b64 s[30:31], s[28:29]
	s_cbranch_execz .LBB4_1513
; %bb.1508:                             ;   in Loop: Header=BB4_1387 Depth=4
	v_cmp_ne_u16_e64 s[28:29], s91, v20
	v_bfrev_b32_e32 v21, 1
	s_and_saveexec_b64 s[68:69], s[28:29]
	s_cbranch_execz .LBB4_1512
; %bb.1509:                             ;   in Loop: Header=BB4_1387 Depth=4
	v_and_b32_e32 v1, 0x7f, v20
	v_cmp_ne_u32_e64 s[28:29], s92, v1
	v_mov_b32_e32 v21, 0x7f800001
	s_and_saveexec_b64 s[70:71], s[28:29]
	s_cbranch_execz .LBB4_1511
; %bb.1510:                             ;   in Loop: Header=BB4_1387 Depth=4
	v_and_b32_e32 v22, 7, v20
	v_ffbh_u32_e32 v21, v22
	v_min_u32_e32 v32, 32, v21
	v_subrev_u32_e32 v21, 28, v32
	v_lshlrev_b64 v[20:21], v21, v[20:21]
	v_lshrrev_b32_e32 v31, 3, v1
	v_sub_u32_e32 v21, 29, v32
	v_and_b32_e32 v20, 7, v20
	v_cmp_gt_u32_e64 s[28:29], 8, v1
	v_cndmask_b32_e64 v1, v31, v21, s[28:29]
	v_cndmask_b32_e64 v20, v22, v20, s[28:29]
	v_lshlrev_b32_e32 v21, 16, v58
	v_bfrev_b32_e32 v22, 60
	v_lshlrev_b32_e32 v20, 20, v20
	v_and_b32_e32 v21, 0x80000000, v21
	v_lshl_add_u32 v1, v1, 23, v22
	v_or3_b32 v21, v21, v1, v20
.LBB4_1511:                             ;   in Loop: Header=BB4_1387 Depth=4
	s_or_b64 exec, exec, s[70:71]
.LBB4_1512:                             ;   in Loop: Header=BB4_1387 Depth=4
	s_or_b64 exec, exec, s[68:69]
.LBB4_1513:                             ;   in Loop: Header=BB4_1387 Depth=4
	s_or_b64 exec, exec, s[30:31]
	v_mov_b32_e32 v20, v9
	v_lshrrev_b16_e32 v22, 8, v20
	v_cmp_ne_u16_e64 s[28:29], 0, v22
	s_and_saveexec_b64 s[30:31], s[28:29]
	s_cbranch_execz .LBB4_1519
; %bb.1514:                             ;   in Loop: Header=BB4_1387 Depth=4
	v_cmp_ne_u16_e64 s[28:29], s91, v22
	v_bfrev_b32_e32 v3, 1
	s_and_saveexec_b64 s[68:69], s[28:29]
	s_cbranch_execz .LBB4_1518
; %bb.1515:                             ;   in Loop: Header=BB4_1387 Depth=4
	v_and_b32_e32 v1, 0x7f, v22
	v_cmp_ne_u32_e64 s[28:29], s92, v1
	v_mov_b32_e32 v3, 0x7f800001
	s_and_saveexec_b64 s[70:71], s[28:29]
	s_cbranch_execz .LBB4_1517
; %bb.1516:                             ;   in Loop: Header=BB4_1387 Depth=4
	v_and_b32_e32 v3, 7, v22
	v_ffbh_u32_e32 v32, v3
	v_min_u32_e32 v34, 32, v32
	v_subrev_u32_e32 v32, 28, v34
	v_lshlrev_b64 v[32:33], v32, v[22:23]
	v_lshrrev_b32_e32 v31, 3, v1
	v_sub_u32_e32 v22, 29, v34
	v_and_b32_e32 v32, 7, v32
	v_cmp_gt_u32_e64 s[28:29], 8, v1
	v_cndmask_b32_e64 v1, v31, v22, s[28:29]
	v_cndmask_b32_e64 v3, v3, v32, s[28:29]
	v_lshlrev_b32_e32 v20, 16, v20
	v_bfrev_b32_e32 v22, 60
	v_lshlrev_b32_e32 v3, 20, v3
	v_and_b32_e32 v20, 0x80000000, v20
	v_lshl_add_u32 v1, v1, 23, v22
	v_or3_b32 v3, v20, v1, v3
.LBB4_1517:                             ;   in Loop: Header=BB4_1387 Depth=4
	s_or_b64 exec, exec, s[70:71]
.LBB4_1518:                             ;   in Loop: Header=BB4_1387 Depth=4
	s_or_b64 exec, exec, s[68:69]
.LBB4_1519:                             ;   in Loop: Header=BB4_1387 Depth=4
	s_or_b64 exec, exec, s[30:31]
	v_add_f32_e32 v20, v21, v3
	v_and_b32_sdwa v3, v20, s91 dst_sel:DWORD dst_unused:UNUSED_PAD src0_sel:BYTE_3 src1_sel:DWORD
	v_and_b32_e32 v32, 0x7f800000, v20
	v_mov_b32_e32 v33, v59
	v_and_b32_e32 v58, 0x7fffff, v20
	v_or_b32_e32 v22, 0x7e, v3
	v_cmp_ne_u64_e64 s[28:29], s[54:55], v[32:33]
	s_and_saveexec_b64 s[30:31], s[28:29]
	s_xor_b64 s[68:69], exec, s[30:31]
	s_cbranch_execz .LBB4_1529
; %bb.1520:                             ;   in Loop: Header=BB4_1387 Depth=4
	v_and_b32_e32 v32, 0x7fffffff, v20
	v_mov_b32_e32 v33, v59
	v_cmp_gt_u64_e64 s[28:29], s[56:57], v[32:33]
	s_and_saveexec_b64 s[70:71], s[28:29]
	s_cbranch_execz .LBB4_1528
; %bb.1521:                             ;   in Loop: Header=BB4_1387 Depth=4
	v_cmp_ne_u32_e64 s[28:29], 0, v20
	v_mov_b32_e32 v22, 0
	s_and_saveexec_b64 s[72:73], s[28:29]
	s_cbranch_execz .LBB4_1527
; %bb.1522:                             ;   in Loop: Header=BB4_1387 Depth=4
	v_bfe_u32 v1, v20, 23, 8
	v_sub_u32_e32 v21, 0x79, v1
	v_cmp_gt_u32_e64 s[28:29], s93, v1
	v_add_u32_e32 v20, 0xffffff81, v1
	v_cndmask_b32_e64 v21, 0, v21, s[28:29]
	v_cmp_eq_u32_e64 s[28:29], 0, v1
	v_mov_b32_e32 v1, 0xffffff82
	v_cndmask_b32_e64 v1, v20, v1, s[28:29]
	v_mov_b32_e32 v20, 0x78
	v_or_b32_e32 v22, 0x800000, v58
	v_cndmask_b32_e64 v31, v21, v20, s[28:29]
	v_cndmask_b32_e64 v58, v22, v58, s[28:29]
	v_add_u32_e32 v20, 20, v31
	v_lshlrev_b64 v[20:21], v20, -1
	v_add_u32_e32 v22, 19, v31
	v_lshrrev_b64 v[34:35], v31, v[58:59]
	v_not_b32_e32 v21, v21
	v_not_b32_e32 v20, v20
	v_lshlrev_b64 v[32:33], v22, 1
	v_lshrrev_b32_e32 v22, 23, v34
	v_and_b32_e32 v21, 0, v21
	v_and_b32_e32 v20, v58, v20
	v_add3_u32 v1, v31, v1, v22
	v_bfe_u32 v22, v34, 20, 1
	v_add_u32_e32 v22, -1, v22
	v_cmp_eq_u64_e64 s[28:29], v[20:21], v[32:33]
	v_cndmask_b32_e64 v20, 0, v22, s[28:29]
	v_add_u32_e32 v20, v20, v34
	v_and_b32_e32 v20, 0xfffff, v20
	v_add_co_u32_e64 v20, s[28:29], v20, v34
	v_add_u32_e32 v31, 6, v1
	v_addc_co_u32_e64 v21, s[28:29], 0, v35, s[28:29]
	v_cmp_ne_u32_e64 s[28:29], 0, v31
                                        ; implicit-def: $vgpr22
	s_and_saveexec_b64 s[30:31], s[28:29]
	s_xor_b64 s[30:31], exec, s[30:31]
; %bb.1523:                             ;   in Loop: Header=BB4_1387 Depth=4
	v_add_u32_e32 v1, 7, v1
	v_cmp_lt_u64_e64 s[28:29], s[58:59], v[20:21]
	v_cndmask_b32_e64 v22, v31, v1, s[28:29]
	v_cndmask_b32_e64 v1, 0, 1, s[28:29]
	v_lshrrev_b64 v[20:21], v1, v[20:21]
; %bb.1524:                             ;   in Loop: Header=BB4_1387 Depth=4
	s_andn2_saveexec_b64 s[28:29], s[30:31]
; %bb.1525:                             ;   in Loop: Header=BB4_1387 Depth=4
	v_bfe_u32 v22, v20, 23, 1
; %bb.1526:                             ;   in Loop: Header=BB4_1387 Depth=4
	s_or_b64 exec, exec, s[28:29]
	v_lshrrev_b64 v[20:21], 20, v[20:21]
	v_cmp_gt_i32_e64 s[28:29], 16, v22
	v_cndmask_b32_e64 v21, 0, v21, s[28:29]
	v_cndmask_b32_e64 v20, 7, v20, s[28:29]
	v_min_i32_e32 v1, 15, v22
	v_cmp_eq_u32_e64 s[28:29], 0, v22
	v_cmp_eq_u64_e64 s[30:31], 0, v[20:21]
	v_lshlrev_b32_e32 v1, 3, v1
	v_and_or_b32 v1, v20, 7, v1
	s_and_b64 s[28:29], s[28:29], s[30:31]
	v_cndmask_b32_e64 v1, v1, 0, s[28:29]
	v_or_b32_e32 v22, v1, v3
.LBB4_1527:                             ;   in Loop: Header=BB4_1387 Depth=4
	s_or_b64 exec, exec, s[72:73]
.LBB4_1528:                             ;   in Loop: Header=BB4_1387 Depth=4
	s_or_b64 exec, exec, s[70:71]
                                        ; implicit-def: $vgpr20
.LBB4_1529:                             ;   in Loop: Header=BB4_1387 Depth=4
	s_andn2_saveexec_b64 s[30:31], s[68:69]
; %bb.1530:                             ;   in Loop: Header=BB4_1387 Depth=4
	v_or_b32_sdwa v1, v20, s92 dst_sel:DWORD dst_unused:UNUSED_PAD src0_sel:BYTE_3 src1_sel:DWORD
	v_cmp_eq_u64_e64 s[28:29], 0, v[58:59]
	v_cndmask_b32_e64 v22, v1, v22, s[28:29]
; %bb.1531:                             ;   in Loop: Header=BB4_1387 Depth=4
	s_or_b64 exec, exec, s[30:31]
	v_lshrrev_b32_e32 v20, 16, v13
	v_cmp_ne_u16_sdwa s[28:29], v20, v59 src0_sel:BYTE_0 src1_sel:DWORD
	v_mov_b32_e32 v3, 0
	v_mov_b32_e32 v21, 0
	s_and_saveexec_b64 s[30:31], s[28:29]
	s_cbranch_execz .LBB4_1537
; %bb.1532:                             ;   in Loop: Header=BB4_1387 Depth=4
	v_cmp_ne_u16_sdwa s[28:29], v20, s91 src0_sel:BYTE_0 src1_sel:DWORD
	v_bfrev_b32_e32 v21, 1
	s_and_saveexec_b64 s[68:69], s[28:29]
	s_cbranch_execz .LBB4_1536
; %bb.1533:                             ;   in Loop: Header=BB4_1387 Depth=4
	v_bfe_u32 v1, v13, 16, 7
	v_cmp_ne_u32_e64 s[28:29], s92, v1
	v_mov_b32_e32 v21, 0x7f800001
	s_and_saveexec_b64 s[70:71], s[28:29]
	s_cbranch_execz .LBB4_1535
; %bb.1534:                             ;   in Loop: Header=BB4_1387 Depth=4
	v_and_b32_e32 v21, 7, v20
	v_ffbh_u32_e32 v32, v21
	v_min_u32_e32 v34, 32, v32
	v_subrev_u32_e32 v32, 28, v34
	v_lshlrev_b64 v[32:33], v32, v[20:21]
	v_lshrrev_b32_e32 v31, 3, v1
	v_sub_u32_e32 v33, 29, v34
	v_and_b32_e32 v32, 7, v32
	v_cmp_gt_u32_e64 s[28:29], 8, v1
	v_cndmask_b32_e64 v1, v31, v33, s[28:29]
	v_cndmask_b32_e64 v21, v21, v32, s[28:29]
	v_lshlrev_b32_e32 v20, 24, v20
	v_bfrev_b32_e32 v31, 60
	v_lshlrev_b32_e32 v21, 20, v21
	v_and_b32_e32 v20, 0x80000000, v20
	v_lshl_add_u32 v1, v1, 23, v31
	v_or3_b32 v21, v20, v1, v21
.LBB4_1535:                             ;   in Loop: Header=BB4_1387 Depth=4
	s_or_b64 exec, exec, s[70:71]
.LBB4_1536:                             ;   in Loop: Header=BB4_1387 Depth=4
	s_or_b64 exec, exec, s[68:69]
.LBB4_1537:                             ;   in Loop: Header=BB4_1387 Depth=4
	s_or_b64 exec, exec, s[30:31]
	v_lshrrev_b32_e32 v20, 16, v9
	v_cmp_ne_u16_sdwa s[28:29], v20, v59 src0_sel:BYTE_0 src1_sel:DWORD
	s_and_saveexec_b64 s[30:31], s[28:29]
	s_cbranch_execz .LBB4_1543
; %bb.1538:                             ;   in Loop: Header=BB4_1387 Depth=4
	v_cmp_ne_u16_sdwa s[28:29], v20, s91 src0_sel:BYTE_0 src1_sel:DWORD
	v_bfrev_b32_e32 v3, 1
	s_and_saveexec_b64 s[68:69], s[28:29]
	s_cbranch_execz .LBB4_1542
; %bb.1539:                             ;   in Loop: Header=BB4_1387 Depth=4
	v_bfe_u32 v1, v9, 16, 7
	v_cmp_ne_u32_e64 s[28:29], s92, v1
	v_mov_b32_e32 v3, 0x7f800001
	s_and_saveexec_b64 s[70:71], s[28:29]
	s_cbranch_execz .LBB4_1541
; %bb.1540:                             ;   in Loop: Header=BB4_1387 Depth=4
	v_and_b32_e32 v3, 7, v20
	v_ffbh_u32_e32 v32, v3
	v_min_u32_e32 v34, 32, v32
	v_subrev_u32_e32 v32, 28, v34
	v_lshlrev_b64 v[32:33], v32, v[20:21]
	v_lshrrev_b32_e32 v31, 3, v1
	v_sub_u32_e32 v20, 29, v34
	v_and_b32_e32 v32, 7, v32
	v_cmp_gt_u32_e64 s[28:29], 8, v1
	v_cndmask_b32_e64 v1, v31, v20, s[28:29]
	v_cndmask_b32_e64 v3, v3, v32, s[28:29]
	v_lshlrev_b32_e32 v20, 8, v9
	v_bfrev_b32_e32 v31, 60
	v_lshlrev_b32_e32 v3, 20, v3
	v_and_b32_e32 v20, 0x80000000, v20
	v_lshl_add_u32 v1, v1, 23, v31
	v_or3_b32 v3, v20, v1, v3
.LBB4_1541:                             ;   in Loop: Header=BB4_1387 Depth=4
	s_or_b64 exec, exec, s[70:71]
.LBB4_1542:                             ;   in Loop: Header=BB4_1387 Depth=4
	s_or_b64 exec, exec, s[68:69]
.LBB4_1543:                             ;   in Loop: Header=BB4_1387 Depth=4
	s_or_b64 exec, exec, s[30:31]
	v_add_f32_e32 v21, v21, v3
	v_and_b32_sdwa v3, v21, s91 dst_sel:DWORD dst_unused:UNUSED_PAD src0_sel:BYTE_3 src1_sel:DWORD
	v_and_b32_e32 v32, 0x7f800000, v21
	v_mov_b32_e32 v33, v59
	v_and_b32_e32 v58, 0x7fffff, v21
	v_or_b32_e32 v20, 0x7e, v3
	v_cmp_ne_u64_e64 s[28:29], s[54:55], v[32:33]
	s_and_saveexec_b64 s[30:31], s[28:29]
	s_xor_b64 s[68:69], exec, s[30:31]
	s_cbranch_execz .LBB4_1553
; %bb.1544:                             ;   in Loop: Header=BB4_1387 Depth=4
	v_and_b32_e32 v32, 0x7fffffff, v21
	v_mov_b32_e32 v33, v59
	v_cmp_gt_u64_e64 s[28:29], s[56:57], v[32:33]
	s_and_saveexec_b64 s[70:71], s[28:29]
	s_cbranch_execz .LBB4_1552
; %bb.1545:                             ;   in Loop: Header=BB4_1387 Depth=4
	v_cmp_ne_u32_e64 s[28:29], 0, v21
	v_mov_b32_e32 v20, 0
	s_and_saveexec_b64 s[72:73], s[28:29]
	s_cbranch_execz .LBB4_1551
; %bb.1546:                             ;   in Loop: Header=BB4_1387 Depth=4
	v_bfe_u32 v1, v21, 23, 8
	v_sub_u32_e32 v21, 0x79, v1
	v_cmp_gt_u32_e64 s[28:29], s93, v1
	v_add_u32_e32 v20, 0xffffff81, v1
	v_cndmask_b32_e64 v21, 0, v21, s[28:29]
	v_cmp_eq_u32_e64 s[28:29], 0, v1
	v_mov_b32_e32 v1, 0xffffff82
	v_cndmask_b32_e64 v1, v20, v1, s[28:29]
	v_mov_b32_e32 v20, 0x78
	v_or_b32_e32 v31, 0x800000, v58
	v_cndmask_b32_e64 v37, v21, v20, s[28:29]
	v_cndmask_b32_e64 v58, v31, v58, s[28:29]
	v_add_u32_e32 v20, 20, v37
	v_lshlrev_b64 v[20:21], v20, -1
	v_add_u32_e32 v31, 19, v37
	v_lshrrev_b64 v[34:35], v37, v[58:59]
	v_not_b32_e32 v21, v21
	v_not_b32_e32 v20, v20
	v_lshlrev_b64 v[32:33], v31, 1
	v_lshrrev_b32_e32 v31, 23, v34
	v_and_b32_e32 v21, 0, v21
	v_and_b32_e32 v20, v58, v20
	v_add3_u32 v1, v37, v1, v31
	v_bfe_u32 v31, v34, 20, 1
	v_add_u32_e32 v31, -1, v31
	v_cmp_eq_u64_e64 s[28:29], v[20:21], v[32:33]
	v_cndmask_b32_e64 v20, 0, v31, s[28:29]
	v_add_u32_e32 v20, v20, v34
	v_and_b32_e32 v20, 0xfffff, v20
	v_add_co_u32_e64 v20, s[28:29], v20, v34
	v_add_u32_e32 v37, 6, v1
	v_addc_co_u32_e64 v21, s[28:29], 0, v35, s[28:29]
	v_cmp_ne_u32_e64 s[28:29], 0, v37
                                        ; implicit-def: $vgpr31
	s_and_saveexec_b64 s[30:31], s[28:29]
	s_xor_b64 s[30:31], exec, s[30:31]
; %bb.1547:                             ;   in Loop: Header=BB4_1387 Depth=4
	v_add_u32_e32 v1, 7, v1
	v_cmp_lt_u64_e64 s[28:29], s[58:59], v[20:21]
	v_cndmask_b32_e64 v31, v37, v1, s[28:29]
	v_cndmask_b32_e64 v1, 0, 1, s[28:29]
	v_lshrrev_b64 v[20:21], v1, v[20:21]
; %bb.1548:                             ;   in Loop: Header=BB4_1387 Depth=4
	s_andn2_saveexec_b64 s[28:29], s[30:31]
; %bb.1549:                             ;   in Loop: Header=BB4_1387 Depth=4
	v_bfe_u32 v31, v20, 23, 1
; %bb.1550:                             ;   in Loop: Header=BB4_1387 Depth=4
	s_or_b64 exec, exec, s[28:29]
	v_lshrrev_b64 v[20:21], 20, v[20:21]
	v_cmp_gt_i32_e64 s[28:29], 16, v31
	v_min_i32_e32 v1, 15, v31
	v_cndmask_b32_e64 v21, 0, v21, s[28:29]
	v_cndmask_b32_e64 v20, 7, v20, s[28:29]
	v_lshlrev_b32_e32 v1, 3, v1
	v_cmp_eq_u32_e64 s[28:29], 0, v31
	v_cmp_eq_u64_e64 s[30:31], 0, v[20:21]
	v_and_b32_e32 v1, 0xf8, v1
	v_and_or_b32 v1, v20, 7, v1
	s_and_b64 s[28:29], s[28:29], s[30:31]
	v_cndmask_b32_e64 v1, v1, 0, s[28:29]
	v_or_b32_e32 v20, v1, v3
.LBB4_1551:                             ;   in Loop: Header=BB4_1387 Depth=4
	s_or_b64 exec, exec, s[72:73]
.LBB4_1552:                             ;   in Loop: Header=BB4_1387 Depth=4
	s_or_b64 exec, exec, s[70:71]
                                        ; implicit-def: $vgpr21
.LBB4_1553:                             ;   in Loop: Header=BB4_1387 Depth=4
	s_andn2_saveexec_b64 s[30:31], s[68:69]
; %bb.1554:                             ;   in Loop: Header=BB4_1387 Depth=4
	v_or_b32_sdwa v1, v21, s92 dst_sel:DWORD dst_unused:UNUSED_PAD src0_sel:BYTE_3 src1_sel:DWORD
	v_cmp_eq_u64_e64 s[28:29], 0, v[58:59]
	v_cndmask_b32_e64 v20, v1, v20, s[28:29]
; %bb.1555:                             ;   in Loop: Header=BB4_1387 Depth=4
	s_or_b64 exec, exec, s[30:31]
	v_cmp_lt_u64_e64 s[28:29], s[44:45], v[12:13]
	v_mov_b32_e32 v3, 0
	v_mov_b32_e32 v21, 0
	s_and_saveexec_b64 s[30:31], s[28:29]
	s_cbranch_execz .LBB4_1561
; %bb.1556:                             ;   in Loop: Header=BB4_1387 Depth=4
	v_lshrrev_b32_e32 v12, 24, v13
	v_cmp_ne_u32_e64 s[28:29], s91, v12
	v_bfrev_b32_e32 v21, 1
	s_and_saveexec_b64 s[68:69], s[28:29]
	s_cbranch_execz .LBB4_1560
; %bb.1557:                             ;   in Loop: Header=BB4_1387 Depth=4
	v_bfe_u32 v1, v13, 24, 7
	v_cmp_ne_u32_e64 s[28:29], s92, v1
	v_mov_b32_e32 v21, 0x7f800001
	s_and_saveexec_b64 s[70:71], s[28:29]
	s_cbranch_execz .LBB4_1559
; %bb.1558:                             ;   in Loop: Header=BB4_1387 Depth=4
	v_and_b32_e32 v13, 7, v12
	v_ffbh_u32_e32 v31, v13
	v_min_u32_e32 v31, 32, v31
	v_subrev_u32_e32 v32, 28, v31
	v_lshlrev_b64 v[32:33], v32, v[12:13]
	v_lshrrev_b32_e32 v21, 3, v1
	v_sub_u32_e32 v31, 29, v31
	v_and_b32_e32 v32, 7, v32
	v_cmp_gt_u32_e64 s[28:29], 8, v1
	v_cndmask_b32_e64 v1, v21, v31, s[28:29]
	v_cndmask_b32_e64 v13, v13, v32, s[28:29]
	v_lshlrev_b32_e32 v12, 24, v12
	v_bfrev_b32_e32 v21, 60
	v_lshlrev_b32_e32 v13, 20, v13
	v_and_b32_e32 v12, 0x80000000, v12
	v_lshl_add_u32 v1, v1, 23, v21
	v_or3_b32 v21, v12, v1, v13
.LBB4_1559:                             ;   in Loop: Header=BB4_1387 Depth=4
	s_or_b64 exec, exec, s[70:71]
.LBB4_1560:                             ;   in Loop: Header=BB4_1387 Depth=4
	s_or_b64 exec, exec, s[68:69]
.LBB4_1561:                             ;   in Loop: Header=BB4_1387 Depth=4
	s_or_b64 exec, exec, s[30:31]
	v_cmp_lt_u64_e64 s[28:29], s[44:45], v[8:9]
	s_and_saveexec_b64 s[30:31], s[28:29]
	s_cbranch_execz .LBB4_1567
; %bb.1562:                             ;   in Loop: Header=BB4_1387 Depth=4
	v_lshrrev_b32_e32 v8, 24, v9
	v_cmp_ne_u32_e64 s[28:29], s91, v8
	v_bfrev_b32_e32 v3, 1
	s_and_saveexec_b64 s[68:69], s[28:29]
	s_cbranch_execz .LBB4_1566
; %bb.1563:                             ;   in Loop: Header=BB4_1387 Depth=4
	v_bfe_u32 v1, v9, 24, 7
	v_cmp_ne_u32_e64 s[28:29], s92, v1
	v_mov_b32_e32 v3, 0x7f800001
	s_and_saveexec_b64 s[70:71], s[28:29]
	s_cbranch_execz .LBB4_1565
; %bb.1564:                             ;   in Loop: Header=BB4_1387 Depth=4
	v_and_b32_e32 v3, 7, v8
	v_ffbh_u32_e32 v12, v3
	v_min_u32_e32 v31, 32, v12
	v_lshrrev_b32_e32 v9, 3, v1
	v_subrev_u32_e32 v12, 28, v31
	v_lshlrev_b64 v[12:13], v12, v[8:9]
	v_sub_u32_e32 v13, 29, v31
	v_and_b32_e32 v12, 7, v12
	v_cmp_gt_u32_e64 s[28:29], 8, v1
	v_cndmask_b32_e64 v1, v9, v13, s[28:29]
	v_cndmask_b32_e64 v3, v3, v12, s[28:29]
	v_lshlrev_b32_e32 v8, 24, v8
	v_bfrev_b32_e32 v9, 60
	v_lshlrev_b32_e32 v3, 20, v3
	v_and_b32_e32 v8, 0x80000000, v8
	v_lshl_add_u32 v1, v1, 23, v9
	v_or3_b32 v3, v8, v1, v3
.LBB4_1565:                             ;   in Loop: Header=BB4_1387 Depth=4
	s_or_b64 exec, exec, s[70:71]
.LBB4_1566:                             ;   in Loop: Header=BB4_1387 Depth=4
	s_or_b64 exec, exec, s[68:69]
.LBB4_1567:                             ;   in Loop: Header=BB4_1387 Depth=4
	s_or_b64 exec, exec, s[30:31]
	v_add_f32_e32 v8, v21, v3
	v_and_b32_sdwa v3, v8, s91 dst_sel:DWORD dst_unused:UNUSED_PAD src0_sel:BYTE_3 src1_sel:DWORD
	v_and_b32_e32 v32, 0x7f800000, v8
	v_mov_b32_e32 v33, v59
	v_and_b32_e32 v58, 0x7fffff, v8
	v_or_b32_e32 v13, 0x7e, v3
	v_cmp_ne_u64_e64 s[28:29], s[54:55], v[32:33]
	s_and_saveexec_b64 s[30:31], s[28:29]
	s_xor_b64 s[68:69], exec, s[30:31]
	s_cbranch_execz .LBB4_1577
; %bb.1568:                             ;   in Loop: Header=BB4_1387 Depth=4
	v_and_b32_e32 v32, 0x7fffffff, v8
	v_mov_b32_e32 v33, v59
	v_cmp_gt_u64_e64 s[28:29], s[56:57], v[32:33]
	s_and_saveexec_b64 s[70:71], s[28:29]
	s_cbranch_execz .LBB4_1576
; %bb.1569:                             ;   in Loop: Header=BB4_1387 Depth=4
	v_cmp_ne_u32_e64 s[28:29], 0, v8
	v_mov_b32_e32 v13, 0
	s_and_saveexec_b64 s[72:73], s[28:29]
	s_cbranch_execz .LBB4_1575
; %bb.1570:                             ;   in Loop: Header=BB4_1387 Depth=4
	v_bfe_u32 v1, v8, 23, 8
	v_sub_u32_e32 v9, 0x79, v1
	v_cmp_gt_u32_e64 s[28:29], s93, v1
	v_add_u32_e32 v8, 0xffffff81, v1
	v_cndmask_b32_e64 v9, 0, v9, s[28:29]
	v_cmp_eq_u32_e64 s[28:29], 0, v1
	v_mov_b32_e32 v1, 0xffffff82
	v_cndmask_b32_e64 v1, v8, v1, s[28:29]
	v_mov_b32_e32 v8, 0x78
	v_or_b32_e32 v12, 0x800000, v58
	v_cndmask_b32_e64 v13, v9, v8, s[28:29]
	v_cndmask_b32_e64 v58, v12, v58, s[28:29]
	v_add_u32_e32 v8, 20, v13
	v_lshlrev_b64 v[8:9], v8, -1
	v_add_u32_e32 v12, 19, v13
	v_lshrrev_b64 v[34:35], v13, v[58:59]
	v_not_b32_e32 v9, v9
	v_not_b32_e32 v8, v8
	v_lshlrev_b64 v[32:33], v12, 1
	v_lshrrev_b32_e32 v12, 23, v34
	v_and_b32_e32 v9, 0, v9
	v_and_b32_e32 v8, v58, v8
	v_add3_u32 v1, v13, v1, v12
	v_bfe_u32 v12, v34, 20, 1
	v_add_u32_e32 v12, -1, v12
	v_cmp_eq_u64_e64 s[28:29], v[8:9], v[32:33]
	v_cndmask_b32_e64 v8, 0, v12, s[28:29]
	v_add_u32_e32 v8, v8, v34
	v_and_b32_e32 v8, 0xfffff, v8
	v_add_co_u32_e64 v8, s[28:29], v8, v34
	v_add_u32_e32 v13, 6, v1
	v_addc_co_u32_e64 v9, s[28:29], 0, v35, s[28:29]
	v_cmp_ne_u32_e64 s[28:29], 0, v13
                                        ; implicit-def: $vgpr12
	s_and_saveexec_b64 s[30:31], s[28:29]
	s_xor_b64 s[30:31], exec, s[30:31]
; %bb.1571:                             ;   in Loop: Header=BB4_1387 Depth=4
	v_add_u32_e32 v1, 7, v1
	v_cmp_lt_u64_e64 s[28:29], s[58:59], v[8:9]
	v_cndmask_b32_e64 v12, v13, v1, s[28:29]
	v_cndmask_b32_e64 v1, 0, 1, s[28:29]
	v_lshrrev_b64 v[8:9], v1, v[8:9]
; %bb.1572:                             ;   in Loop: Header=BB4_1387 Depth=4
	s_andn2_saveexec_b64 s[28:29], s[30:31]
; %bb.1573:                             ;   in Loop: Header=BB4_1387 Depth=4
	v_bfe_u32 v12, v8, 23, 1
; %bb.1574:                             ;   in Loop: Header=BB4_1387 Depth=4
	s_or_b64 exec, exec, s[28:29]
	v_lshrrev_b64 v[8:9], 20, v[8:9]
	v_cmp_gt_i32_e64 s[28:29], 16, v12
	v_min_i32_e32 v1, 15, v12
	v_cndmask_b32_e64 v9, 0, v9, s[28:29]
	v_cndmask_b32_e64 v8, 7, v8, s[28:29]
	v_lshlrev_b32_e32 v1, 3, v1
	v_cmp_eq_u32_e64 s[28:29], 0, v12
	v_cmp_eq_u64_e64 s[30:31], 0, v[8:9]
	v_and_b32_e32 v1, 0xf8, v1
	v_and_or_b32 v1, v8, 7, v1
	s_and_b64 s[28:29], s[28:29], s[30:31]
	v_cndmask_b32_e64 v1, v1, 0, s[28:29]
	v_or_b32_e32 v13, v1, v3
.LBB4_1575:                             ;   in Loop: Header=BB4_1387 Depth=4
	s_or_b64 exec, exec, s[72:73]
.LBB4_1576:                             ;   in Loop: Header=BB4_1387 Depth=4
	s_or_b64 exec, exec, s[70:71]
                                        ; implicit-def: $vgpr8
.LBB4_1577:                             ;   in Loop: Header=BB4_1387 Depth=4
	s_andn2_saveexec_b64 s[30:31], s[68:69]
; %bb.1578:                             ;   in Loop: Header=BB4_1387 Depth=4
	v_or_b32_sdwa v1, v8, s92 dst_sel:DWORD dst_unused:UNUSED_PAD src0_sel:BYTE_3 src1_sel:DWORD
	v_cmp_eq_u64_e64 s[28:29], 0, v[58:59]
	v_cndmask_b32_e64 v13, v1, v13, s[28:29]
; %bb.1579:                             ;   in Loop: Header=BB4_1387 Depth=4
	s_or_b64 exec, exec, s[30:31]
	v_cmp_ne_u16_sdwa s[28:29], v14, v59 src0_sel:BYTE_0 src1_sel:DWORD
	v_mov_b32_e32 v3, 0
	v_mov_b32_e32 v8, 0
	s_and_saveexec_b64 s[30:31], s[28:29]
	s_cbranch_execz .LBB4_1585
; %bb.1580:                             ;   in Loop: Header=BB4_1387 Depth=4
	v_cmp_ne_u16_sdwa s[28:29], v14, s91 src0_sel:BYTE_0 src1_sel:DWORD
	v_bfrev_b32_e32 v8, 1
	s_and_saveexec_b64 s[68:69], s[28:29]
	s_cbranch_execz .LBB4_1584
; %bb.1581:                             ;   in Loop: Header=BB4_1387 Depth=4
	v_and_b32_e32 v1, 0x7f, v14
	v_cmp_ne_u32_e64 s[28:29], s92, v1
	v_mov_b32_e32 v8, 0x7f800001
	s_and_saveexec_b64 s[70:71], s[28:29]
	s_cbranch_execz .LBB4_1583
; %bb.1582:                             ;   in Loop: Header=BB4_1387 Depth=4
	v_and_b32_e32 v8, 7, v14
	v_ffbh_u32_e32 v8, v8
	v_min_u32_e32 v8, 32, v8
	v_lshrrev_b32_e32 v9, 3, v1
	v_subrev_u32_e32 v12, 28, v8
	v_sub_u32_e32 v8, 29, v8
	v_cmp_gt_u32_e64 s[28:29], 8, v1
	v_cndmask_b32_e64 v1, v9, v8, s[28:29]
	v_cndmask_b32_e64 v8, 0, v12, s[28:29]
	v_lshlrev_b64 v[8:9], v8, v[14:15]
	v_lshlrev_b32_e32 v8, 20, v8
	v_lshlrev_b32_e32 v9, 24, v14
	v_bfrev_b32_e32 v12, 60
	v_and_b32_e32 v8, 0x700000, v8
	v_and_b32_e32 v9, 0x80000000, v9
	v_lshl_add_u32 v1, v1, 23, v12
	v_or3_b32 v8, v9, v1, v8
.LBB4_1583:                             ;   in Loop: Header=BB4_1387 Depth=4
	s_or_b64 exec, exec, s[70:71]
.LBB4_1584:                             ;   in Loop: Header=BB4_1387 Depth=4
	s_or_b64 exec, exec, s[68:69]
.LBB4_1585:                             ;   in Loop: Header=BB4_1387 Depth=4
	s_or_b64 exec, exec, s[30:31]
	v_cmp_ne_u16_sdwa s[28:29], v10, v59 src0_sel:BYTE_0 src1_sel:DWORD
	s_and_saveexec_b64 s[30:31], s[28:29]
	s_cbranch_execz .LBB4_1591
; %bb.1586:                             ;   in Loop: Header=BB4_1387 Depth=4
	v_cmp_ne_u16_sdwa s[28:29], v10, s91 src0_sel:BYTE_0 src1_sel:DWORD
	v_bfrev_b32_e32 v3, 1
	s_and_saveexec_b64 s[68:69], s[28:29]
	s_cbranch_execz .LBB4_1590
; %bb.1587:                             ;   in Loop: Header=BB4_1387 Depth=4
	v_and_b32_e32 v1, 0x7f, v10
	v_cmp_ne_u32_e64 s[28:29], s92, v1
	v_mov_b32_e32 v3, 0x7f800001
	s_and_saveexec_b64 s[70:71], s[28:29]
	s_cbranch_execz .LBB4_1589
; %bb.1588:                             ;   in Loop: Header=BB4_1387 Depth=4
	v_and_b32_e32 v3, 7, v10
	v_ffbh_u32_e32 v3, v3
	v_min_u32_e32 v3, 32, v3
	v_lshrrev_b32_e32 v9, 3, v1
	v_subrev_u32_e32 v12, 28, v3
	v_sub_u32_e32 v3, 29, v3
	v_cmp_gt_u32_e64 s[28:29], 8, v1
	v_cndmask_b32_e64 v1, v9, v3, s[28:29]
	v_cndmask_b32_e64 v3, 0, v12, s[28:29]
	v_lshlrev_b64 v[32:33], v3, v[10:11]
	v_lshlrev_b32_e32 v3, 20, v32
	v_lshlrev_b32_e32 v9, 24, v10
	v_bfrev_b32_e32 v12, 60
	v_and_b32_e32 v3, 0x700000, v3
	v_and_b32_e32 v9, 0x80000000, v9
	v_lshl_add_u32 v1, v1, 23, v12
	v_or3_b32 v3, v9, v1, v3
.LBB4_1589:                             ;   in Loop: Header=BB4_1387 Depth=4
	s_or_b64 exec, exec, s[70:71]
.LBB4_1590:                             ;   in Loop: Header=BB4_1387 Depth=4
	s_or_b64 exec, exec, s[68:69]
.LBB4_1591:                             ;   in Loop: Header=BB4_1387 Depth=4
	s_or_b64 exec, exec, s[30:31]
	v_add_f32_e32 v8, v8, v3
	v_and_b32_sdwa v3, v8, s91 dst_sel:DWORD dst_unused:UNUSED_PAD src0_sel:BYTE_3 src1_sel:DWORD
	v_and_b32_e32 v32, 0x7f800000, v8
	v_mov_b32_e32 v33, v59
	v_and_b32_e32 v58, 0x7fffff, v8
	v_or_b32_e32 v21, 0x7e, v3
	v_cmp_ne_u64_e64 s[28:29], s[54:55], v[32:33]
	s_and_saveexec_b64 s[30:31], s[28:29]
	s_xor_b64 s[68:69], exec, s[30:31]
	s_cbranch_execz .LBB4_1601
; %bb.1592:                             ;   in Loop: Header=BB4_1387 Depth=4
	v_and_b32_e32 v32, 0x7fffffff, v8
	v_mov_b32_e32 v33, v59
	v_cmp_gt_u64_e64 s[28:29], s[56:57], v[32:33]
	s_and_saveexec_b64 s[70:71], s[28:29]
	s_cbranch_execz .LBB4_1600
; %bb.1593:                             ;   in Loop: Header=BB4_1387 Depth=4
	v_cmp_ne_u32_e64 s[28:29], 0, v8
	v_mov_b32_e32 v21, 0
	s_and_saveexec_b64 s[72:73], s[28:29]
	s_cbranch_execz .LBB4_1599
; %bb.1594:                             ;   in Loop: Header=BB4_1387 Depth=4
	v_bfe_u32 v1, v8, 23, 8
	v_sub_u32_e32 v9, 0x79, v1
	v_cmp_gt_u32_e64 s[28:29], s93, v1
	v_add_u32_e32 v8, 0xffffff81, v1
	v_cndmask_b32_e64 v9, 0, v9, s[28:29]
	v_cmp_eq_u32_e64 s[28:29], 0, v1
	v_mov_b32_e32 v1, 0xffffff82
	v_cndmask_b32_e64 v1, v8, v1, s[28:29]
	v_mov_b32_e32 v8, 0x78
	v_or_b32_e32 v12, 0x800000, v58
	v_cndmask_b32_e64 v21, v9, v8, s[28:29]
	v_cndmask_b32_e64 v58, v12, v58, s[28:29]
	v_add_u32_e32 v8, 20, v21
	v_lshlrev_b64 v[8:9], v8, -1
	v_add_u32_e32 v12, 19, v21
	v_lshrrev_b64 v[34:35], v21, v[58:59]
	v_not_b32_e32 v9, v9
	v_not_b32_e32 v8, v8
	v_lshlrev_b64 v[32:33], v12, 1
	v_lshrrev_b32_e32 v12, 23, v34
	v_and_b32_e32 v9, 0, v9
	v_and_b32_e32 v8, v58, v8
	v_add3_u32 v1, v21, v1, v12
	v_bfe_u32 v12, v34, 20, 1
	v_add_u32_e32 v12, -1, v12
	v_cmp_eq_u64_e64 s[28:29], v[8:9], v[32:33]
	v_cndmask_b32_e64 v8, 0, v12, s[28:29]
	v_add_u32_e32 v8, v8, v34
	v_and_b32_e32 v8, 0xfffff, v8
	v_add_co_u32_e64 v8, s[28:29], v8, v34
	v_add_u32_e32 v21, 6, v1
	v_addc_co_u32_e64 v9, s[28:29], 0, v35, s[28:29]
	v_cmp_ne_u32_e64 s[28:29], 0, v21
                                        ; implicit-def: $vgpr12
	s_and_saveexec_b64 s[30:31], s[28:29]
	s_xor_b64 s[30:31], exec, s[30:31]
; %bb.1595:                             ;   in Loop: Header=BB4_1387 Depth=4
	v_add_u32_e32 v1, 7, v1
	v_cmp_lt_u64_e64 s[28:29], s[58:59], v[8:9]
	v_cndmask_b32_e64 v12, v21, v1, s[28:29]
	v_cndmask_b32_e64 v1, 0, 1, s[28:29]
	v_lshrrev_b64 v[8:9], v1, v[8:9]
; %bb.1596:                             ;   in Loop: Header=BB4_1387 Depth=4
	s_andn2_saveexec_b64 s[28:29], s[30:31]
; %bb.1597:                             ;   in Loop: Header=BB4_1387 Depth=4
	v_bfe_u32 v12, v8, 23, 1
; %bb.1598:                             ;   in Loop: Header=BB4_1387 Depth=4
	s_or_b64 exec, exec, s[28:29]
	v_lshrrev_b64 v[8:9], 20, v[8:9]
	v_cmp_gt_i32_e64 s[28:29], 16, v12
	v_cndmask_b32_e64 v9, 0, v9, s[28:29]
	v_cndmask_b32_e64 v8, 7, v8, s[28:29]
	v_min_i32_e32 v1, 15, v12
	v_cmp_eq_u32_e64 s[28:29], 0, v12
	v_cmp_eq_u64_e64 s[30:31], 0, v[8:9]
	v_lshlrev_b32_e32 v1, 3, v1
	v_and_or_b32 v1, v8, 7, v1
	s_and_b64 s[28:29], s[28:29], s[30:31]
	v_cndmask_b32_e64 v1, v1, 0, s[28:29]
	v_or_b32_e32 v21, v1, v3
.LBB4_1599:                             ;   in Loop: Header=BB4_1387 Depth=4
	s_or_b64 exec, exec, s[72:73]
.LBB4_1600:                             ;   in Loop: Header=BB4_1387 Depth=4
	s_or_b64 exec, exec, s[70:71]
                                        ; implicit-def: $vgpr8
.LBB4_1601:                             ;   in Loop: Header=BB4_1387 Depth=4
	s_andn2_saveexec_b64 s[30:31], s[68:69]
; %bb.1602:                             ;   in Loop: Header=BB4_1387 Depth=4
	v_or_b32_sdwa v1, v8, s92 dst_sel:DWORD dst_unused:UNUSED_PAD src0_sel:BYTE_3 src1_sel:DWORD
	v_cmp_eq_u64_e64 s[28:29], 0, v[58:59]
	v_cndmask_b32_e64 v21, v1, v21, s[28:29]
; %bb.1603:                             ;   in Loop: Header=BB4_1387 Depth=4
	s_or_b64 exec, exec, s[30:31]
	v_lshrrev_b16_e32 v8, 8, v14
	v_cmp_ne_u16_e64 s[28:29], 0, v8
	v_mov_b32_e32 v3, 0
	v_mov_b32_e32 v9, 0
	s_and_saveexec_b64 s[30:31], s[28:29]
	s_cbranch_execz .LBB4_1609
; %bb.1604:                             ;   in Loop: Header=BB4_1387 Depth=4
	v_cmp_ne_u16_e64 s[28:29], s91, v8
	v_bfrev_b32_e32 v9, 1
	s_and_saveexec_b64 s[68:69], s[28:29]
	s_cbranch_execz .LBB4_1608
; %bb.1605:                             ;   in Loop: Header=BB4_1387 Depth=4
	v_and_b32_e32 v1, 0x7f, v8
	v_cmp_ne_u32_e64 s[28:29], s92, v1
	v_mov_b32_e32 v9, 0x7f800001
	s_and_saveexec_b64 s[70:71], s[28:29]
	s_cbranch_execz .LBB4_1607
; %bb.1606:                             ;   in Loop: Header=BB4_1387 Depth=4
	v_and_b32_e32 v12, 7, v8
	v_ffbh_u32_e32 v9, v12
	v_min_u32_e32 v32, 32, v9
	v_subrev_u32_e32 v9, 28, v32
	v_lshlrev_b64 v[8:9], v9, v[8:9]
	v_lshrrev_b32_e32 v31, 3, v1
	v_sub_u32_e32 v9, 29, v32
	v_and_b32_e32 v8, 7, v8
	v_cmp_gt_u32_e64 s[28:29], 8, v1
	v_cndmask_b32_e64 v1, v31, v9, s[28:29]
	v_cndmask_b32_e64 v8, v12, v8, s[28:29]
	v_lshlrev_b32_e32 v9, 16, v14
	v_bfrev_b32_e32 v12, 60
	v_lshlrev_b32_e32 v8, 20, v8
	v_and_b32_e32 v9, 0x80000000, v9
	v_lshl_add_u32 v1, v1, 23, v12
	v_or3_b32 v9, v9, v1, v8
.LBB4_1607:                             ;   in Loop: Header=BB4_1387 Depth=4
	s_or_b64 exec, exec, s[70:71]
.LBB4_1608:                             ;   in Loop: Header=BB4_1387 Depth=4
	s_or_b64 exec, exec, s[68:69]
.LBB4_1609:                             ;   in Loop: Header=BB4_1387 Depth=4
	s_or_b64 exec, exec, s[30:31]
	v_lshrrev_b16_e32 v8, 8, v10
	v_cmp_ne_u16_e64 s[28:29], 0, v8
	s_and_saveexec_b64 s[30:31], s[28:29]
	s_cbranch_execz .LBB4_1615
; %bb.1610:                             ;   in Loop: Header=BB4_1387 Depth=4
	v_cmp_ne_u16_e64 s[28:29], s91, v8
	v_bfrev_b32_e32 v3, 1
	s_and_saveexec_b64 s[68:69], s[28:29]
	s_cbranch_execz .LBB4_1614
; %bb.1611:                             ;   in Loop: Header=BB4_1387 Depth=4
	v_and_b32_e32 v1, 0x7f, v8
	v_cmp_ne_u32_e64 s[28:29], s92, v1
	v_mov_b32_e32 v3, 0x7f800001
	s_and_saveexec_b64 s[70:71], s[28:29]
	s_cbranch_execz .LBB4_1613
; %bb.1612:                             ;   in Loop: Header=BB4_1387 Depth=4
	v_and_b32_e32 v3, 7, v8
	v_ffbh_u32_e32 v31, v3
	v_min_u32_e32 v31, 32, v31
	v_subrev_u32_e32 v32, 28, v31
	v_lshlrev_b64 v[32:33], v32, v[8:9]
	v_lshrrev_b32_e32 v12, 3, v1
	v_sub_u32_e32 v8, 29, v31
	v_and_b32_e32 v31, 7, v32
	v_cmp_gt_u32_e64 s[28:29], 8, v1
	v_cndmask_b32_e64 v1, v12, v8, s[28:29]
	v_cndmask_b32_e64 v3, v3, v31, s[28:29]
	v_lshlrev_b32_e32 v8, 16, v10
	v_bfrev_b32_e32 v12, 60
	v_lshlrev_b32_e32 v3, 20, v3
	v_and_b32_e32 v8, 0x80000000, v8
	v_lshl_add_u32 v1, v1, 23, v12
	v_or3_b32 v3, v8, v1, v3
.LBB4_1613:                             ;   in Loop: Header=BB4_1387 Depth=4
	s_or_b64 exec, exec, s[70:71]
.LBB4_1614:                             ;   in Loop: Header=BB4_1387 Depth=4
	s_or_b64 exec, exec, s[68:69]
.LBB4_1615:                             ;   in Loop: Header=BB4_1387 Depth=4
	s_or_b64 exec, exec, s[30:31]
	v_add_f32_e32 v8, v9, v3
	v_and_b32_sdwa v3, v8, s91 dst_sel:DWORD dst_unused:UNUSED_PAD src0_sel:BYTE_3 src1_sel:DWORD
	v_and_b32_e32 v32, 0x7f800000, v8
	v_mov_b32_e32 v33, v59
	v_and_b32_e32 v58, 0x7fffff, v8
	v_or_b32_e32 v37, 0x7e, v3
	v_cmp_ne_u64_e64 s[28:29], s[54:55], v[32:33]
	s_and_saveexec_b64 s[30:31], s[28:29]
	s_xor_b64 s[68:69], exec, s[30:31]
	s_cbranch_execz .LBB4_1625
; %bb.1616:                             ;   in Loop: Header=BB4_1387 Depth=4
	v_and_b32_e32 v32, 0x7fffffff, v8
	v_mov_b32_e32 v33, v59
	v_cmp_gt_u64_e64 s[28:29], s[56:57], v[32:33]
	s_and_saveexec_b64 s[70:71], s[28:29]
	s_cbranch_execz .LBB4_1624
; %bb.1617:                             ;   in Loop: Header=BB4_1387 Depth=4
	v_cmp_ne_u32_e64 s[28:29], 0, v8
	v_mov_b32_e32 v37, 0
	s_and_saveexec_b64 s[72:73], s[28:29]
	s_cbranch_execz .LBB4_1623
; %bb.1618:                             ;   in Loop: Header=BB4_1387 Depth=4
	v_bfe_u32 v1, v8, 23, 8
	v_sub_u32_e32 v9, 0x79, v1
	v_cmp_gt_u32_e64 s[28:29], s93, v1
	v_add_u32_e32 v8, 0xffffff81, v1
	v_cndmask_b32_e64 v9, 0, v9, s[28:29]
	v_cmp_eq_u32_e64 s[28:29], 0, v1
	v_mov_b32_e32 v1, 0xffffff82
	v_cndmask_b32_e64 v1, v8, v1, s[28:29]
	v_mov_b32_e32 v8, 0x78
	v_or_b32_e32 v12, 0x800000, v58
	v_cndmask_b32_e64 v31, v9, v8, s[28:29]
	v_cndmask_b32_e64 v58, v12, v58, s[28:29]
	v_add_u32_e32 v8, 20, v31
	v_lshlrev_b64 v[8:9], v8, -1
	v_add_u32_e32 v12, 19, v31
	v_lshrrev_b64 v[34:35], v31, v[58:59]
	v_not_b32_e32 v9, v9
	v_not_b32_e32 v8, v8
	v_lshlrev_b64 v[32:33], v12, 1
	v_lshrrev_b32_e32 v12, 23, v34
	v_and_b32_e32 v9, 0, v9
	v_and_b32_e32 v8, v58, v8
	v_add3_u32 v1, v31, v1, v12
	v_bfe_u32 v12, v34, 20, 1
	v_add_u32_e32 v12, -1, v12
	v_cmp_eq_u64_e64 s[28:29], v[8:9], v[32:33]
	v_cndmask_b32_e64 v8, 0, v12, s[28:29]
	v_add_u32_e32 v8, v8, v34
	v_and_b32_e32 v8, 0xfffff, v8
	v_add_co_u32_e64 v8, s[28:29], v8, v34
	v_add_u32_e32 v31, 6, v1
	v_addc_co_u32_e64 v9, s[28:29], 0, v35, s[28:29]
	v_cmp_ne_u32_e64 s[28:29], 0, v31
                                        ; implicit-def: $vgpr12
	s_and_saveexec_b64 s[30:31], s[28:29]
	s_xor_b64 s[30:31], exec, s[30:31]
; %bb.1619:                             ;   in Loop: Header=BB4_1387 Depth=4
	v_add_u32_e32 v1, 7, v1
	v_cmp_lt_u64_e64 s[28:29], s[58:59], v[8:9]
	v_cndmask_b32_e64 v12, v31, v1, s[28:29]
	v_cndmask_b32_e64 v1, 0, 1, s[28:29]
	v_lshrrev_b64 v[8:9], v1, v[8:9]
; %bb.1620:                             ;   in Loop: Header=BB4_1387 Depth=4
	s_andn2_saveexec_b64 s[28:29], s[30:31]
; %bb.1621:                             ;   in Loop: Header=BB4_1387 Depth=4
	v_bfe_u32 v12, v8, 23, 1
; %bb.1622:                             ;   in Loop: Header=BB4_1387 Depth=4
	s_or_b64 exec, exec, s[28:29]
	v_lshrrev_b64 v[8:9], 20, v[8:9]
	v_cmp_gt_i32_e64 s[28:29], 16, v12
	v_cndmask_b32_e64 v9, 0, v9, s[28:29]
	v_cndmask_b32_e64 v8, 7, v8, s[28:29]
	v_min_i32_e32 v1, 15, v12
	v_cmp_eq_u32_e64 s[28:29], 0, v12
	v_cmp_eq_u64_e64 s[30:31], 0, v[8:9]
	v_lshlrev_b32_e32 v1, 3, v1
	v_and_or_b32 v1, v8, 7, v1
	s_and_b64 s[28:29], s[28:29], s[30:31]
	v_cndmask_b32_e64 v1, v1, 0, s[28:29]
	v_or_b32_e32 v37, v1, v3
.LBB4_1623:                             ;   in Loop: Header=BB4_1387 Depth=4
	s_or_b64 exec, exec, s[72:73]
.LBB4_1624:                             ;   in Loop: Header=BB4_1387 Depth=4
	s_or_b64 exec, exec, s[70:71]
                                        ; implicit-def: $vgpr8
.LBB4_1625:                             ;   in Loop: Header=BB4_1387 Depth=4
	s_andn2_saveexec_b64 s[30:31], s[68:69]
; %bb.1626:                             ;   in Loop: Header=BB4_1387 Depth=4
	v_or_b32_sdwa v1, v8, s92 dst_sel:DWORD dst_unused:UNUSED_PAD src0_sel:BYTE_3 src1_sel:DWORD
	v_cmp_eq_u64_e64 s[28:29], 0, v[58:59]
	v_cndmask_b32_e64 v37, v1, v37, s[28:29]
; %bb.1627:                             ;   in Loop: Header=BB4_1387 Depth=4
	s_or_b64 exec, exec, s[30:31]
	v_lshrrev_b32_e32 v8, 16, v14
	v_cmp_ne_u16_sdwa s[28:29], v8, v59 src0_sel:BYTE_0 src1_sel:DWORD
	v_mov_b32_e32 v3, 0
	v_mov_b32_e32 v9, 0
	s_and_saveexec_b64 s[30:31], s[28:29]
	s_cbranch_execz .LBB4_1633
; %bb.1628:                             ;   in Loop: Header=BB4_1387 Depth=4
	v_cmp_ne_u16_sdwa s[28:29], v8, s91 src0_sel:BYTE_0 src1_sel:DWORD
	v_bfrev_b32_e32 v9, 1
	s_and_saveexec_b64 s[68:69], s[28:29]
	s_cbranch_execz .LBB4_1632
; %bb.1629:                             ;   in Loop: Header=BB4_1387 Depth=4
	v_bfe_u32 v1, v14, 16, 7
	v_cmp_ne_u32_e64 s[28:29], s92, v1
	v_mov_b32_e32 v9, 0x7f800001
	s_and_saveexec_b64 s[70:71], s[28:29]
	s_cbranch_execz .LBB4_1631
; %bb.1630:                             ;   in Loop: Header=BB4_1387 Depth=4
	v_and_b32_e32 v9, 7, v8
	v_ffbh_u32_e32 v31, v9
	v_min_u32_e32 v31, 32, v31
	v_subrev_u32_e32 v32, 28, v31
	v_lshlrev_b64 v[32:33], v32, v[8:9]
	v_lshrrev_b32_e32 v12, 3, v1
	v_sub_u32_e32 v31, 29, v31
	v_and_b32_e32 v32, 7, v32
	v_cmp_gt_u32_e64 s[28:29], 8, v1
	v_cndmask_b32_e64 v1, v12, v31, s[28:29]
	v_cndmask_b32_e64 v9, v9, v32, s[28:29]
	v_lshlrev_b32_e32 v8, 24, v8
	v_bfrev_b32_e32 v12, 60
	v_lshlrev_b32_e32 v9, 20, v9
	v_and_b32_e32 v8, 0x80000000, v8
	v_lshl_add_u32 v1, v1, 23, v12
	v_or3_b32 v9, v8, v1, v9
.LBB4_1631:                             ;   in Loop: Header=BB4_1387 Depth=4
	s_or_b64 exec, exec, s[70:71]
.LBB4_1632:                             ;   in Loop: Header=BB4_1387 Depth=4
	s_or_b64 exec, exec, s[68:69]
.LBB4_1633:                             ;   in Loop: Header=BB4_1387 Depth=4
	s_or_b64 exec, exec, s[30:31]
	v_lshrrev_b32_e32 v8, 16, v10
	v_cmp_ne_u16_sdwa s[28:29], v8, v59 src0_sel:BYTE_0 src1_sel:DWORD
	s_and_saveexec_b64 s[30:31], s[28:29]
	s_cbranch_execz .LBB4_1639
; %bb.1634:                             ;   in Loop: Header=BB4_1387 Depth=4
	v_cmp_ne_u16_sdwa s[28:29], v8, s91 src0_sel:BYTE_0 src1_sel:DWORD
	v_bfrev_b32_e32 v3, 1
	s_and_saveexec_b64 s[68:69], s[28:29]
	s_cbranch_execz .LBB4_1638
; %bb.1635:                             ;   in Loop: Header=BB4_1387 Depth=4
	v_bfe_u32 v1, v10, 16, 7
	v_cmp_ne_u32_e64 s[28:29], s92, v1
	v_mov_b32_e32 v3, 0x7f800001
	s_and_saveexec_b64 s[70:71], s[28:29]
	s_cbranch_execz .LBB4_1637
; %bb.1636:                             ;   in Loop: Header=BB4_1387 Depth=4
	v_and_b32_e32 v3, 7, v8
	v_ffbh_u32_e32 v31, v3
	v_min_u32_e32 v31, 32, v31
	v_subrev_u32_e32 v32, 28, v31
	v_lshlrev_b64 v[32:33], v32, v[8:9]
	v_lshrrev_b32_e32 v12, 3, v1
	v_sub_u32_e32 v8, 29, v31
	v_and_b32_e32 v31, 7, v32
	v_cmp_gt_u32_e64 s[28:29], 8, v1
	v_cndmask_b32_e64 v1, v12, v8, s[28:29]
	v_cndmask_b32_e64 v3, v3, v31, s[28:29]
	v_lshlrev_b32_e32 v8, 8, v10
	v_bfrev_b32_e32 v12, 60
	v_lshlrev_b32_e32 v3, 20, v3
	v_and_b32_e32 v8, 0x80000000, v8
	v_lshl_add_u32 v1, v1, 23, v12
	v_or3_b32 v3, v8, v1, v3
.LBB4_1637:                             ;   in Loop: Header=BB4_1387 Depth=4
	s_or_b64 exec, exec, s[70:71]
.LBB4_1638:                             ;   in Loop: Header=BB4_1387 Depth=4
	s_or_b64 exec, exec, s[68:69]
.LBB4_1639:                             ;   in Loop: Header=BB4_1387 Depth=4
	s_or_b64 exec, exec, s[30:31]
	v_add_f32_e32 v8, v9, v3
	v_and_b32_sdwa v12, v8, s91 dst_sel:DWORD dst_unused:UNUSED_PAD src0_sel:BYTE_3 src1_sel:DWORD
	v_and_b32_e32 v32, 0x7f800000, v8
	v_mov_b32_e32 v33, v59
	v_and_b32_e32 v58, 0x7fffff, v8
	v_or_b32_e32 v3, 0x7e, v12
	v_cmp_ne_u64_e64 s[28:29], s[54:55], v[32:33]
	s_and_saveexec_b64 s[30:31], s[28:29]
	s_xor_b64 s[68:69], exec, s[30:31]
	s_cbranch_execz .LBB4_1649
; %bb.1640:                             ;   in Loop: Header=BB4_1387 Depth=4
	v_and_b32_e32 v32, 0x7fffffff, v8
	v_mov_b32_e32 v33, v59
	v_cmp_gt_u64_e64 s[28:29], s[56:57], v[32:33]
	s_and_saveexec_b64 s[70:71], s[28:29]
	s_cbranch_execz .LBB4_1648
; %bb.1641:                             ;   in Loop: Header=BB4_1387 Depth=4
	v_cmp_ne_u32_e64 s[28:29], 0, v8
	v_mov_b32_e32 v3, 0
	s_and_saveexec_b64 s[72:73], s[28:29]
	s_cbranch_execz .LBB4_1647
; %bb.1642:                             ;   in Loop: Header=BB4_1387 Depth=4
	v_bfe_u32 v1, v8, 23, 8
	v_sub_u32_e32 v8, 0x79, v1
	v_cmp_gt_u32_e64 s[28:29], s93, v1
	v_add_u32_e32 v3, 0xffffff81, v1
	v_cndmask_b32_e64 v8, 0, v8, s[28:29]
	v_cmp_eq_u32_e64 s[28:29], 0, v1
	v_mov_b32_e32 v1, 0xffffff82
	v_cndmask_b32_e64 v1, v3, v1, s[28:29]
	v_mov_b32_e32 v3, 0x78
	v_or_b32_e32 v9, 0x800000, v58
	v_cndmask_b32_e64 v3, v8, v3, s[28:29]
	v_cndmask_b32_e64 v58, v9, v58, s[28:29]
	v_add_u32_e32 v8, 20, v3
	v_lshlrev_b64 v[8:9], v8, -1
	v_add_u32_e32 v31, 19, v3
	v_lshrrev_b64 v[34:35], v3, v[58:59]
	v_not_b32_e32 v9, v9
	v_not_b32_e32 v8, v8
	v_lshlrev_b64 v[32:33], v31, 1
	v_lshrrev_b32_e32 v31, 23, v34
	v_and_b32_e32 v9, 0, v9
	v_and_b32_e32 v8, v58, v8
	v_add3_u32 v1, v3, v1, v31
	v_bfe_u32 v3, v34, 20, 1
	v_add_u32_e32 v3, -1, v3
	v_cmp_eq_u64_e64 s[28:29], v[8:9], v[32:33]
	v_cndmask_b32_e64 v3, 0, v3, s[28:29]
	v_add_u32_e32 v3, v3, v34
	v_and_b32_e32 v3, 0xfffff, v3
	v_add_co_u32_e64 v8, s[28:29], v3, v34
	v_add_u32_e32 v31, 6, v1
	v_addc_co_u32_e64 v9, s[28:29], 0, v35, s[28:29]
	v_cmp_ne_u32_e64 s[28:29], 0, v31
                                        ; implicit-def: $vgpr3
	s_and_saveexec_b64 s[30:31], s[28:29]
	s_xor_b64 s[30:31], exec, s[30:31]
; %bb.1643:                             ;   in Loop: Header=BB4_1387 Depth=4
	v_add_u32_e32 v1, 7, v1
	v_cmp_lt_u64_e64 s[28:29], s[58:59], v[8:9]
	v_cndmask_b32_e64 v3, v31, v1, s[28:29]
	v_cndmask_b32_e64 v1, 0, 1, s[28:29]
	v_lshrrev_b64 v[8:9], v1, v[8:9]
; %bb.1644:                             ;   in Loop: Header=BB4_1387 Depth=4
	s_andn2_saveexec_b64 s[28:29], s[30:31]
; %bb.1645:                             ;   in Loop: Header=BB4_1387 Depth=4
	v_bfe_u32 v3, v8, 23, 1
; %bb.1646:                             ;   in Loop: Header=BB4_1387 Depth=4
	s_or_b64 exec, exec, s[28:29]
	v_lshrrev_b64 v[8:9], 20, v[8:9]
	v_cmp_gt_i32_e64 s[28:29], 16, v3
	v_cndmask_b32_e64 v9, 0, v9, s[28:29]
	v_cndmask_b32_e64 v8, 7, v8, s[28:29]
	v_min_i32_e32 v1, 15, v3
	v_cmp_eq_u32_e64 s[28:29], 0, v3
	v_cmp_eq_u64_e64 s[30:31], 0, v[8:9]
	v_lshlrev_b32_e32 v1, 3, v1
	v_and_or_b32 v1, v8, 7, v1
	s_and_b64 s[28:29], s[28:29], s[30:31]
	v_cndmask_b32_e64 v1, v1, 0, s[28:29]
	v_or_b32_e32 v3, v1, v12
.LBB4_1647:                             ;   in Loop: Header=BB4_1387 Depth=4
	s_or_b64 exec, exec, s[72:73]
.LBB4_1648:                             ;   in Loop: Header=BB4_1387 Depth=4
	s_or_b64 exec, exec, s[70:71]
                                        ; implicit-def: $vgpr8
.LBB4_1649:                             ;   in Loop: Header=BB4_1387 Depth=4
	s_andn2_saveexec_b64 s[30:31], s[68:69]
; %bb.1650:                             ;   in Loop: Header=BB4_1387 Depth=4
	v_or_b32_sdwa v1, v8, s92 dst_sel:DWORD dst_unused:UNUSED_PAD src0_sel:BYTE_3 src1_sel:DWORD
	v_cmp_eq_u64_e64 s[28:29], 0, v[58:59]
	v_cndmask_b32_e64 v3, v1, v3, s[28:29]
; %bb.1651:                             ;   in Loop: Header=BB4_1387 Depth=4
	s_or_b64 exec, exec, s[30:31]
	v_cmp_lt_u32_e64 s[28:29], s45, v14
	v_mov_b32_e32 v9, 0
	v_mov_b32_e32 v12, 0
	s_and_saveexec_b64 s[30:31], s[28:29]
	s_cbranch_execz .LBB4_1657
; %bb.1652:                             ;   in Loop: Header=BB4_1387 Depth=4
	v_lshrrev_b32_e32 v8, 24, v14
	v_cmp_ne_u32_e64 s[28:29], s91, v8
	v_bfrev_b32_e32 v12, 1
	s_and_saveexec_b64 s[68:69], s[28:29]
	s_cbranch_execz .LBB4_1656
; %bb.1653:                             ;   in Loop: Header=BB4_1387 Depth=4
	v_bfe_u32 v1, v14, 24, 7
	v_cmp_ne_u32_e64 s[28:29], s92, v1
	v_mov_b32_e32 v12, 0x7f800001
	s_and_saveexec_b64 s[70:71], s[28:29]
	s_cbranch_execz .LBB4_1655
; %bb.1654:                             ;   in Loop: Header=BB4_1387 Depth=4
	v_and_b32_e32 v12, 7, v8
	v_ffbh_u32_e32 v32, v12
	v_min_u32_e32 v34, 32, v32
	v_subrev_u32_e32 v32, 28, v34
	v_lshlrev_b64 v[32:33], v32, v[8:9]
	v_lshrrev_b32_e32 v31, 3, v1
	v_sub_u32_e32 v33, 29, v34
	v_and_b32_e32 v32, 7, v32
	v_cmp_gt_u32_e64 s[28:29], 8, v1
	v_cndmask_b32_e64 v1, v31, v33, s[28:29]
	v_cndmask_b32_e64 v12, v12, v32, s[28:29]
	v_lshlrev_b32_e32 v8, 24, v8
	v_bfrev_b32_e32 v31, 60
	v_lshlrev_b32_e32 v12, 20, v12
	v_and_b32_e32 v8, 0x80000000, v8
	v_lshl_add_u32 v1, v1, 23, v31
	v_or3_b32 v12, v8, v1, v12
.LBB4_1655:                             ;   in Loop: Header=BB4_1387 Depth=4
	s_or_b64 exec, exec, s[70:71]
.LBB4_1656:                             ;   in Loop: Header=BB4_1387 Depth=4
	s_or_b64 exec, exec, s[68:69]
.LBB4_1657:                             ;   in Loop: Header=BB4_1387 Depth=4
	s_or_b64 exec, exec, s[30:31]
	v_cmp_lt_u32_e64 s[28:29], s45, v10
	s_and_saveexec_b64 s[30:31], s[28:29]
	s_cbranch_execz .LBB4_1663
; %bb.1658:                             ;   in Loop: Header=BB4_1387 Depth=4
	v_lshrrev_b32_e32 v8, 24, v10
	v_cmp_ne_u32_e64 s[28:29], s91, v8
	v_bfrev_b32_e32 v9, 1
	s_and_saveexec_b64 s[68:69], s[28:29]
	s_cbranch_execz .LBB4_1662
; %bb.1659:                             ;   in Loop: Header=BB4_1387 Depth=4
	v_bfe_u32 v1, v10, 24, 7
	v_cmp_ne_u32_e64 s[28:29], s92, v1
	v_mov_b32_e32 v9, 0x7f800001
	s_and_saveexec_b64 s[70:71], s[28:29]
	s_cbranch_execz .LBB4_1661
; %bb.1660:                             ;   in Loop: Header=BB4_1387 Depth=4
	v_and_b32_e32 v9, 7, v8
	v_ffbh_u32_e32 v32, v9
	v_min_u32_e32 v34, 32, v32
	v_subrev_u32_e32 v32, 28, v34
	v_lshlrev_b64 v[32:33], v32, v[8:9]
	v_lshrrev_b32_e32 v31, 3, v1
	v_sub_u32_e32 v33, 29, v34
	v_and_b32_e32 v32, 7, v32
	v_cmp_gt_u32_e64 s[28:29], 8, v1
	v_cndmask_b32_e64 v1, v31, v33, s[28:29]
	v_cndmask_b32_e64 v9, v9, v32, s[28:29]
	v_lshlrev_b32_e32 v8, 24, v8
	v_bfrev_b32_e32 v31, 60
	v_lshlrev_b32_e32 v9, 20, v9
	v_and_b32_e32 v8, 0x80000000, v8
	v_lshl_add_u32 v1, v1, 23, v31
	v_or3_b32 v9, v8, v1, v9
.LBB4_1661:                             ;   in Loop: Header=BB4_1387 Depth=4
	s_or_b64 exec, exec, s[70:71]
.LBB4_1662:                             ;   in Loop: Header=BB4_1387 Depth=4
	s_or_b64 exec, exec, s[68:69]
.LBB4_1663:                             ;   in Loop: Header=BB4_1387 Depth=4
	s_or_b64 exec, exec, s[30:31]
	v_add_f32_e32 v8, v12, v9
	v_and_b32_sdwa v12, v8, s91 dst_sel:DWORD dst_unused:UNUSED_PAD src0_sel:BYTE_3 src1_sel:DWORD
	v_and_b32_e32 v32, 0x7f800000, v8
	v_mov_b32_e32 v33, v59
	v_and_b32_e32 v58, 0x7fffff, v8
	v_or_b32_e32 v38, 0x7e, v12
	v_cmp_ne_u64_e64 s[28:29], s[54:55], v[32:33]
	s_and_saveexec_b64 s[30:31], s[28:29]
	s_xor_b64 s[68:69], exec, s[30:31]
	s_cbranch_execz .LBB4_1673
; %bb.1664:                             ;   in Loop: Header=BB4_1387 Depth=4
	v_and_b32_e32 v32, 0x7fffffff, v8
	v_mov_b32_e32 v33, v59
	v_cmp_gt_u64_e64 s[28:29], s[56:57], v[32:33]
	s_and_saveexec_b64 s[70:71], s[28:29]
	s_cbranch_execz .LBB4_1672
; %bb.1665:                             ;   in Loop: Header=BB4_1387 Depth=4
	v_cmp_ne_u32_e64 s[28:29], 0, v8
	v_mov_b32_e32 v38, 0
	s_and_saveexec_b64 s[72:73], s[28:29]
	s_cbranch_execz .LBB4_1671
; %bb.1666:                             ;   in Loop: Header=BB4_1387 Depth=4
	v_bfe_u32 v1, v8, 23, 8
	v_sub_u32_e32 v9, 0x79, v1
	v_cmp_gt_u32_e64 s[28:29], s93, v1
	v_add_u32_e32 v8, 0xffffff81, v1
	v_cndmask_b32_e64 v9, 0, v9, s[28:29]
	v_cmp_eq_u32_e64 s[28:29], 0, v1
	v_mov_b32_e32 v1, 0xffffff82
	v_cndmask_b32_e64 v1, v8, v1, s[28:29]
	v_mov_b32_e32 v8, 0x78
	v_or_b32_e32 v31, 0x800000, v58
	v_cndmask_b32_e64 v38, v9, v8, s[28:29]
	v_cndmask_b32_e64 v58, v31, v58, s[28:29]
	v_add_u32_e32 v8, 20, v38
	v_lshlrev_b64 v[8:9], v8, -1
	v_add_u32_e32 v31, 19, v38
	v_lshrrev_b64 v[34:35], v38, v[58:59]
	v_not_b32_e32 v9, v9
	v_not_b32_e32 v8, v8
	v_lshlrev_b64 v[32:33], v31, 1
	v_lshrrev_b32_e32 v31, 23, v34
	v_and_b32_e32 v9, 0, v9
	v_and_b32_e32 v8, v58, v8
	v_add3_u32 v1, v38, v1, v31
	v_bfe_u32 v31, v34, 20, 1
	v_add_u32_e32 v31, -1, v31
	v_cmp_eq_u64_e64 s[28:29], v[8:9], v[32:33]
	v_cndmask_b32_e64 v8, 0, v31, s[28:29]
	v_add_u32_e32 v8, v8, v34
	v_and_b32_e32 v8, 0xfffff, v8
	v_add_co_u32_e64 v8, s[28:29], v8, v34
	v_add_u32_e32 v38, 6, v1
	v_addc_co_u32_e64 v9, s[28:29], 0, v35, s[28:29]
	v_cmp_ne_u32_e64 s[28:29], 0, v38
                                        ; implicit-def: $vgpr31
	s_and_saveexec_b64 s[30:31], s[28:29]
	s_xor_b64 s[30:31], exec, s[30:31]
; %bb.1667:                             ;   in Loop: Header=BB4_1387 Depth=4
	v_add_u32_e32 v1, 7, v1
	v_cmp_lt_u64_e64 s[28:29], s[58:59], v[8:9]
	v_cndmask_b32_e64 v31, v38, v1, s[28:29]
	v_cndmask_b32_e64 v1, 0, 1, s[28:29]
	v_lshrrev_b64 v[8:9], v1, v[8:9]
; %bb.1668:                             ;   in Loop: Header=BB4_1387 Depth=4
	s_andn2_saveexec_b64 s[28:29], s[30:31]
; %bb.1669:                             ;   in Loop: Header=BB4_1387 Depth=4
	v_bfe_u32 v31, v8, 23, 1
; %bb.1670:                             ;   in Loop: Header=BB4_1387 Depth=4
	s_or_b64 exec, exec, s[28:29]
	v_lshrrev_b64 v[8:9], 20, v[8:9]
	v_cmp_gt_i32_e64 s[28:29], 16, v31
	v_cndmask_b32_e64 v9, 0, v9, s[28:29]
	v_cndmask_b32_e64 v8, 7, v8, s[28:29]
	v_min_i32_e32 v1, 15, v31
	v_cmp_eq_u32_e64 s[28:29], 0, v31
	v_cmp_eq_u64_e64 s[30:31], 0, v[8:9]
	v_lshlrev_b32_e32 v1, 3, v1
	v_and_or_b32 v1, v8, 7, v1
	s_and_b64 s[28:29], s[28:29], s[30:31]
	v_cndmask_b32_e64 v1, v1, 0, s[28:29]
	v_or_b32_e32 v38, v1, v12
.LBB4_1671:                             ;   in Loop: Header=BB4_1387 Depth=4
	s_or_b64 exec, exec, s[72:73]
.LBB4_1672:                             ;   in Loop: Header=BB4_1387 Depth=4
	s_or_b64 exec, exec, s[70:71]
                                        ; implicit-def: $vgpr8
.LBB4_1673:                             ;   in Loop: Header=BB4_1387 Depth=4
	s_andn2_saveexec_b64 s[30:31], s[68:69]
; %bb.1674:                             ;   in Loop: Header=BB4_1387 Depth=4
	v_or_b32_sdwa v1, v8, s92 dst_sel:DWORD dst_unused:UNUSED_PAD src0_sel:BYTE_3 src1_sel:DWORD
	v_cmp_eq_u64_e64 s[28:29], 0, v[58:59]
	v_cndmask_b32_e64 v38, v1, v38, s[28:29]
; %bb.1675:                             ;   in Loop: Header=BB4_1387 Depth=4
	s_or_b64 exec, exec, s[30:31]
	v_mov_b32_e32 v58, v15
	v_cmp_ne_u16_sdwa s[28:29], v15, v59 src0_sel:BYTE_0 src1_sel:DWORD
	v_mov_b32_e32 v9, 0
	v_mov_b32_e32 v8, 0
	s_and_saveexec_b64 s[30:31], s[28:29]
	s_cbranch_execz .LBB4_1681
; %bb.1676:                             ;   in Loop: Header=BB4_1387 Depth=4
	v_cmp_ne_u16_sdwa s[28:29], v15, s91 src0_sel:BYTE_0 src1_sel:DWORD
	v_bfrev_b32_e32 v8, 1
	s_and_saveexec_b64 s[68:69], s[28:29]
	s_cbranch_execz .LBB4_1680
; %bb.1677:                             ;   in Loop: Header=BB4_1387 Depth=4
	v_and_b32_e32 v1, 0x7f, v15
	v_cmp_ne_u32_e64 s[28:29], s92, v1
	v_mov_b32_e32 v8, 0x7f800001
	s_and_saveexec_b64 s[70:71], s[28:29]
	s_cbranch_execz .LBB4_1679
; %bb.1678:                             ;   in Loop: Header=BB4_1387 Depth=4
	v_and_b32_e32 v8, 7, v15
	v_ffbh_u32_e32 v8, v8
	v_min_u32_e32 v8, 32, v8
	v_lshrrev_b32_e32 v12, 3, v1
	v_subrev_u32_e32 v31, 28, v8
	v_sub_u32_e32 v8, 29, v8
	v_cmp_gt_u32_e64 s[28:29], 8, v1
	v_cndmask_b32_e64 v1, v12, v8, s[28:29]
	v_cndmask_b32_e64 v8, 0, v31, s[28:29]
	v_lshlrev_b64 v[32:33], v8, v[58:59]
	v_lshlrev_b32_e32 v8, 20, v32
	v_lshlrev_b32_e32 v12, 24, v58
	v_bfrev_b32_e32 v31, 60
	v_and_b32_e32 v8, 0x700000, v8
	v_and_b32_e32 v12, 0x80000000, v12
	v_lshl_add_u32 v1, v1, 23, v31
	v_or3_b32 v8, v12, v1, v8
.LBB4_1679:                             ;   in Loop: Header=BB4_1387 Depth=4
	s_or_b64 exec, exec, s[70:71]
.LBB4_1680:                             ;   in Loop: Header=BB4_1387 Depth=4
	s_or_b64 exec, exec, s[68:69]
.LBB4_1681:                             ;   in Loop: Header=BB4_1387 Depth=4
	s_or_b64 exec, exec, s[30:31]
	v_cmp_ne_u16_sdwa s[28:29], v11, v59 src0_sel:BYTE_0 src1_sel:DWORD
	s_and_saveexec_b64 s[30:31], s[28:29]
	s_cbranch_execz .LBB4_1687
; %bb.1682:                             ;   in Loop: Header=BB4_1387 Depth=4
	v_cmp_ne_u16_sdwa s[28:29], v11, s91 src0_sel:BYTE_0 src1_sel:DWORD
	v_bfrev_b32_e32 v9, 1
	s_and_saveexec_b64 s[68:69], s[28:29]
	s_cbranch_execz .LBB4_1686
; %bb.1683:                             ;   in Loop: Header=BB4_1387 Depth=4
	v_and_b32_e32 v1, 0x7f, v11
	v_cmp_ne_u32_e64 s[28:29], s92, v1
	v_mov_b32_e32 v9, 0x7f800001
	s_and_saveexec_b64 s[70:71], s[28:29]
	s_cbranch_execz .LBB4_1685
; %bb.1684:                             ;   in Loop: Header=BB4_1387 Depth=4
	v_and_b32_e32 v9, 7, v11
	v_ffbh_u32_e32 v9, v9
	v_min_u32_e32 v9, 32, v9
	v_lshrrev_b32_e32 v12, 3, v1
	v_subrev_u32_e32 v31, 28, v9
	v_sub_u32_e32 v9, 29, v9
	v_cmp_gt_u32_e64 s[28:29], 8, v1
	v_mov_b32_e32 v32, v11
	v_mov_b32_e32 v33, v59
	v_cndmask_b32_e64 v1, v12, v9, s[28:29]
	v_cndmask_b32_e64 v9, 0, v31, s[28:29]
	v_lshlrev_b64 v[34:35], v9, v[32:33]
	v_lshlrev_b32_e32 v9, 20, v34
	v_lshlrev_b32_e32 v12, 24, v32
	v_bfrev_b32_e32 v31, 60
	v_and_b32_e32 v9, 0x700000, v9
	v_and_b32_e32 v12, 0x80000000, v12
	v_lshl_add_u32 v1, v1, 23, v31
	v_or3_b32 v9, v12, v1, v9
.LBB4_1685:                             ;   in Loop: Header=BB4_1387 Depth=4
	s_or_b64 exec, exec, s[70:71]
.LBB4_1686:                             ;   in Loop: Header=BB4_1387 Depth=4
	s_or_b64 exec, exec, s[68:69]
.LBB4_1687:                             ;   in Loop: Header=BB4_1387 Depth=4
	s_or_b64 exec, exec, s[30:31]
	v_add_f32_e32 v39, v8, v9
	v_and_b32_sdwa v12, v39, s91 dst_sel:DWORD dst_unused:UNUSED_PAD src0_sel:BYTE_3 src1_sel:DWORD
	v_and_b32_e32 v32, 0x7f800000, v39
	v_mov_b32_e32 v33, v59
	v_and_b32_e32 v8, 0x7fffff, v39
	v_mov_b32_e32 v9, v59
	v_or_b32_e32 v31, 0x7e, v12
	v_cmp_ne_u64_e64 s[28:29], s[54:55], v[32:33]
	s_and_saveexec_b64 s[30:31], s[28:29]
	s_xor_b64 s[68:69], exec, s[30:31]
	s_cbranch_execz .LBB4_1697
; %bb.1688:                             ;   in Loop: Header=BB4_1387 Depth=4
	v_and_b32_e32 v32, 0x7fffffff, v39
	v_mov_b32_e32 v33, v59
	v_cmp_gt_u64_e64 s[28:29], s[56:57], v[32:33]
	s_and_saveexec_b64 s[70:71], s[28:29]
	s_cbranch_execz .LBB4_1696
; %bb.1689:                             ;   in Loop: Header=BB4_1387 Depth=4
	v_cmp_ne_u32_e64 s[28:29], 0, v39
	v_mov_b32_e32 v31, 0
	s_and_saveexec_b64 s[72:73], s[28:29]
	s_cbranch_execz .LBB4_1695
; %bb.1690:                             ;   in Loop: Header=BB4_1387 Depth=4
	v_bfe_u32 v1, v39, 23, 8
	v_sub_u32_e32 v32, 0x79, v1
	v_cmp_gt_u32_e64 s[28:29], s93, v1
	v_add_u32_e32 v31, 0xffffff81, v1
	v_cndmask_b32_e64 v32, 0, v32, s[28:29]
	v_cmp_eq_u32_e64 s[28:29], 0, v1
	v_mov_b32_e32 v1, 0xffffff82
	v_cndmask_b32_e64 v1, v31, v1, s[28:29]
	v_mov_b32_e32 v31, 0x78
	v_cndmask_b32_e64 v31, v32, v31, s[28:29]
	v_or_b32_e32 v33, 0x800000, v8
	v_add_u32_e32 v32, 20, v31
	v_cndmask_b32_e64 v8, v33, v8, s[28:29]
	v_lshlrev_b64 v[32:33], v32, -1
	v_not_b32_e32 v32, v32
	v_and_b32_e32 v32, v8, v32
	v_lshrrev_b64 v[8:9], v31, v[8:9]
	v_not_b32_e32 v33, v33
	v_add_u32_e32 v34, 19, v31
	v_lshrrev_b32_e32 v39, 23, v8
	v_and_b32_e32 v33, 0, v33
	v_lshlrev_b64 v[34:35], v34, 1
	v_add3_u32 v1, v31, v1, v39
	v_bfe_u32 v31, v8, 20, 1
	v_add_u32_e32 v31, -1, v31
	v_cmp_eq_u64_e64 s[28:29], v[32:33], v[34:35]
	v_cndmask_b32_e64 v31, 0, v31, s[28:29]
	v_add_u32_e32 v31, v31, v8
	v_and_b32_e32 v31, 0xfffff, v31
	v_add_co_u32_e64 v8, s[28:29], v31, v8
	v_add_u32_e32 v39, 6, v1
	v_addc_co_u32_e64 v9, s[28:29], 0, v9, s[28:29]
	v_cmp_ne_u32_e64 s[28:29], 0, v39
                                        ; implicit-def: $vgpr31
	s_and_saveexec_b64 s[30:31], s[28:29]
	s_xor_b64 s[30:31], exec, s[30:31]
; %bb.1691:                             ;   in Loop: Header=BB4_1387 Depth=4
	v_add_u32_e32 v1, 7, v1
	v_cmp_lt_u64_e64 s[28:29], s[58:59], v[8:9]
	v_cndmask_b32_e64 v31, v39, v1, s[28:29]
	v_cndmask_b32_e64 v1, 0, 1, s[28:29]
	v_lshrrev_b64 v[8:9], v1, v[8:9]
; %bb.1692:                             ;   in Loop: Header=BB4_1387 Depth=4
	s_andn2_saveexec_b64 s[28:29], s[30:31]
; %bb.1693:                             ;   in Loop: Header=BB4_1387 Depth=4
	v_bfe_u32 v31, v8, 23, 1
; %bb.1694:                             ;   in Loop: Header=BB4_1387 Depth=4
	s_or_b64 exec, exec, s[28:29]
	v_lshrrev_b64 v[8:9], 20, v[8:9]
	v_cmp_gt_i32_e64 s[28:29], 16, v31
	v_cndmask_b32_e64 v9, 0, v9, s[28:29]
	v_cndmask_b32_e64 v8, 7, v8, s[28:29]
	v_min_i32_e32 v1, 15, v31
	v_cmp_eq_u32_e64 s[28:29], 0, v31
	v_cmp_eq_u64_e64 s[30:31], 0, v[8:9]
	v_lshlrev_b32_e32 v1, 3, v1
	v_and_or_b32 v1, v8, 7, v1
	s_and_b64 s[28:29], s[28:29], s[30:31]
	v_cndmask_b32_e64 v1, v1, 0, s[28:29]
	v_or_b32_e32 v31, v1, v12
.LBB4_1695:                             ;   in Loop: Header=BB4_1387 Depth=4
	s_or_b64 exec, exec, s[72:73]
.LBB4_1696:                             ;   in Loop: Header=BB4_1387 Depth=4
	s_or_b64 exec, exec, s[70:71]
                                        ; implicit-def: $vgpr39
                                        ; implicit-def: $vgpr8_vgpr9
.LBB4_1697:                             ;   in Loop: Header=BB4_1387 Depth=4
	s_andn2_saveexec_b64 s[30:31], s[68:69]
; %bb.1698:                             ;   in Loop: Header=BB4_1387 Depth=4
	v_or_b32_sdwa v1, v39, s92 dst_sel:DWORD dst_unused:UNUSED_PAD src0_sel:BYTE_3 src1_sel:DWORD
	v_cmp_eq_u64_e64 s[28:29], 0, v[8:9]
	v_cndmask_b32_e64 v31, v1, v31, s[28:29]
; %bb.1699:                             ;   in Loop: Header=BB4_1387 Depth=4
	s_or_b64 exec, exec, s[30:31]
	v_lshrrev_b16_e32 v8, 8, v58
	v_cmp_ne_u16_e64 s[28:29], 0, v8
	v_mov_b32_e32 v9, 0
	v_mov_b32_e32 v39, 0
	s_and_saveexec_b64 s[30:31], s[28:29]
	s_cbranch_execz .LBB4_1705
; %bb.1700:                             ;   in Loop: Header=BB4_1387 Depth=4
	v_cmp_ne_u16_e64 s[28:29], s91, v8
	v_bfrev_b32_e32 v39, 1
	s_and_saveexec_b64 s[68:69], s[28:29]
	s_cbranch_execz .LBB4_1704
; %bb.1701:                             ;   in Loop: Header=BB4_1387 Depth=4
	v_and_b32_e32 v1, 0x7f, v8
	v_cmp_ne_u32_e64 s[28:29], s92, v1
	v_mov_b32_e32 v39, 0x7f800001
	s_and_saveexec_b64 s[70:71], s[28:29]
	s_cbranch_execz .LBB4_1703
; %bb.1702:                             ;   in Loop: Header=BB4_1387 Depth=4
	v_and_b32_e32 v12, 7, v8
	v_ffbh_u32_e32 v32, v12
	v_min_u32_e32 v35, 32, v32
	v_subrev_u32_e32 v32, 28, v35
	v_lshlrev_b64 v[32:33], v32, v[8:9]
	v_lshrrev_b32_e32 v34, 3, v1
	v_sub_u32_e32 v8, 29, v35
	v_and_b32_e32 v32, 7, v32
	v_cmp_gt_u32_e64 s[28:29], 8, v1
	v_cndmask_b32_e64 v1, v34, v8, s[28:29]
	v_cndmask_b32_e64 v8, v12, v32, s[28:29]
	v_lshlrev_b32_e32 v12, 16, v58
	v_bfrev_b32_e32 v32, 60
	v_lshlrev_b32_e32 v8, 20, v8
	v_and_b32_e32 v12, 0x80000000, v12
	v_lshl_add_u32 v1, v1, 23, v32
	v_or3_b32 v39, v12, v1, v8
.LBB4_1703:                             ;   in Loop: Header=BB4_1387 Depth=4
	s_or_b64 exec, exec, s[70:71]
.LBB4_1704:                             ;   in Loop: Header=BB4_1387 Depth=4
	s_or_b64 exec, exec, s[68:69]
.LBB4_1705:                             ;   in Loop: Header=BB4_1387 Depth=4
	s_or_b64 exec, exec, s[30:31]
	v_mov_b32_e32 v8, v11
	v_lshrrev_b16_e32 v12, 8, v8
	v_cmp_ne_u16_e64 s[28:29], 0, v12
	s_and_saveexec_b64 s[30:31], s[28:29]
	s_cbranch_execz .LBB4_1711
; %bb.1706:                             ;   in Loop: Header=BB4_1387 Depth=4
	v_cmp_ne_u16_e64 s[28:29], s91, v12
	v_bfrev_b32_e32 v9, 1
	s_and_saveexec_b64 s[68:69], s[28:29]
	s_cbranch_execz .LBB4_1710
; %bb.1707:                             ;   in Loop: Header=BB4_1387 Depth=4
	v_and_b32_e32 v1, 0x7f, v12
	v_cmp_ne_u32_e64 s[28:29], s92, v1
	v_mov_b32_e32 v9, 0x7f800001
	s_and_saveexec_b64 s[70:71], s[28:29]
	s_cbranch_execz .LBB4_1709
; %bb.1708:                             ;   in Loop: Header=BB4_1387 Depth=4
	v_and_b32_e32 v9, 7, v12
	v_ffbh_u32_e32 v32, v9
	v_min_u32_e32 v35, 32, v32
	v_subrev_u32_e32 v32, 28, v35
	v_lshlrev_b64 v[32:33], v32, v[12:13]
	v_lshrrev_b32_e32 v34, 3, v1
	v_sub_u32_e32 v12, 29, v35
	v_and_b32_e32 v32, 7, v32
	v_cmp_gt_u32_e64 s[28:29], 8, v1
	v_cndmask_b32_e64 v1, v34, v12, s[28:29]
	v_cndmask_b32_e64 v9, v9, v32, s[28:29]
	v_lshlrev_b32_e32 v8, 16, v8
	v_bfrev_b32_e32 v12, 60
	v_lshlrev_b32_e32 v9, 20, v9
	v_and_b32_e32 v8, 0x80000000, v8
	v_lshl_add_u32 v1, v1, 23, v12
	v_or3_b32 v9, v8, v1, v9
.LBB4_1709:                             ;   in Loop: Header=BB4_1387 Depth=4
	s_or_b64 exec, exec, s[70:71]
.LBB4_1710:                             ;   in Loop: Header=BB4_1387 Depth=4
	s_or_b64 exec, exec, s[68:69]
.LBB4_1711:                             ;   in Loop: Header=BB4_1387 Depth=4
	s_or_b64 exec, exec, s[30:31]
	v_add_f32_e32 v8, v39, v9
	v_and_b32_sdwa v39, v8, s91 dst_sel:DWORD dst_unused:UNUSED_PAD src0_sel:BYTE_3 src1_sel:DWORD
	v_and_b32_e32 v32, 0x7f800000, v8
	v_mov_b32_e32 v33, v59
	v_and_b32_e32 v58, 0x7fffff, v8
	v_or_b32_e32 v12, 0x7e, v39
	v_cmp_ne_u64_e64 s[28:29], s[54:55], v[32:33]
	s_and_saveexec_b64 s[30:31], s[28:29]
	s_xor_b64 s[68:69], exec, s[30:31]
	s_cbranch_execz .LBB4_1721
; %bb.1712:                             ;   in Loop: Header=BB4_1387 Depth=4
	v_and_b32_e32 v32, 0x7fffffff, v8
	v_mov_b32_e32 v33, v59
	v_cmp_gt_u64_e64 s[28:29], s[56:57], v[32:33]
	s_and_saveexec_b64 s[70:71], s[28:29]
	s_cbranch_execz .LBB4_1720
; %bb.1713:                             ;   in Loop: Header=BB4_1387 Depth=4
	v_cmp_ne_u32_e64 s[28:29], 0, v8
	v_mov_b32_e32 v12, 0
	s_and_saveexec_b64 s[72:73], s[28:29]
	s_cbranch_execz .LBB4_1719
; %bb.1714:                             ;   in Loop: Header=BB4_1387 Depth=4
	v_bfe_u32 v1, v8, 23, 8
	v_sub_u32_e32 v9, 0x79, v1
	v_cmp_gt_u32_e64 s[28:29], s93, v1
	v_add_u32_e32 v8, 0xffffff81, v1
	v_cndmask_b32_e64 v9, 0, v9, s[28:29]
	v_cmp_eq_u32_e64 s[28:29], 0, v1
	v_mov_b32_e32 v1, 0xffffff82
	v_cndmask_b32_e64 v1, v8, v1, s[28:29]
	v_mov_b32_e32 v8, 0x78
	v_or_b32_e32 v12, 0x800000, v58
	v_cndmask_b32_e64 v52, v9, v8, s[28:29]
	v_cndmask_b32_e64 v58, v12, v58, s[28:29]
	v_add_u32_e32 v8, 20, v52
	v_lshlrev_b64 v[8:9], v8, -1
	v_add_u32_e32 v12, 19, v52
	v_lshrrev_b64 v[34:35], v52, v[58:59]
	v_not_b32_e32 v9, v9
	v_not_b32_e32 v8, v8
	v_lshlrev_b64 v[32:33], v12, 1
	v_lshrrev_b32_e32 v12, 23, v34
	v_and_b32_e32 v9, 0, v9
	v_and_b32_e32 v8, v58, v8
	v_add3_u32 v1, v52, v1, v12
	v_bfe_u32 v12, v34, 20, 1
	v_add_u32_e32 v12, -1, v12
	v_cmp_eq_u64_e64 s[28:29], v[8:9], v[32:33]
	v_cndmask_b32_e64 v8, 0, v12, s[28:29]
	v_add_u32_e32 v8, v8, v34
	v_and_b32_e32 v8, 0xfffff, v8
	v_add_co_u32_e64 v8, s[28:29], v8, v34
	v_add_u32_e32 v52, 6, v1
	v_addc_co_u32_e64 v9, s[28:29], 0, v35, s[28:29]
	v_cmp_ne_u32_e64 s[28:29], 0, v52
                                        ; implicit-def: $vgpr12
	s_and_saveexec_b64 s[30:31], s[28:29]
	s_xor_b64 s[30:31], exec, s[30:31]
; %bb.1715:                             ;   in Loop: Header=BB4_1387 Depth=4
	v_add_u32_e32 v1, 7, v1
	v_cmp_lt_u64_e64 s[28:29], s[58:59], v[8:9]
	v_cndmask_b32_e64 v12, v52, v1, s[28:29]
	v_cndmask_b32_e64 v1, 0, 1, s[28:29]
	v_lshrrev_b64 v[8:9], v1, v[8:9]
; %bb.1716:                             ;   in Loop: Header=BB4_1387 Depth=4
	s_andn2_saveexec_b64 s[28:29], s[30:31]
; %bb.1717:                             ;   in Loop: Header=BB4_1387 Depth=4
	v_bfe_u32 v12, v8, 23, 1
; %bb.1718:                             ;   in Loop: Header=BB4_1387 Depth=4
	s_or_b64 exec, exec, s[28:29]
	v_lshrrev_b64 v[8:9], 20, v[8:9]
	v_cmp_gt_i32_e64 s[28:29], 16, v12
	v_cndmask_b32_e64 v9, 0, v9, s[28:29]
	v_cndmask_b32_e64 v8, 7, v8, s[28:29]
	v_min_i32_e32 v1, 15, v12
	v_cmp_eq_u32_e64 s[28:29], 0, v12
	v_cmp_eq_u64_e64 s[30:31], 0, v[8:9]
	v_lshlrev_b32_e32 v1, 3, v1
	v_and_or_b32 v1, v8, 7, v1
	s_and_b64 s[28:29], s[28:29], s[30:31]
	v_cndmask_b32_e64 v1, v1, 0, s[28:29]
	v_or_b32_e32 v12, v1, v39
.LBB4_1719:                             ;   in Loop: Header=BB4_1387 Depth=4
	s_or_b64 exec, exec, s[72:73]
.LBB4_1720:                             ;   in Loop: Header=BB4_1387 Depth=4
	s_or_b64 exec, exec, s[70:71]
                                        ; implicit-def: $vgpr8
.LBB4_1721:                             ;   in Loop: Header=BB4_1387 Depth=4
	s_andn2_saveexec_b64 s[30:31], s[68:69]
; %bb.1722:                             ;   in Loop: Header=BB4_1387 Depth=4
	v_or_b32_sdwa v1, v8, s92 dst_sel:DWORD dst_unused:UNUSED_PAD src0_sel:BYTE_3 src1_sel:DWORD
	v_cmp_eq_u64_e64 s[28:29], 0, v[58:59]
	v_cndmask_b32_e64 v12, v1, v12, s[28:29]
; %bb.1723:                             ;   in Loop: Header=BB4_1387 Depth=4
	s_or_b64 exec, exec, s[30:31]
	v_lshrrev_b32_e32 v8, 16, v15
	v_cmp_ne_u16_sdwa s[28:29], v8, v59 src0_sel:BYTE_0 src1_sel:DWORD
	v_mov_b32_e32 v9, 0
	v_mov_b32_e32 v39, 0
	s_and_saveexec_b64 s[30:31], s[28:29]
	s_cbranch_execz .LBB4_1729
; %bb.1724:                             ;   in Loop: Header=BB4_1387 Depth=4
	v_cmp_ne_u16_sdwa s[28:29], v8, s91 src0_sel:BYTE_0 src1_sel:DWORD
	v_bfrev_b32_e32 v39, 1
	s_and_saveexec_b64 s[68:69], s[28:29]
	s_cbranch_execz .LBB4_1728
; %bb.1725:                             ;   in Loop: Header=BB4_1387 Depth=4
	v_bfe_u32 v1, v15, 16, 7
	v_cmp_ne_u32_e64 s[28:29], s92, v1
	v_mov_b32_e32 v39, 0x7f800001
	s_and_saveexec_b64 s[70:71], s[28:29]
	s_cbranch_execz .LBB4_1727
; %bb.1726:                             ;   in Loop: Header=BB4_1387 Depth=4
	v_and_b32_e32 v34, 7, v8
	v_ffbh_u32_e32 v32, v34
	v_min_u32_e32 v39, 32, v32
	v_subrev_u32_e32 v32, 28, v39
	v_lshlrev_b64 v[32:33], v32, v[8:9]
	v_lshrrev_b32_e32 v35, 3, v1
	v_sub_u32_e32 v33, 29, v39
	v_and_b32_e32 v32, 7, v32
	v_cmp_gt_u32_e64 s[28:29], 8, v1
	v_cndmask_b32_e64 v1, v35, v33, s[28:29]
	v_cndmask_b32_e64 v32, v34, v32, s[28:29]
	v_lshlrev_b32_e32 v8, 24, v8
	v_bfrev_b32_e32 v33, 60
	v_lshlrev_b32_e32 v32, 20, v32
	v_and_b32_e32 v8, 0x80000000, v8
	v_lshl_add_u32 v1, v1, 23, v33
	v_or3_b32 v39, v8, v1, v32
.LBB4_1727:                             ;   in Loop: Header=BB4_1387 Depth=4
	s_or_b64 exec, exec, s[70:71]
.LBB4_1728:                             ;   in Loop: Header=BB4_1387 Depth=4
	s_or_b64 exec, exec, s[68:69]
.LBB4_1729:                             ;   in Loop: Header=BB4_1387 Depth=4
	s_or_b64 exec, exec, s[30:31]
	v_lshrrev_b32_e32 v8, 16, v11
	v_cmp_ne_u16_sdwa s[28:29], v8, v59 src0_sel:BYTE_0 src1_sel:DWORD
	s_and_saveexec_b64 s[30:31], s[28:29]
	s_cbranch_execz .LBB4_1735
; %bb.1730:                             ;   in Loop: Header=BB4_1387 Depth=4
	v_cmp_ne_u16_sdwa s[28:29], v8, s91 src0_sel:BYTE_0 src1_sel:DWORD
	v_bfrev_b32_e32 v9, 1
	s_and_saveexec_b64 s[68:69], s[28:29]
	s_cbranch_execz .LBB4_1734
; %bb.1731:                             ;   in Loop: Header=BB4_1387 Depth=4
	v_bfe_u32 v1, v11, 16, 7
	v_cmp_ne_u32_e64 s[28:29], s92, v1
	v_mov_b32_e32 v9, 0x7f800001
	s_and_saveexec_b64 s[70:71], s[28:29]
	s_cbranch_execz .LBB4_1733
; %bb.1732:                             ;   in Loop: Header=BB4_1387 Depth=4
	v_and_b32_e32 v32, 7, v8
	v_ffbh_u32_e32 v9, v32
	v_min_u32_e32 v34, 32, v9
	v_subrev_u32_e32 v9, 28, v34
	v_lshlrev_b64 v[8:9], v9, v[8:9]
	v_lshrrev_b32_e32 v33, 3, v1
	v_sub_u32_e32 v9, 29, v34
	v_and_b32_e32 v8, 7, v8
	v_cmp_gt_u32_e64 s[28:29], 8, v1
	v_cndmask_b32_e64 v1, v33, v9, s[28:29]
	v_cndmask_b32_e64 v8, v32, v8, s[28:29]
	v_lshlrev_b32_e32 v9, 8, v11
	v_bfrev_b32_e32 v32, 60
	v_lshlrev_b32_e32 v8, 20, v8
	v_and_b32_e32 v9, 0x80000000, v9
	v_lshl_add_u32 v1, v1, 23, v32
	v_or3_b32 v9, v9, v1, v8
.LBB4_1733:                             ;   in Loop: Header=BB4_1387 Depth=4
	s_or_b64 exec, exec, s[70:71]
.LBB4_1734:                             ;   in Loop: Header=BB4_1387 Depth=4
	s_or_b64 exec, exec, s[68:69]
.LBB4_1735:                             ;   in Loop: Header=BB4_1387 Depth=4
	s_or_b64 exec, exec, s[30:31]
	v_add_f32_e32 v8, v39, v9
	v_and_b32_sdwa v52, v8, s91 dst_sel:DWORD dst_unused:UNUSED_PAD src0_sel:BYTE_3 src1_sel:DWORD
	v_and_b32_e32 v32, 0x7f800000, v8
	v_mov_b32_e32 v33, v59
	v_and_b32_e32 v58, 0x7fffff, v8
	v_or_b32_e32 v39, 0x7e, v52
	v_cmp_ne_u64_e64 s[28:29], s[54:55], v[32:33]
	s_and_saveexec_b64 s[30:31], s[28:29]
	s_xor_b64 s[68:69], exec, s[30:31]
	s_cbranch_execz .LBB4_1745
; %bb.1736:                             ;   in Loop: Header=BB4_1387 Depth=4
	v_and_b32_e32 v32, 0x7fffffff, v8
	v_mov_b32_e32 v33, v59
	v_cmp_gt_u64_e64 s[28:29], s[56:57], v[32:33]
	s_and_saveexec_b64 s[70:71], s[28:29]
	s_cbranch_execz .LBB4_1744
; %bb.1737:                             ;   in Loop: Header=BB4_1387 Depth=4
	v_cmp_ne_u32_e64 s[28:29], 0, v8
	v_mov_b32_e32 v39, 0
	s_and_saveexec_b64 s[72:73], s[28:29]
	s_cbranch_execz .LBB4_1743
; %bb.1738:                             ;   in Loop: Header=BB4_1387 Depth=4
	v_bfe_u32 v1, v8, 23, 8
	v_sub_u32_e32 v9, 0x79, v1
	v_cmp_gt_u32_e64 s[28:29], s93, v1
	v_add_u32_e32 v8, 0xffffff81, v1
	v_cndmask_b32_e64 v9, 0, v9, s[28:29]
	v_cmp_eq_u32_e64 s[28:29], 0, v1
	v_mov_b32_e32 v1, 0xffffff82
	v_cndmask_b32_e64 v1, v8, v1, s[28:29]
	v_mov_b32_e32 v8, 0x78
	v_or_b32_e32 v32, 0x800000, v58
	v_cndmask_b32_e64 v39, v9, v8, s[28:29]
	v_cndmask_b32_e64 v58, v32, v58, s[28:29]
	v_add_u32_e32 v8, 20, v39
	v_lshlrev_b64 v[8:9], v8, -1
	v_lshrrev_b64 v[34:35], v39, v[58:59]
	v_not_b32_e32 v9, v9
	v_not_b32_e32 v8, v8
	v_add_u32_e32 v32, 19, v39
	v_lshrrev_b32_e32 v53, 23, v34
	v_and_b32_e32 v9, 0, v9
	v_and_b32_e32 v8, v58, v8
	v_lshlrev_b64 v[32:33], v32, 1
	v_add3_u32 v1, v39, v1, v53
	v_bfe_u32 v39, v34, 20, 1
	v_add_u32_e32 v39, -1, v39
	v_cmp_eq_u64_e64 s[28:29], v[8:9], v[32:33]
	v_cndmask_b32_e64 v8, 0, v39, s[28:29]
	v_add_u32_e32 v8, v8, v34
	v_and_b32_e32 v8, 0xfffff, v8
	v_add_co_u32_e64 v8, s[28:29], v8, v34
	v_add_u32_e32 v53, 6, v1
	v_addc_co_u32_e64 v9, s[28:29], 0, v35, s[28:29]
	v_cmp_ne_u32_e64 s[28:29], 0, v53
                                        ; implicit-def: $vgpr39
	s_and_saveexec_b64 s[30:31], s[28:29]
	s_xor_b64 s[30:31], exec, s[30:31]
; %bb.1739:                             ;   in Loop: Header=BB4_1387 Depth=4
	v_add_u32_e32 v1, 7, v1
	v_cmp_lt_u64_e64 s[28:29], s[58:59], v[8:9]
	v_cndmask_b32_e64 v39, v53, v1, s[28:29]
	v_cndmask_b32_e64 v1, 0, 1, s[28:29]
	v_lshrrev_b64 v[8:9], v1, v[8:9]
; %bb.1740:                             ;   in Loop: Header=BB4_1387 Depth=4
	s_andn2_saveexec_b64 s[28:29], s[30:31]
; %bb.1741:                             ;   in Loop: Header=BB4_1387 Depth=4
	v_bfe_u32 v39, v8, 23, 1
; %bb.1742:                             ;   in Loop: Header=BB4_1387 Depth=4
	s_or_b64 exec, exec, s[28:29]
	v_lshrrev_b64 v[8:9], 20, v[8:9]
	v_cmp_gt_i32_e64 s[28:29], 16, v39
	v_min_i32_e32 v1, 15, v39
	v_cndmask_b32_e64 v9, 0, v9, s[28:29]
	v_cndmask_b32_e64 v8, 7, v8, s[28:29]
	v_lshlrev_b32_e32 v1, 3, v1
	v_cmp_eq_u32_e64 s[28:29], 0, v39
	v_cmp_eq_u64_e64 s[30:31], 0, v[8:9]
	v_and_b32_e32 v1, 0xf8, v1
	v_and_or_b32 v1, v8, 7, v1
	s_and_b64 s[28:29], s[28:29], s[30:31]
	v_cndmask_b32_e64 v1, v1, 0, s[28:29]
	v_or_b32_e32 v39, v1, v52
.LBB4_1743:                             ;   in Loop: Header=BB4_1387 Depth=4
	s_or_b64 exec, exec, s[72:73]
.LBB4_1744:                             ;   in Loop: Header=BB4_1387 Depth=4
	s_or_b64 exec, exec, s[70:71]
                                        ; implicit-def: $vgpr8
.LBB4_1745:                             ;   in Loop: Header=BB4_1387 Depth=4
	s_andn2_saveexec_b64 s[30:31], s[68:69]
; %bb.1746:                             ;   in Loop: Header=BB4_1387 Depth=4
	v_or_b32_sdwa v1, v8, s92 dst_sel:DWORD dst_unused:UNUSED_PAD src0_sel:BYTE_3 src1_sel:DWORD
	v_cmp_eq_u64_e64 s[28:29], 0, v[58:59]
	v_cndmask_b32_e64 v39, v1, v39, s[28:29]
; %bb.1747:                             ;   in Loop: Header=BB4_1387 Depth=4
	s_or_b64 exec, exec, s[30:31]
	v_cmp_lt_u64_e64 s[28:29], s[44:45], v[14:15]
	v_mov_b32_e32 v9, 0
	v_mov_b32_e32 v14, 0
	s_and_saveexec_b64 s[30:31], s[28:29]
	s_cbranch_execz .LBB4_1753
; %bb.1748:                             ;   in Loop: Header=BB4_1387 Depth=4
	v_lshrrev_b32_e32 v8, 24, v15
	v_cmp_ne_u32_e64 s[28:29], s91, v8
	v_bfrev_b32_e32 v14, 1
	s_and_saveexec_b64 s[68:69], s[28:29]
	s_cbranch_execz .LBB4_1752
; %bb.1749:                             ;   in Loop: Header=BB4_1387 Depth=4
	v_bfe_u32 v1, v15, 24, 7
	v_cmp_ne_u32_e64 s[28:29], s92, v1
	v_mov_b32_e32 v14, 0x7f800001
	s_and_saveexec_b64 s[70:71], s[28:29]
	s_cbranch_execz .LBB4_1751
; %bb.1750:                             ;   in Loop: Header=BB4_1387 Depth=4
	v_and_b32_e32 v32, 7, v8
	v_ffbh_u32_e32 v14, v32
	v_min_u32_e32 v34, 32, v14
	v_subrev_u32_e32 v14, 28, v34
	v_lshlrev_b64 v[14:15], v14, v[8:9]
	v_lshrrev_b32_e32 v33, 3, v1
	v_sub_u32_e32 v15, 29, v34
	v_and_b32_e32 v14, 7, v14
	v_cmp_gt_u32_e64 s[28:29], 8, v1
	v_cndmask_b32_e64 v1, v33, v15, s[28:29]
	v_cndmask_b32_e64 v14, v32, v14, s[28:29]
	v_lshlrev_b32_e32 v8, 24, v8
	v_bfrev_b32_e32 v15, 60
	v_lshlrev_b32_e32 v14, 20, v14
	v_and_b32_e32 v8, 0x80000000, v8
	v_lshl_add_u32 v1, v1, 23, v15
	v_or3_b32 v14, v8, v1, v14
.LBB4_1751:                             ;   in Loop: Header=BB4_1387 Depth=4
	s_or_b64 exec, exec, s[70:71]
.LBB4_1752:                             ;   in Loop: Header=BB4_1387 Depth=4
	s_or_b64 exec, exec, s[68:69]
.LBB4_1753:                             ;   in Loop: Header=BB4_1387 Depth=4
	s_or_b64 exec, exec, s[30:31]
	v_cmp_lt_u64_e64 s[28:29], s[44:45], v[10:11]
	s_and_saveexec_b64 s[30:31], s[28:29]
	s_cbranch_execz .LBB4_1759
; %bb.1754:                             ;   in Loop: Header=BB4_1387 Depth=4
	v_lshrrev_b32_e32 v8, 24, v11
	v_cmp_ne_u32_e64 s[28:29], s91, v8
	v_bfrev_b32_e32 v9, 1
	s_and_saveexec_b64 s[68:69], s[28:29]
	s_cbranch_execz .LBB4_1758
; %bb.1755:                             ;   in Loop: Header=BB4_1387 Depth=4
	v_bfe_u32 v1, v11, 24, 7
	v_cmp_ne_u32_e64 s[28:29], s92, v1
	v_mov_b32_e32 v9, 0x7f800001
	s_and_saveexec_b64 s[70:71], s[28:29]
	s_cbranch_execz .LBB4_1757
; %bb.1756:                             ;   in Loop: Header=BB4_1387 Depth=4
	v_and_b32_e32 v9, 7, v8
	v_ffbh_u32_e32 v10, v9
	v_min_u32_e32 v32, 32, v10
	v_subrev_u32_e32 v10, 28, v32
	v_lshlrev_b64 v[10:11], v10, v[8:9]
	v_lshrrev_b32_e32 v15, 3, v1
	v_sub_u32_e32 v11, 29, v32
	v_and_b32_e32 v10, 7, v10
	v_cmp_gt_u32_e64 s[28:29], 8, v1
	v_cndmask_b32_e64 v1, v15, v11, s[28:29]
	v_cndmask_b32_e64 v9, v9, v10, s[28:29]
	v_lshlrev_b32_e32 v8, 24, v8
	v_bfrev_b32_e32 v10, 60
	v_lshlrev_b32_e32 v9, 20, v9
	v_and_b32_e32 v8, 0x80000000, v8
	v_lshl_add_u32 v1, v1, 23, v10
	v_or3_b32 v9, v8, v1, v9
.LBB4_1757:                             ;   in Loop: Header=BB4_1387 Depth=4
	s_or_b64 exec, exec, s[70:71]
.LBB4_1758:                             ;   in Loop: Header=BB4_1387 Depth=4
	s_or_b64 exec, exec, s[68:69]
.LBB4_1759:                             ;   in Loop: Header=BB4_1387 Depth=4
	s_or_b64 exec, exec, s[30:31]
	v_add_f32_e32 v9, v14, v9
	v_and_b32_sdwa v10, v9, s91 dst_sel:DWORD dst_unused:UNUSED_PAD src0_sel:BYTE_3 src1_sel:DWORD
	v_and_b32_e32 v14, 0x7f800000, v9
	v_mov_b32_e32 v15, v59
	v_and_b32_e32 v58, 0x7fffff, v9
	v_or_b32_e32 v8, 0x7e, v10
	v_cmp_ne_u64_e64 s[28:29], s[54:55], v[14:15]
	s_and_saveexec_b64 s[30:31], s[28:29]
	s_xor_b64 s[68:69], exec, s[30:31]
	s_cbranch_execz .LBB4_1769
; %bb.1760:                             ;   in Loop: Header=BB4_1387 Depth=4
	v_and_b32_e32 v14, 0x7fffffff, v9
	v_mov_b32_e32 v15, v59
	v_cmp_gt_u64_e64 s[28:29], s[56:57], v[14:15]
	s_and_saveexec_b64 s[70:71], s[28:29]
	s_cbranch_execz .LBB4_1768
; %bb.1761:                             ;   in Loop: Header=BB4_1387 Depth=4
	v_cmp_ne_u32_e64 s[28:29], 0, v9
	v_mov_b32_e32 v8, 0
	s_and_saveexec_b64 s[72:73], s[28:29]
	s_cbranch_execz .LBB4_1767
; %bb.1762:                             ;   in Loop: Header=BB4_1387 Depth=4
	v_bfe_u32 v1, v9, 23, 8
	v_sub_u32_e32 v9, 0x79, v1
	v_cmp_gt_u32_e64 s[28:29], s93, v1
	v_add_u32_e32 v8, 0xffffff81, v1
	v_cndmask_b32_e64 v9, 0, v9, s[28:29]
	v_cmp_eq_u32_e64 s[28:29], 0, v1
	v_mov_b32_e32 v1, 0xffffff82
	v_cndmask_b32_e64 v1, v8, v1, s[28:29]
	v_mov_b32_e32 v8, 0x78
	v_or_b32_e32 v11, 0x800000, v58
	v_cndmask_b32_e64 v14, v9, v8, s[28:29]
	v_cndmask_b32_e64 v58, v11, v58, s[28:29]
	v_add_u32_e32 v8, 20, v14
	v_lshlrev_b64 v[8:9], v8, -1
	v_add_u32_e32 v11, 19, v14
	v_lshrrev_b64 v[34:35], v14, v[58:59]
	v_not_b32_e32 v9, v9
	v_not_b32_e32 v8, v8
	v_lshlrev_b64 v[32:33], v11, 1
	v_lshrrev_b32_e32 v11, 23, v34
	v_and_b32_e32 v9, 0, v9
	v_and_b32_e32 v8, v58, v8
	v_add3_u32 v1, v14, v1, v11
	v_bfe_u32 v11, v34, 20, 1
	v_add_u32_e32 v11, -1, v11
	v_cmp_eq_u64_e64 s[28:29], v[8:9], v[32:33]
	v_cndmask_b32_e64 v8, 0, v11, s[28:29]
	v_add_u32_e32 v8, v8, v34
	v_and_b32_e32 v8, 0xfffff, v8
	v_add_co_u32_e64 v8, s[28:29], v8, v34
	v_add_u32_e32 v14, 6, v1
	v_addc_co_u32_e64 v9, s[28:29], 0, v35, s[28:29]
	v_cmp_ne_u32_e64 s[28:29], 0, v14
                                        ; implicit-def: $vgpr11
	s_and_saveexec_b64 s[30:31], s[28:29]
	s_xor_b64 s[30:31], exec, s[30:31]
; %bb.1763:                             ;   in Loop: Header=BB4_1387 Depth=4
	v_add_u32_e32 v1, 7, v1
	v_cmp_lt_u64_e64 s[28:29], s[58:59], v[8:9]
	v_cndmask_b32_e64 v11, v14, v1, s[28:29]
	v_cndmask_b32_e64 v1, 0, 1, s[28:29]
	v_lshrrev_b64 v[8:9], v1, v[8:9]
; %bb.1764:                             ;   in Loop: Header=BB4_1387 Depth=4
	s_andn2_saveexec_b64 s[28:29], s[30:31]
; %bb.1765:                             ;   in Loop: Header=BB4_1387 Depth=4
	v_bfe_u32 v11, v8, 23, 1
; %bb.1766:                             ;   in Loop: Header=BB4_1387 Depth=4
	s_or_b64 exec, exec, s[28:29]
	v_lshrrev_b64 v[8:9], 20, v[8:9]
	v_cmp_gt_i32_e64 s[28:29], 16, v11
	v_min_i32_e32 v1, 15, v11
	v_cndmask_b32_e64 v9, 0, v9, s[28:29]
	v_cndmask_b32_e64 v8, 7, v8, s[28:29]
	v_lshlrev_b32_e32 v1, 3, v1
	v_cmp_eq_u32_e64 s[28:29], 0, v11
	v_cmp_eq_u64_e64 s[30:31], 0, v[8:9]
	v_and_b32_e32 v1, 0xf8, v1
	v_and_or_b32 v1, v8, 7, v1
	s_and_b64 s[28:29], s[28:29], s[30:31]
	v_cndmask_b32_e64 v1, v1, 0, s[28:29]
	v_or_b32_e32 v8, v1, v10
.LBB4_1767:                             ;   in Loop: Header=BB4_1387 Depth=4
	s_or_b64 exec, exec, s[72:73]
.LBB4_1768:                             ;   in Loop: Header=BB4_1387 Depth=4
	s_or_b64 exec, exec, s[70:71]
                                        ; implicit-def: $vgpr9
.LBB4_1769:                             ;   in Loop: Header=BB4_1387 Depth=4
	s_andn2_saveexec_b64 s[30:31], s[68:69]
	s_cbranch_execz .LBB4_1386
; %bb.1770:                             ;   in Loop: Header=BB4_1387 Depth=4
	v_or_b32_sdwa v1, v9, s92 dst_sel:DWORD dst_unused:UNUSED_PAD src0_sel:BYTE_3 src1_sel:DWORD
	v_cmp_eq_u64_e64 s[28:29], 0, v[58:59]
	v_cndmask_b32_e64 v8, v1, v8, s[28:29]
	s_branch .LBB4_1386
.LBB4_1771:                             ;   in Loop: Header=BB4_274 Depth=3
	s_or_b64 exec, exec, s[66:67]
.LBB4_1772:                             ;   in Loop: Header=BB4_274 Depth=3
	s_or_b64 exec, exec, s[64:65]
	v_accvgpr_read_b32 v0, a54
	v_and_b32_e32 v1, 15, v0
	v_cndmask_b32_e32 v14, v25, v1, vcc
	v_cmp_ne_u32_e64 s[28:29], 0, v14
	s_mov_b64 s[30:31], 0
	v_mov_b32_e32 v0, 0
                                        ; implicit-def: $vgpr15
                                        ; implicit-def: $vgpr3
	s_and_saveexec_b64 s[64:65], s[28:29]
	s_cbranch_execz .LBB4_1774
; %bb.1773:                             ;   in Loop: Header=BB4_274 Depth=3
	v_sub_u32_e32 v0, v25, v1
	v_cndmask_b32_e32 v0, 0, v0, vcc
	v_cmp_lt_i32_e32 vcc, 0, v24
	v_accvgpr_read_b32 v4, a22
	v_cndmask_b32_e32 v1, 0, v4, vcc
	v_sub_u32_e32 v1, v1, v24
	v_lshl_add_u32 v15, v1, 6, v7
	v_ashrrev_i32_e32 v1, 31, v15
	v_lshrrev_b32_e32 v1, 26, v1
	v_add_u32_e32 v1, v15, v1
	s_mov_b64 s[30:31], exec
	v_add3_u32 v0, v23, v6, v0
	v_ashrrev_i32_e32 v3, 6, v1
.LBB4_1774:                             ;   in Loop: Header=BB4_274 Depth=3
	s_or_b64 exec, exec, s[64:65]
	s_and_b64 s[28:29], s[30:31], exec
	v_accvgpr_read_b32 v19, a54
.LBB4_1775:                             ;   in Loop: Header=BB4_274 Depth=3
	s_or_b64 exec, exec, s[62:63]
	v_accvgpr_read_b32 v24, a22
	v_accvgpr_read_b32 v38, a51
	s_and_saveexec_b64 s[30:31], s[28:29]
	s_cbranch_execnz .LBB4_345
.LBB4_1776:                             ;   in Loop: Header=BB4_274 Depth=3
	s_or_b64 exec, exec, s[30:31]
	s_and_saveexec_b64 s[28:29], s[10:11]
	s_cbranch_execz .LBB4_573
.LBB4_1777:                             ;   in Loop: Header=BB4_274 Depth=3
	s_and_saveexec_b64 vcc, s[46:47]
	s_xor_b64 s[30:31], exec, vcc
	s_cbranch_execz .LBB4_1792
; %bb.1778:                             ;   in Loop: Header=BB4_274 Depth=3
	s_and_saveexec_b64 s[62:63], s[16:17]
	s_cbranch_execz .LBB4_1791
; %bb.1779:                             ;   in Loop: Header=BB4_274 Depth=3
	s_mov_b64 s[66:67], exec
	v_mbcnt_lo_u32_b32 v0, s66, 0
	v_mbcnt_hi_u32_b32 v0, s67, v0
	v_cmp_eq_u32_e32 vcc, 0, v0
	s_waitcnt vmcnt(0) lgkmcnt(0)
	buffer_wbinvl1_vol
	s_and_saveexec_b64 s[64:65], vcc
	s_cbranch_execz .LBB4_1781
; %bb.1780:                             ;   in Loop: Header=BB4_274 Depth=3
	s_bcnt1_i32_b64 s9, s[66:67]
	v_mov_b32_e32 v58, s9
	ds_add_u64 v0, v[58:59]
	s_trap 2
.LBB4_1781:                             ;   in Loop: Header=BB4_274 Depth=3
	s_or_b64 exec, exec, s[64:65]
	s_trap 2
	ds_read_b64 v[0:1], v0
	v_accvgpr_read_b32 v4, a14
	v_accvgpr_read_b32 v5, a15
	v_add_co_u32_e32 v4, vcc, v4, v24
	v_addc_co_u32_e32 v5, vcc, 0, v5, vcc
	v_accvgpr_write_b32 a15, v5
	v_accvgpr_write_b32 a14, v4
	s_waitcnt lgkmcnt(0)
	v_cmp_lt_u64_e32 vcc, v[0:1], v[4:5]
	s_and_saveexec_b64 s[64:65], vcc
	s_cbranch_execz .LBB4_1790
; %bb.1782:                             ;   in Loop: Header=BB4_274 Depth=3
	s_mov_b32 s9, 0
	s_mov_b64 s[66:67], 0
                                        ; implicit-def: $sgpr68_sgpr69
                                        ; implicit-def: $sgpr70_sgpr71
	s_branch .LBB4_1784
.LBB4_1783:                             ;   in Loop: Header=BB4_1784 Depth=4
	s_or_b64 exec, exec, s[74:75]
	s_and_b64 vcc, exec, vcc
	s_or_b64 s[66:67], vcc, s[66:67]
	s_andn2_b64 vcc, s[68:69], exec
	s_and_b64 s[68:69], s[70:71], exec
	s_or_b64 s[68:69], vcc, s[68:69]
	s_andn2_b64 exec, exec, s[66:67]
	s_cbranch_execz .LBB4_1788
.LBB4_1784:                             ;   Parent Loop BB4_47 Depth=1
                                        ;     Parent Loop BB4_271 Depth=2
                                        ;       Parent Loop BB4_274 Depth=3
                                        ; =>      This Inner Loop Header: Depth=4
	s_add_i32 s9, s9, 1
	s_cmpk_lg_i32 s9, 0x2710
	s_cselect_b64 s[72:73], -1, 0
	s_and_b64 vcc, exec, s[72:73]
                                        ; implicit-def: $sgpr74_sgpr75
	s_cbranch_vccnz .LBB4_1786
; %bb.1785:                             ;   in Loop: Header=BB4_1784 Depth=4
	s_trap 2
	ds_read_b64 v[0:1], v0
	s_andn2_b64 s[72:73], s[72:73], exec
	s_mov_b32 s9, 0
	s_mov_b64 s[74:75], -1
	s_waitcnt lgkmcnt(0)
	flat_load_dword v0, v[0:1] glc
	s_waitcnt vmcnt(0) lgkmcnt(0)
	buffer_invl2
	buffer_wbinvl1_vol
	v_cmp_eq_u32_e32 vcc, 0, v0
	s_and_b64 vcc, vcc, exec
	s_or_b64 s[72:73], s[72:73], vcc
.LBB4_1786:                             ;   in Loop: Header=BB4_1784 Depth=4
	s_andn2_b64 s[70:71], s[70:71], exec
	s_and_b64 s[74:75], s[74:75], exec
	s_mov_b64 vcc, -1
	s_or_b64 s[70:71], s[70:71], s[74:75]
	s_and_saveexec_b64 s[74:75], s[72:73]
	s_cbranch_execz .LBB4_1783
; %bb.1787:                             ;   in Loop: Header=BB4_1784 Depth=4
	s_sleep 1
	s_trap 2
	ds_read_b64 v[0:1], v0
	v_accvgpr_read_b32 v4, a14
	v_accvgpr_read_b32 v5, a15
	s_andn2_b64 s[70:71], s[70:71], exec
	s_waitcnt lgkmcnt(0)
	v_cmp_ge_u64_e32 vcc, v[0:1], v[4:5]
	s_orn2_b64 vcc, vcc, exec
	s_branch .LBB4_1783
.LBB4_1788:                             ;   in Loop: Header=BB4_274 Depth=3
	s_or_b64 exec, exec, s[66:67]
	s_and_saveexec_b64 vcc, s[68:69]
	s_xor_b64 vcc, exec, vcc
	s_cbranch_execz .LBB4_1790
; %bb.1789:                             ;   in Loop: Header=BB4_274 Depth=3
	v_mov_b32_e32 v0, 1
	ds_write_b32 v0, v0
	s_trap 2
.LBB4_1790:                             ;   in Loop: Header=BB4_274 Depth=3
	s_or_b64 exec, exec, s[64:65]
	;;#ASMSTART
	s_wakeup
	;;#ASMEND
.LBB4_1791:                             ;   in Loop: Header=BB4_274 Depth=3
	s_or_b64 exec, exec, s[62:63]
.LBB4_1792:                             ;   in Loop: Header=BB4_274 Depth=3
	s_andn2_saveexec_b64 vcc, s[30:31]
	s_cbranch_execz .LBB4_1794
; %bb.1793:                             ;   in Loop: Header=BB4_274 Depth=3
	s_waitcnt vmcnt(0) lgkmcnt(0)
	buffer_wbinvl1_vol
	s_barrier
.LBB4_1794:                             ;   in Loop: Header=BB4_274 Depth=3
	s_or_b64 exec, exec, vcc
	s_or_b64 exec, exec, s[28:29]
                                        ; implicit-def: $vgpr0
	s_and_saveexec_b64 s[28:29], s[24:25]
	s_xor_b64 s[30:31], exec, s[28:29]
	s_cbranch_execnz .LBB4_574
.LBB4_1795:                             ;   in Loop: Header=BB4_274 Depth=3
	s_andn2_saveexec_b64 s[28:29], s[30:31]
	s_cbranch_execz .LBB4_1814
.LBB4_1796:                             ;   in Loop: Header=BB4_274 Depth=3
	s_and_saveexec_b64 vcc, s[46:47]
	s_xor_b64 s[30:31], exec, vcc
	s_cbranch_execz .LBB4_1811
; %bb.1797:                             ;   in Loop: Header=BB4_274 Depth=3
	s_and_saveexec_b64 s[62:63], s[16:17]
	s_cbranch_execz .LBB4_1810
; %bb.1798:                             ;   in Loop: Header=BB4_274 Depth=3
	s_mov_b64 s[66:67], exec
	v_mbcnt_lo_u32_b32 v0, s66, 0
	v_mbcnt_hi_u32_b32 v0, s67, v0
	v_cmp_eq_u32_e32 vcc, 0, v0
	;;#ASMSTART
	s_waitcnt lgkmcnt(0) vmcnt(0)
	;;#ASMEND
	s_and_saveexec_b64 s[64:65], vcc
	s_cbranch_execz .LBB4_1800
; %bb.1799:                             ;   in Loop: Header=BB4_274 Depth=3
	s_bcnt1_i32_b64 s9, s[66:67]
	v_mov_b32_e32 v58, s9
	ds_add_u64 v0, v[58:59]
	s_trap 2
.LBB4_1800:                             ;   in Loop: Header=BB4_274 Depth=3
	s_or_b64 exec, exec, s[64:65]
	s_trap 2
	ds_read_b64 v[0:1], v0
	v_accvgpr_read_b32 v4, a14
	v_accvgpr_read_b32 v5, a15
	v_add_co_u32_e32 v4, vcc, v4, v24
	v_addc_co_u32_e32 v5, vcc, 0, v5, vcc
	v_accvgpr_write_b32 a15, v5
	v_accvgpr_write_b32 a14, v4
	s_waitcnt lgkmcnt(0)
	v_cmp_lt_u64_e32 vcc, v[0:1], v[4:5]
	s_and_saveexec_b64 s[64:65], vcc
	s_cbranch_execz .LBB4_1809
; %bb.1801:                             ;   in Loop: Header=BB4_274 Depth=3
	s_mov_b32 s9, 0
	s_mov_b64 s[66:67], 0
                                        ; implicit-def: $sgpr68_sgpr69
                                        ; implicit-def: $sgpr70_sgpr71
	s_branch .LBB4_1803
.LBB4_1802:                             ;   in Loop: Header=BB4_1803 Depth=4
	s_or_b64 exec, exec, s[74:75]
	s_and_b64 vcc, exec, vcc
	s_or_b64 s[66:67], vcc, s[66:67]
	s_andn2_b64 vcc, s[68:69], exec
	s_and_b64 s[68:69], s[70:71], exec
	s_or_b64 s[68:69], vcc, s[68:69]
	s_andn2_b64 exec, exec, s[66:67]
	s_cbranch_execz .LBB4_1807
.LBB4_1803:                             ;   Parent Loop BB4_47 Depth=1
                                        ;     Parent Loop BB4_271 Depth=2
                                        ;       Parent Loop BB4_274 Depth=3
                                        ; =>      This Inner Loop Header: Depth=4
	s_add_i32 s9, s9, 1
	s_cmpk_lg_i32 s9, 0x2710
	s_cselect_b64 s[72:73], -1, 0
	s_and_b64 vcc, exec, s[72:73]
                                        ; implicit-def: $sgpr74_sgpr75
	s_cbranch_vccnz .LBB4_1805
; %bb.1804:                             ;   in Loop: Header=BB4_1803 Depth=4
	s_trap 2
	ds_read_b64 v[0:1], v0
	s_andn2_b64 s[72:73], s[72:73], exec
	s_mov_b32 s9, 0
	s_mov_b64 s[74:75], -1
	s_waitcnt vmcnt(0) lgkmcnt(0)
	flat_load_dword v0, v[0:1] glc
	s_waitcnt vmcnt(0) lgkmcnt(0)
	buffer_invl2
	buffer_wbinvl1_vol
	v_cmp_eq_u32_e32 vcc, 0, v0
	s_and_b64 vcc, vcc, exec
	s_or_b64 s[72:73], s[72:73], vcc
.LBB4_1805:                             ;   in Loop: Header=BB4_1803 Depth=4
	s_andn2_b64 s[70:71], s[70:71], exec
	s_and_b64 s[74:75], s[74:75], exec
	s_mov_b64 vcc, -1
	s_or_b64 s[70:71], s[70:71], s[74:75]
	s_and_saveexec_b64 s[74:75], s[72:73]
	s_cbranch_execz .LBB4_1802
; %bb.1806:                             ;   in Loop: Header=BB4_1803 Depth=4
	s_sleep 1
	s_trap 2
	ds_read_b64 v[0:1], v0
	v_accvgpr_read_b32 v4, a14
	v_accvgpr_read_b32 v5, a15
	s_andn2_b64 s[70:71], s[70:71], exec
	s_waitcnt lgkmcnt(0)
	v_cmp_ge_u64_e32 vcc, v[0:1], v[4:5]
	s_orn2_b64 vcc, vcc, exec
	s_branch .LBB4_1802
.LBB4_1807:                             ;   in Loop: Header=BB4_274 Depth=3
	s_or_b64 exec, exec, s[66:67]
	s_and_saveexec_b64 vcc, s[68:69]
	s_xor_b64 vcc, exec, vcc
	s_cbranch_execz .LBB4_1809
; %bb.1808:                             ;   in Loop: Header=BB4_274 Depth=3
	v_mov_b32_e32 v0, 1
	ds_write_b32 v0, v0
	s_trap 2
.LBB4_1809:                             ;   in Loop: Header=BB4_274 Depth=3
	s_or_b64 exec, exec, s[64:65]
	;;#ASMSTART
	s_wakeup
	;;#ASMEND
.LBB4_1810:                             ;   in Loop: Header=BB4_274 Depth=3
	s_or_b64 exec, exec, s[62:63]
.LBB4_1811:                             ;   in Loop: Header=BB4_274 Depth=3
	s_andn2_saveexec_b64 vcc, s[30:31]
	s_cbranch_execz .LBB4_1813
; %bb.1812:                             ;   in Loop: Header=BB4_274 Depth=3
	;;#ASMSTART
	s_waitcnt lgkmcnt(0) vmcnt(0)
	;;#ASMEND
	s_barrier
.LBB4_1813:                             ;   in Loop: Header=BB4_274 Depth=3
	s_or_b64 exec, exec, vcc
	v_and_b32_e32 v0, 16, v60
.LBB4_1814:                             ;   in Loop: Header=BB4_274 Depth=3
	s_or_b64 exec, exec, s[28:29]
	v_cmp_ne_u32_e32 vcc, 0, v0
	s_xor_b64 s[28:29], s[12:13], -1
	s_and_b64 vcc, vcc, s[28:29]
	s_and_saveexec_b64 s[28:29], vcc
	s_cbranch_execz .LBB4_1816
; %bb.1815:                             ;   in Loop: Header=BB4_274 Depth=3
	v_accvgpr_read_b32 v0, a20
	v_accvgpr_read_b32 v1, a21
	v_mov_b32_e32 v3, 1
	flat_store_dword v[0:1], v3
.LBB4_1816:                             ;   in Loop: Header=BB4_274 Depth=3
	s_or_b64 exec, exec, s[28:29]
	v_and_b32_e32 v0, 48, v60
	v_cmp_ne_u32_e32 vcc, 0, v0
	s_and_saveexec_b64 s[28:29], vcc
	s_cbranch_execz .LBB4_273
; %bb.1817:                             ;   in Loop: Header=BB4_274 Depth=3
	v_add_co_u32_e32 v44, vcc, 2, v44
	v_addc_co_u32_e32 v45, vcc, 0, v45, vcc
	flat_store_dwordx2 v[48:49], v[44:45]
	s_branch .LBB4_273
.LBB4_1818:                             ;   in Loop: Header=BB4_271 Depth=2
	s_or_b64 exec, exec, s[34:35]
	v_cmp_gt_i32_e32 vcc, 2, v0
	s_and_saveexec_b64 s[30:31], vcc
	s_cbranch_execz .LBB4_270
	s_branch .LBB4_1820
.LBB4_1819:                             ;   in Loop: Header=BB4_271 Depth=2
	s_or_b64 exec, exec, s[36:37]
	s_or_b64 exec, exec, s[34:35]
	v_cmp_gt_i32_e32 vcc, 2, v0
	s_and_saveexec_b64 s[30:31], vcc
	s_cbranch_execz .LBB4_270
.LBB4_1820:                             ;   in Loop: Header=BB4_271 Depth=2
	v_cmp_eq_u32_e64 s[28:29], 0, v0
	s_mov_b64 s[34:35], 0
	s_branch .LBB4_1822
.LBB4_1821:                             ;   in Loop: Header=BB4_1822 Depth=3
	s_or_b64 exec, exec, s[28:29]
	v_add_u32_e32 v27, v2, v27
	s_mov_b64 s[28:29], 0
	s_andn2_b64 exec, exec, s[34:35]
	s_cbranch_execz .LBB4_269
.LBB4_1822:                             ;   Parent Loop BB4_47 Depth=1
                                        ;     Parent Loop BB4_271 Depth=2
                                        ; =>    This Loop Header: Depth=3
                                        ;         Child Loop BB4_1828 Depth 4
                                        ;         Child Loop BB4_1866 Depth 4
	;; [unrolled: 1-line block ×3, first 2 shown]
	v_and_b32_e32 v0, 12, v60
	s_mov_b64 s[60:61], -1
	v_cmp_ne_u32_e32 vcc, 0, v0
	s_and_saveexec_b64 s[36:37], vcc
	s_cbranch_execz .LBB4_1834
; %bb.1823:                             ;   in Loop: Header=BB4_1822 Depth=3
	v_and_b32_e32 v4, 8, v60
	v_add_co_u32_e32 v0, vcc, v50, v4
	v_addc_co_u32_e32 v1, vcc, 0, v51, vcc
	v_add_co_u32_e32 v8, vcc, 2, v44
	v_addc_co_u32_e32 v9, vcc, 0, v45, vcc
	v_cmp_lt_u64_e32 vcc, v[0:1], v[8:9]
	v_mov_b32_e32 v0, 1
	s_and_saveexec_b64 s[60:61], vcc
	s_cbranch_execz .LBB4_1833
; %bb.1824:                             ;   in Loop: Header=BB4_1822 Depth=3
	s_mov_b64 s[62:63], 0
	v_mov_b32_e32 v0, 0
                                        ; implicit-def: $sgpr64_sgpr65
	s_branch .LBB4_1828
.LBB4_1825:                             ;   in Loop: Header=BB4_1828 Depth=4
	s_or_b64 exec, exec, s[72:73]
	v_mov_b32_e32 v3, 0
	s_orn2_b64 s[70:71], s[70:71], exec
.LBB4_1826:                             ;   in Loop: Header=BB4_1828 Depth=4
	s_or_b64 exec, exec, s[68:69]
	s_andn2_b64 vcc, s[64:65], exec
	s_and_b64 s[64:65], s[70:71], exec
	s_or_b64 s[64:65], vcc, s[64:65]
	v_mov_b32_e32 v0, v3
.LBB4_1827:                             ;   in Loop: Header=BB4_1828 Depth=4
	s_or_b64 exec, exec, s[66:67]
	s_waitcnt vmcnt(0) lgkmcnt(0)
	v_add_co_u32_e32 v6, vcc, v50, v4
	v_addc_co_u32_e32 v7, vcc, 0, v51, vcc
	v_cmp_ge_u64_e32 vcc, v[6:7], v[8:9]
	s_xor_b64 s[66:67], s[64:65], -1
	s_or_b64 vcc, s[66:67], vcc
	s_and_b64 vcc, exec, vcc
	s_or_b64 s[62:63], vcc, s[62:63]
	s_andn2_b64 exec, exec, s[62:63]
	s_cbranch_execz .LBB4_1832
.LBB4_1828:                             ;   Parent Loop BB4_47 Depth=1
                                        ;     Parent Loop BB4_271 Depth=2
                                        ;       Parent Loop BB4_1822 Depth=3
                                        ; =>      This Inner Loop Header: Depth=4
	s_sleep 1
	flat_load_dwordx2 v[50:51], v[48:49] glc
	v_and_b32_e32 v1, 64, v60
	v_cmp_eq_u32_e32 vcc, 0, v1
	s_andn2_b64 s[64:65], s[64:65], exec
	s_and_saveexec_b64 s[66:67], vcc
	s_cbranch_execz .LBB4_1827
; %bb.1829:                             ;   in Loop: Header=BB4_1828 Depth=4
	v_add_u32_e32 v3, 1, v0
	v_cmp_lt_i32_e32 vcc, s89, v0
	s_mov_b64 s[70:71], -1
	s_and_saveexec_b64 s[68:69], vcc
	s_cbranch_execz .LBB4_1826
; %bb.1830:                             ;   in Loop: Header=BB4_1828 Depth=4
	s_trap 2
	ds_read_b64 v[0:1], v0
	s_waitcnt vmcnt(0) lgkmcnt(0)
	flat_load_dword v0, v[0:1] glc
	s_waitcnt vmcnt(0) lgkmcnt(0)
	buffer_invl2
	buffer_wbinvl1_vol
	v_cmp_ne_u32_e32 vcc, 0, v0
	s_and_saveexec_b64 s[72:73], vcc
	s_cbranch_execz .LBB4_1825
; %bb.1831:                             ;   in Loop: Header=BB4_1828 Depth=4
	v_or_b32_e32 v60, 64, v60
	s_xor_b64 s[70:71], exec, -1
	ds_write_b32 v0, v0
	s_trap 2
	s_branch .LBB4_1825
.LBB4_1832:                             ;   in Loop: Header=BB4_1822 Depth=3
	s_or_b64 exec, exec, s[62:63]
	v_and_b32_e32 v0, 12, v60
.LBB4_1833:                             ;   in Loop: Header=BB4_1822 Depth=3
	s_or_b64 exec, exec, s[60:61]
	v_cmp_eq_u32_e32 vcc, 0, v0
	s_orn2_b64 s[60:61], vcc, exec
	;;#ASMSTART
	s_wakeup
	;;#ASMEND
.LBB4_1834:                             ;   in Loop: Header=BB4_1822 Depth=3
	s_or_b64 exec, exec, s[36:37]
	s_xor_b64 s[28:29], s[28:29], -1
	s_and_b64 s[28:29], exec, s[28:29]
	s_or_b64 s[34:35], s[28:29], s[34:35]
	v_sub_u32_e32 v0, v38, v27
	s_xor_b64 s[28:29], s[60:61], -1
	v_min_i32_e32 v2, v2, v0
	s_and_saveexec_b64 s[36:37], s[28:29]
	s_cbranch_execz .LBB4_1858
; %bb.1835:                             ;   in Loop: Header=BB4_1822 Depth=3
	v_and_b32_e32 v0, 0x108, v60
	v_cmp_ne_u32_e32 vcc, s90, v0
	v_and_b32_e32 v4, 7, v44
	s_and_saveexec_b64 s[28:29], vcc
	s_xor_b64 s[28:29], exec, s[28:29]
	s_andn2_saveexec_b64 s[28:29], s[28:29]
	s_cbranch_execz .LBB4_1837
; %bb.1836:                             ;   in Loop: Header=BB4_1822 Depth=3
	v_accvgpr_read_b32 v0, a12
	v_accvgpr_read_b32 v1, a13
	v_mad_u64_u32 v[0:1], vcc, v4, 24, v[0:1]
	v_ashrrev_i32_e32 v3, 31, v2
	flat_store_dwordx2 v[0:1], v[2:3] offset:8
.LBB4_1837:                             ;   in Loop: Header=BB4_1822 Depth=3
	s_or_b64 exec, exec, s[28:29]
	v_and_b32_e32 v0, 0x100, v60
	v_cmp_ne_u32_e32 vcc, 0, v0
	s_mov_b64 s[28:29], -1
                                        ; implicit-def: $vgpr8_vgpr9
	s_and_saveexec_b64 s[60:61], vcc
	s_cbranch_execz .LBB4_1841
; %bb.1838:                             ;   in Loop: Header=BB4_1822 Depth=3
	v_accvgpr_read_b32 v0, a12
	v_accvgpr_read_b32 v1, a13
	v_mad_u64_u32 v[10:11], s[28:29], v4, 24, v[0:1]
	v_mov_b32_e32 v0, v11
	v_mad_u64_u32 v[0:1], s[28:29], v59, 24, v[0:1]
	v_mov_b32_e32 v11, v0
	flat_load_dword v0, v[10:11]
                                        ; implicit-def: $vgpr8_vgpr9
	s_waitcnt vmcnt(0) lgkmcnt(0)
	v_cmp_ne_u32_e32 vcc, 1, v0
	v_cmp_eq_u32_e64 s[28:29], 1, v0
	s_and_saveexec_b64 s[62:63], s[28:29]
	s_cbranch_execz .LBB4_1840
; %bb.1839:                             ;   in Loop: Header=BB4_1822 Depth=3
	flat_load_dword v8, v[10:11] offset:4 glc
	s_waitcnt vmcnt(0) lgkmcnt(0)
	v_ashrrev_i32_e32 v9, 31, v8
.LBB4_1840:                             ;   in Loop: Header=BB4_1822 Depth=3
	s_or_b64 exec, exec, s[62:63]
	s_orn2_b64 s[28:29], vcc, exec
.LBB4_1841:                             ;   in Loop: Header=BB4_1822 Depth=3
	s_or_b64 exec, exec, s[60:61]
	s_and_saveexec_b64 vcc, s[28:29]
; %bb.1842:                             ;   in Loop: Header=BB4_1822 Depth=3
	v_accvgpr_read_b32 v6, a16
	v_accvgpr_read_b32 v1, a17
	v_mul_lo_u32 v0, v59, v6
	v_mul_lo_u32 v1, v4, v1
	v_mad_u64_u32 v[8:9], s[28:29], v4, v6, 0
	v_add3_u32 v9, v9, v1, v0
; %bb.1843:                             ;   in Loop: Header=BB4_1822 Depth=3
	s_or_b64 exec, exec, vcc
	v_accvgpr_read_b32 v0, a18
	v_accvgpr_read_b32 v1, a19
	v_add_co_u32_e32 v0, vcc, v0, v8
	v_addc_co_u32_e32 v1, vcc, v1, v9, vcc
	s_trap 2
	ds_write_b64 v0, v[0:1]
	v_and_b32_e32 v0, 0x2000, v60
	v_cmp_ne_u32_e32 vcc, 0, v0
	s_and_saveexec_b64 s[28:29], vcc
	s_cbranch_execz .LBB4_1845
; %bb.1844:                             ;   in Loop: Header=BB4_1822 Depth=3
	ds_read_b64 v[0:1], v0 offset:584
	s_waitcnt lgkmcnt(0)
	v_add_co_u32_e32 v0, vcc, 1, v0
	v_addc_co_u32_e32 v1, vcc, 0, v1, vcc
	ds_write_b64 v0, v[0:1] offset:584
.LBB4_1845:                             ;   in Loop: Header=BB4_1822 Depth=3
	s_or_b64 exec, exec, s[28:29]
	v_add_co_u32_e32 v44, vcc, 2, v44
	v_addc_co_u32_e32 v45, vcc, 0, v45, vcc
	s_or_b64 exec, exec, s[36:37]
	s_and_saveexec_b64 s[28:29], s[10:11]
	s_cbranch_execnz .LBB4_1859
.LBB4_1846:                             ;   in Loop: Header=BB4_1822 Depth=3
	s_or_b64 exec, exec, s[28:29]
                                        ; implicit-def: $vgpr0
	s_and_saveexec_b64 s[28:29], s[50:51]
	s_xor_b64 s[28:29], exec, s[28:29]
	s_cbranch_execz .LBB4_1884
.LBB4_1847:                             ;   in Loop: Header=BB4_1822 Depth=3
	s_and_saveexec_b64 vcc, s[46:47]
	s_xor_b64 s[36:37], exec, vcc
	s_cbranch_execz .LBB4_1874
; %bb.1848:                             ;   in Loop: Header=BB4_1822 Depth=3
	s_and_saveexec_b64 s[60:61], s[16:17]
	s_cbranch_execz .LBB4_1873
; %bb.1849:                             ;   in Loop: Header=BB4_1822 Depth=3
	s_mov_b64 s[64:65], exec
	v_mbcnt_lo_u32_b32 v0, s64, 0
	v_mbcnt_hi_u32_b32 v0, s65, v0
	v_cmp_eq_u32_e32 vcc, 0, v0
	;;#ASMSTART
	s_waitcnt lgkmcnt(0) vmcnt(0)
	;;#ASMEND
	s_and_saveexec_b64 s[62:63], vcc
	s_cbranch_execz .LBB4_1851
; %bb.1850:                             ;   in Loop: Header=BB4_1822 Depth=3
	s_bcnt1_i32_b64 s9, s[64:65]
	v_mov_b32_e32 v58, s9
	ds_add_u64 v0, v[58:59]
	s_trap 2
.LBB4_1851:                             ;   in Loop: Header=BB4_1822 Depth=3
	s_or_b64 exec, exec, s[62:63]
	s_trap 2
	ds_read_b64 v[0:1], v0
	v_accvgpr_read_b32 v4, a14
	v_accvgpr_read_b32 v5, a15
	v_add_co_u32_e32 v4, vcc, v4, v24
	v_addc_co_u32_e32 v5, vcc, 0, v5, vcc
	v_accvgpr_write_b32 a15, v5
	v_accvgpr_write_b32 a14, v4
	s_waitcnt lgkmcnt(0)
	v_cmp_lt_u64_e32 vcc, v[0:1], v[4:5]
	s_and_saveexec_b64 s[62:63], vcc
	s_cbranch_execz .LBB4_1872
; %bb.1852:                             ;   in Loop: Header=BB4_1822 Depth=3
	s_mov_b32 s9, 0
	s_mov_b64 s[64:65], 0
                                        ; implicit-def: $sgpr66_sgpr67
                                        ; implicit-def: $sgpr68_sgpr69
	s_branch .LBB4_1854
.LBB4_1853:                             ;   in Loop: Header=BB4_1854 Depth=4
	s_or_b64 exec, exec, s[72:73]
	s_and_b64 vcc, exec, vcc
	s_or_b64 s[64:65], vcc, s[64:65]
	s_andn2_b64 vcc, s[66:67], exec
	s_and_b64 s[66:67], s[68:69], exec
	s_or_b64 s[66:67], vcc, s[66:67]
	s_andn2_b64 exec, exec, s[64:65]
	s_cbranch_execz .LBB4_1870
.LBB4_1854:                             ;   Parent Loop BB4_47 Depth=1
                                        ;     Parent Loop BB4_271 Depth=2
                                        ;       Parent Loop BB4_1822 Depth=3
                                        ; =>      This Inner Loop Header: Depth=4
	s_add_i32 s9, s9, 1
	s_cmpk_lg_i32 s9, 0x2710
	s_cselect_b64 s[70:71], -1, 0
	s_and_b64 vcc, exec, s[70:71]
                                        ; implicit-def: $sgpr72_sgpr73
	s_cbranch_vccnz .LBB4_1856
; %bb.1855:                             ;   in Loop: Header=BB4_1854 Depth=4
	s_trap 2
	ds_read_b64 v[0:1], v0
	s_andn2_b64 s[70:71], s[70:71], exec
	s_mov_b32 s9, 0
	s_mov_b64 s[72:73], -1
	s_waitcnt vmcnt(0) lgkmcnt(0)
	flat_load_dword v0, v[0:1] glc
	s_waitcnt vmcnt(0) lgkmcnt(0)
	buffer_invl2
	buffer_wbinvl1_vol
	v_cmp_eq_u32_e32 vcc, 0, v0
	s_and_b64 vcc, vcc, exec
	s_or_b64 s[70:71], s[70:71], vcc
.LBB4_1856:                             ;   in Loop: Header=BB4_1854 Depth=4
	s_andn2_b64 s[68:69], s[68:69], exec
	s_and_b64 s[72:73], s[72:73], exec
	s_mov_b64 vcc, -1
	s_or_b64 s[68:69], s[68:69], s[72:73]
	s_and_saveexec_b64 s[72:73], s[70:71]
	s_cbranch_execz .LBB4_1853
; %bb.1857:                             ;   in Loop: Header=BB4_1854 Depth=4
	s_sleep 1
	s_trap 2
	ds_read_b64 v[0:1], v0
	v_accvgpr_read_b32 v4, a14
	v_accvgpr_read_b32 v5, a15
	s_andn2_b64 s[68:69], s[68:69], exec
	s_waitcnt lgkmcnt(0)
	v_cmp_ge_u64_e32 vcc, v[0:1], v[4:5]
	s_orn2_b64 vcc, vcc, exec
	s_branch .LBB4_1853
.LBB4_1858:                             ;   in Loop: Header=BB4_1822 Depth=3
	s_or_b64 exec, exec, s[36:37]
	s_and_saveexec_b64 s[28:29], s[10:11]
	s_cbranch_execz .LBB4_1846
.LBB4_1859:                             ;   in Loop: Header=BB4_1822 Depth=3
	s_and_saveexec_b64 vcc, s[46:47]
	s_xor_b64 s[36:37], exec, vcc
	s_cbranch_execz .LBB4_1881
; %bb.1860:                             ;   in Loop: Header=BB4_1822 Depth=3
	s_and_saveexec_b64 s[60:61], s[16:17]
	s_cbranch_execz .LBB4_1880
; %bb.1861:                             ;   in Loop: Header=BB4_1822 Depth=3
	s_mov_b64 s[64:65], exec
	v_mbcnt_lo_u32_b32 v0, s64, 0
	v_mbcnt_hi_u32_b32 v0, s65, v0
	v_cmp_eq_u32_e32 vcc, 0, v0
	s_waitcnt vmcnt(0) lgkmcnt(0)
	buffer_wbinvl1_vol
	s_and_saveexec_b64 s[62:63], vcc
	s_cbranch_execz .LBB4_1863
; %bb.1862:                             ;   in Loop: Header=BB4_1822 Depth=3
	s_bcnt1_i32_b64 s9, s[64:65]
	v_mov_b32_e32 v58, s9
	ds_add_u64 v0, v[58:59]
	s_trap 2
.LBB4_1863:                             ;   in Loop: Header=BB4_1822 Depth=3
	s_or_b64 exec, exec, s[62:63]
	s_trap 2
	ds_read_b64 v[0:1], v0
	v_accvgpr_read_b32 v4, a14
	v_accvgpr_read_b32 v5, a15
	v_add_co_u32_e32 v4, vcc, v4, v24
	v_addc_co_u32_e32 v5, vcc, 0, v5, vcc
	v_accvgpr_write_b32 a15, v5
	v_accvgpr_write_b32 a14, v4
	s_waitcnt lgkmcnt(0)
	v_cmp_lt_u64_e32 vcc, v[0:1], v[4:5]
	s_and_saveexec_b64 s[62:63], vcc
	s_cbranch_execz .LBB4_1879
; %bb.1864:                             ;   in Loop: Header=BB4_1822 Depth=3
	s_mov_b32 s9, 0
	s_mov_b64 s[64:65], 0
                                        ; implicit-def: $sgpr66_sgpr67
                                        ; implicit-def: $sgpr68_sgpr69
	s_branch .LBB4_1866
.LBB4_1865:                             ;   in Loop: Header=BB4_1866 Depth=4
	s_or_b64 exec, exec, s[72:73]
	s_and_b64 vcc, exec, vcc
	s_or_b64 s[64:65], vcc, s[64:65]
	s_andn2_b64 vcc, s[66:67], exec
	s_and_b64 s[66:67], s[68:69], exec
	s_or_b64 s[66:67], vcc, s[66:67]
	s_andn2_b64 exec, exec, s[64:65]
	s_cbranch_execz .LBB4_1877
.LBB4_1866:                             ;   Parent Loop BB4_47 Depth=1
                                        ;     Parent Loop BB4_271 Depth=2
                                        ;       Parent Loop BB4_1822 Depth=3
                                        ; =>      This Inner Loop Header: Depth=4
	s_add_i32 s9, s9, 1
	s_cmpk_lg_i32 s9, 0x2710
	s_cselect_b64 s[70:71], -1, 0
	s_and_b64 vcc, exec, s[70:71]
                                        ; implicit-def: $sgpr72_sgpr73
	s_cbranch_vccnz .LBB4_1868
; %bb.1867:                             ;   in Loop: Header=BB4_1866 Depth=4
	s_trap 2
	ds_read_b64 v[0:1], v0
	s_andn2_b64 s[70:71], s[70:71], exec
	s_mov_b32 s9, 0
	s_mov_b64 s[72:73], -1
	s_waitcnt lgkmcnt(0)
	flat_load_dword v0, v[0:1] glc
	s_waitcnt vmcnt(0) lgkmcnt(0)
	buffer_invl2
	buffer_wbinvl1_vol
	v_cmp_eq_u32_e32 vcc, 0, v0
	s_and_b64 vcc, vcc, exec
	s_or_b64 s[70:71], s[70:71], vcc
.LBB4_1868:                             ;   in Loop: Header=BB4_1866 Depth=4
	s_andn2_b64 s[68:69], s[68:69], exec
	s_and_b64 s[72:73], s[72:73], exec
	s_mov_b64 vcc, -1
	s_or_b64 s[68:69], s[68:69], s[72:73]
	s_and_saveexec_b64 s[72:73], s[70:71]
	s_cbranch_execz .LBB4_1865
; %bb.1869:                             ;   in Loop: Header=BB4_1866 Depth=4
	s_sleep 1
	s_trap 2
	ds_read_b64 v[0:1], v0
	v_accvgpr_read_b32 v4, a14
	v_accvgpr_read_b32 v5, a15
	s_andn2_b64 s[68:69], s[68:69], exec
	s_waitcnt lgkmcnt(0)
	v_cmp_ge_u64_e32 vcc, v[0:1], v[4:5]
	s_orn2_b64 vcc, vcc, exec
	s_branch .LBB4_1865
.LBB4_1870:                             ;   in Loop: Header=BB4_1822 Depth=3
	s_or_b64 exec, exec, s[64:65]
	s_and_saveexec_b64 vcc, s[66:67]
	s_xor_b64 vcc, exec, vcc
	s_cbranch_execz .LBB4_1872
; %bb.1871:                             ;   in Loop: Header=BB4_1822 Depth=3
	v_mov_b32_e32 v0, 1
	ds_write_b32 v0, v0
	s_trap 2
.LBB4_1872:                             ;   in Loop: Header=BB4_1822 Depth=3
	s_or_b64 exec, exec, s[62:63]
	;;#ASMSTART
	s_wakeup
	;;#ASMEND
.LBB4_1873:                             ;   in Loop: Header=BB4_1822 Depth=3
	s_or_b64 exec, exec, s[60:61]
.LBB4_1874:                             ;   in Loop: Header=BB4_1822 Depth=3
	s_andn2_saveexec_b64 vcc, s[36:37]
	s_cbranch_execz .LBB4_1876
; %bb.1875:                             ;   in Loop: Header=BB4_1822 Depth=3
	;;#ASMSTART
	s_waitcnt lgkmcnt(0) vmcnt(0)
	;;#ASMEND
	s_barrier
.LBB4_1876:                             ;   in Loop: Header=BB4_1822 Depth=3
	s_or_b64 exec, exec, vcc
	v_and_b32_e32 v0, 16, v60
	s_andn2_saveexec_b64 s[28:29], s[28:29]
	s_cbranch_execz .LBB4_1888
	s_branch .LBB4_1885
.LBB4_1877:                             ;   in Loop: Header=BB4_1822 Depth=3
	s_or_b64 exec, exec, s[64:65]
	s_and_saveexec_b64 vcc, s[66:67]
	s_xor_b64 vcc, exec, vcc
	s_cbranch_execz .LBB4_1879
; %bb.1878:                             ;   in Loop: Header=BB4_1822 Depth=3
	v_mov_b32_e32 v0, 1
	ds_write_b32 v0, v0
	s_trap 2
.LBB4_1879:                             ;   in Loop: Header=BB4_1822 Depth=3
	s_or_b64 exec, exec, s[62:63]
	;;#ASMSTART
	s_wakeup
	;;#ASMEND
.LBB4_1880:                             ;   in Loop: Header=BB4_1822 Depth=3
	s_or_b64 exec, exec, s[60:61]
.LBB4_1881:                             ;   in Loop: Header=BB4_1822 Depth=3
	s_andn2_saveexec_b64 vcc, s[36:37]
	s_cbranch_execz .LBB4_1883
; %bb.1882:                             ;   in Loop: Header=BB4_1822 Depth=3
	s_waitcnt vmcnt(0) lgkmcnt(0)
	buffer_wbinvl1_vol
	s_barrier
.LBB4_1883:                             ;   in Loop: Header=BB4_1822 Depth=3
	s_or_b64 exec, exec, vcc
	s_or_b64 exec, exec, s[28:29]
                                        ; implicit-def: $vgpr0
	s_and_saveexec_b64 s[28:29], s[50:51]
	s_xor_b64 s[28:29], exec, s[28:29]
	s_cbranch_execnz .LBB4_1847
.LBB4_1884:                             ;   in Loop: Header=BB4_1822 Depth=3
	s_andn2_saveexec_b64 s[28:29], s[28:29]
	s_cbranch_execz .LBB4_1888
.LBB4_1885:                             ;   in Loop: Header=BB4_1822 Depth=3
	s_trap 2
	ds_read_b32 v1, v0
	v_cmp_lt_i32_e32 vcc, 0, v2
	v_and_b32_e32 v3, 16, v60
	v_and_b32_e32 v0, 16, v60
	s_waitcnt lgkmcnt(0)
	v_readfirstlane_b32 s9, v1
	s_cmp_eq_u32 s9, 0
	s_cselect_b64 s[36:37], -1, 0
	s_and_b64 s[36:37], vcc, s[36:37]
	v_cmp_ne_u32_e32 vcc, 0, v3
	s_and_b64 s[36:37], vcc, s[36:37]
	s_and_saveexec_b64 vcc, s[36:37]
	s_cbranch_execz .LBB4_1887
; %bb.1886:                             ;   in Loop: Header=BB4_1822 Depth=3
	v_mov_b32_e32 v0, 1
	s_waitcnt vmcnt(0)
	buffer_wbinvl1_vol
.LBB4_1887:                             ;   in Loop: Header=BB4_1822 Depth=3
	s_or_b64 exec, exec, vcc
.LBB4_1888:                             ;   in Loop: Header=BB4_1822 Depth=3
	s_or_b64 exec, exec, s[28:29]
	v_cmp_ne_u32_e32 vcc, 0, v0
	s_xor_b64 s[28:29], s[12:13], -1
	s_and_b64 vcc, vcc, s[28:29]
	s_and_saveexec_b64 s[28:29], vcc
	s_cbranch_execz .LBB4_1890
; %bb.1889:                             ;   in Loop: Header=BB4_1822 Depth=3
	v_accvgpr_read_b32 v0, a20
	v_accvgpr_read_b32 v1, a21
	v_mov_b32_e32 v3, 1
	flat_store_dword v[0:1], v3
.LBB4_1890:                             ;   in Loop: Header=BB4_1822 Depth=3
	s_or_b64 exec, exec, s[28:29]
	v_and_b32_e32 v0, 48, v60
	v_cmp_ne_u32_e32 vcc, 0, v0
	s_and_saveexec_b64 s[28:29], vcc
	s_cbranch_execz .LBB4_1821
; %bb.1891:                             ;   in Loop: Header=BB4_1822 Depth=3
	v_add_co_u32_e32 v44, vcc, 2, v44
	v_addc_co_u32_e32 v45, vcc, 0, v45, vcc
	flat_store_dwordx2 v[48:49], v[44:45]
	s_branch .LBB4_1821
.LBB4_1892:                             ;   in Loop: Header=BB4_47 Depth=1
	v_accvgpr_read_b32 v2, a46
	v_accvgpr_read_b32 v3, a47
	v_mul_lo_u32 v0, v3, s76
	v_mul_lo_u32 v1, v2, s77
	v_mad_u64_u32 v[4:5], s[28:29], v2, s76, 0
	v_add3_u32 v5, v5, v1, v0
	v_accvgpr_read_b32 v0, a48
	v_accvgpr_read_b32 v1, a49
	v_sub_co_u32_e32 v0, vcc, v0, v4
	v_subb_co_u32_e32 v1, vcc, v1, v5, vcc
	v_cmp_lt_i64_e32 vcc, v[2:3], v[0:1]
	v_cndmask_b32_e32 v0, v0, v2, vcc
	v_max_i32_e32 v1, 0, v0
	v_accvgpr_write_b32 a51, v1
	v_add_u32_e32 v1, 31, v1
	v_lshrrev_b32_e32 v1, 1, v1
	v_and_b32_e32 v1, 0x3ffffff0, v1
	v_max_i32_e32 v2, s85, v1
	v_cmp_lt_i32_e32 vcc, 0, v0
	v_accvgpr_write_b32 a52, v2
	s_and_b64 s[28:29], s[52:53], vcc
	v_mov_b32_e32 v0, 0
	v_mov_b32_e32 v1, 0
	buffer_store_dword v1, off, s[0:3], s33 offset:152 ; 4-byte Folded Spill
	s_and_saveexec_b64 s[60:61], s[28:29]
	s_cbranch_execz .LBB4_4878
; %bb.1893:                             ;   in Loop: Header=BB4_47 Depth=1
	v_accvgpr_read_b32 v0, a41
	v_add_co_u32_e32 v0, vcc, v4, v0
	v_accvgpr_write_b32 a53, v0
	v_accvgpr_read_b32 v0, a50
	v_addc_co_u32_e32 v0, vcc, v5, v0, vcc
	v_accvgpr_write_b32 a54, v0
	s_mov_b32 s39, 1
	s_mov_b64 s[64:65], -1
	s_mov_b64 s[62:63], 0
	v_mov_b32_e32 v0, 0
	buffer_store_dword v0, off, s[0:3], s33 offset:152 ; 4-byte Folded Spill
	s_branch .LBB4_1895
.LBB4_1894:                             ;   in Loop: Header=BB4_1895 Depth=2
	s_or_b64 exec, exec, s[28:29]
	buffer_load_dword v1, off, s[0:3], s33 offset:152 ; 4-byte Folded Reload
	v_accvgpr_read_b32 v0, a52
	s_xor_b64 s[28:29], s[64:65], -1
	s_mov_b64 s[64:65], 0
	s_waitcnt vmcnt(0)
	v_add_u32_e32 v1, v0, v1
	v_accvgpr_read_b32 v0, a51
	v_cmp_ge_i32_e32 vcc, v1, v0
	s_or_b64 s[28:29], s[28:29], vcc
	s_and_b64 s[28:29], exec, s[28:29]
	s_or_b64 s[62:63], s[28:29], s[62:63]
	v_mov_b32_e32 v0, s39
	s_mov_b32 s39, 2
	buffer_store_dword v1, off, s[0:3], s33 offset:152 ; 4-byte Folded Spill
	s_andn2_b64 exec, exec, s[62:63]
	s_cbranch_execz .LBB4_4951
.LBB4_1895:                             ;   Parent Loop BB4_47 Depth=1
                                        ; =>  This Loop Header: Depth=2
                                        ;       Child Loop BB4_1903 Depth 3
                                        ;       Child Loop BB4_1929 Depth 3
	;; [unrolled: 1-line block ×9, first 2 shown]
                                        ;         Child Loop BB4_3175 Depth 4
                                        ;       Child Loop BB4_3185 Depth 3
                                        ;       Child Loop BB4_3413 Depth 3
                                        ;         Child Loop BB4_3442 Depth 4
                                        ;       Child Loop BB4_1976 Depth 3
                                        ;       Child Loop BB4_2771 Depth 3
	s_and_saveexec_b64 s[28:29], s[4:5]
	s_cbranch_execz .LBB4_1897
; %bb.1896:                             ;   in Loop: Header=BB4_1895 Depth=2
	s_trap 2
	buffer_load_dword v7, off, s[0:3], s33 offset:152 ; 4-byte Folded Reload
	ds_read2_b64 v[0:3], v0 offset1:1
	v_accvgpr_read_b32 v8, a53
	v_accvgpr_read_b32 v9, a54
	s_waitcnt lgkmcnt(0)
	ds_read_b64 v[4:5], v0
	v_add_co_u32_e32 v0, vcc, v0, v8
	v_addc_co_u32_e32 v1, vcc, v1, v9, vcc
	s_waitcnt vmcnt(0)
	v_ashrrev_i32_e32 v6, 31, v7
	v_add_co_u32_e32 v0, vcc, v0, v7
	v_addc_co_u32_e32 v1, vcc, v1, v6, vcc
	ds_write_b64 v0, v[0:1]
	v_add_co_u32_e32 v0, vcc, v2, v8
	v_addc_co_u32_e32 v1, vcc, v3, v9, vcc
	v_add_co_u32_e32 v0, vcc, v0, v7
	v_addc_co_u32_e32 v1, vcc, v1, v6, vcc
	ds_write_b64 v0, v[0:1]
	s_waitcnt lgkmcnt(2)
	v_add_co_u32_e32 v0, vcc, v4, v8
	v_addc_co_u32_e32 v1, vcc, v5, v9, vcc
	v_add_co_u32_e32 v0, vcc, v0, v7
	v_addc_co_u32_e32 v1, vcc, v1, v6, vcc
	v_cmp_ne_u64_e32 vcc, 0, v[4:5]
	v_cndmask_b32_e32 v1, 0, v1, vcc
	v_cndmask_b32_e32 v0, 0, v0, vcc
	ds_write_b64 v0, v[0:1]
.LBB4_1897:                             ;   in Loop: Header=BB4_1895 Depth=2
	s_or_b64 exec, exec, s[28:29]
	v_and_b32_e32 v0, 12, v60
	v_cmp_ne_u32_e32 vcc, 0, v0
	s_mov_b64 s[30:31], -1
	s_and_saveexec_b64 s[28:29], vcc
	s_cbranch_execz .LBB4_1909
; %bb.1898:                             ;   in Loop: Header=BB4_1895 Depth=2
	v_and_b32_e32 v4, 8, v60
	v_add_co_u32_e32 v0, vcc, v50, v4
	v_addc_co_u32_e32 v1, vcc, 0, v51, vcc
	v_add_co_u32_e32 v8, vcc, 2, v44
	v_addc_co_u32_e32 v9, vcc, 0, v45, vcc
	v_cmp_lt_u64_e32 vcc, v[0:1], v[8:9]
	v_mov_b32_e32 v0, 1
	s_and_saveexec_b64 s[30:31], vcc
	s_cbranch_execz .LBB4_1908
; %bb.1899:                             ;   in Loop: Header=BB4_1895 Depth=2
	s_mov_b64 s[34:35], 0
	v_mov_b32_e32 v0, 0
                                        ; implicit-def: $sgpr36_sgpr37
	s_branch .LBB4_1903
.LBB4_1900:                             ;   in Loop: Header=BB4_1903 Depth=3
	s_or_b64 exec, exec, s[72:73]
	v_mov_b32_e32 v2, 0
	s_orn2_b64 s[70:71], s[70:71], exec
.LBB4_1901:                             ;   in Loop: Header=BB4_1903 Depth=3
	s_or_b64 exec, exec, s[68:69]
	s_andn2_b64 vcc, s[36:37], exec
	s_and_b64 s[36:37], s[70:71], exec
	s_or_b64 s[36:37], vcc, s[36:37]
	v_mov_b32_e32 v0, v2
.LBB4_1902:                             ;   in Loop: Header=BB4_1903 Depth=3
	s_or_b64 exec, exec, s[66:67]
	s_waitcnt vmcnt(0) lgkmcnt(0)
	v_add_co_u32_e32 v2, vcc, v50, v4
	v_addc_co_u32_e32 v3, vcc, 0, v51, vcc
	v_cmp_ge_u64_e32 vcc, v[2:3], v[8:9]
	s_xor_b64 s[66:67], s[36:37], -1
	s_or_b64 vcc, s[66:67], vcc
	s_and_b64 vcc, exec, vcc
	s_or_b64 s[34:35], vcc, s[34:35]
	s_andn2_b64 exec, exec, s[34:35]
	s_cbranch_execz .LBB4_1907
.LBB4_1903:                             ;   Parent Loop BB4_47 Depth=1
                                        ;     Parent Loop BB4_1895 Depth=2
                                        ; =>    This Inner Loop Header: Depth=3
	s_sleep 1
	flat_load_dwordx2 v[50:51], v[48:49] glc
	v_and_b32_e32 v1, 64, v60
	v_cmp_eq_u32_e32 vcc, 0, v1
	s_andn2_b64 s[36:37], s[36:37], exec
	s_and_saveexec_b64 s[66:67], vcc
	s_cbranch_execz .LBB4_1902
; %bb.1904:                             ;   in Loop: Header=BB4_1903 Depth=3
	v_add_u32_e32 v2, 1, v0
	v_cmp_lt_i32_e32 vcc, s89, v0
	s_mov_b64 s[70:71], -1
	s_and_saveexec_b64 s[68:69], vcc
	s_cbranch_execz .LBB4_1901
; %bb.1905:                             ;   in Loop: Header=BB4_1903 Depth=3
	s_trap 2
	ds_read_b64 v[0:1], v0
	s_waitcnt vmcnt(0) lgkmcnt(0)
	flat_load_dword v0, v[0:1] glc
	s_waitcnt vmcnt(0) lgkmcnt(0)
	buffer_invl2
	buffer_wbinvl1_vol
	v_cmp_ne_u32_e32 vcc, 0, v0
	s_and_saveexec_b64 s[72:73], vcc
	s_cbranch_execz .LBB4_1900
; %bb.1906:                             ;   in Loop: Header=BB4_1903 Depth=3
	v_or_b32_e32 v60, 64, v60
	s_xor_b64 s[70:71], exec, -1
	ds_write_b32 v0, v0
	s_trap 2
	s_branch .LBB4_1900
.LBB4_1907:                             ;   in Loop: Header=BB4_1895 Depth=2
	s_or_b64 exec, exec, s[34:35]
	v_and_b32_e32 v0, 12, v60
.LBB4_1908:                             ;   in Loop: Header=BB4_1895 Depth=2
	s_or_b64 exec, exec, s[30:31]
	v_cmp_eq_u32_e32 vcc, 0, v0
	s_orn2_b64 s[30:31], vcc, exec
	;;#ASMSTART
	s_wakeup
	;;#ASMEND
.LBB4_1909:                             ;   in Loop: Header=BB4_1895 Depth=2
	s_or_b64 exec, exec, s[28:29]
	buffer_load_dword v1, off, s[0:3], s33 offset:152 ; 4-byte Folded Reload
	v_accvgpr_read_b32 v0, a51
	v_accvgpr_read_b32 v2, a52
	s_xor_b64 s[28:29], s[30:31], -1
	s_waitcnt vmcnt(0)
	v_sub_u32_e32 v0, v0, v1
	v_min_i32_e32 v2, v2, v0
	v_accvgpr_write_b32 a52, v2
	s_and_saveexec_b64 s[30:31], s[28:29]
	s_cbranch_execz .LBB4_1921
; %bb.1910:                             ;   in Loop: Header=BB4_1895 Depth=2
	v_and_b32_e32 v0, 0x108, v60
	v_cmp_ne_u32_e32 vcc, s90, v0
	v_and_b32_e32 v4, 7, v44
	s_and_saveexec_b64 s[28:29], vcc
	s_xor_b64 s[28:29], exec, s[28:29]
	s_andn2_saveexec_b64 s[28:29], s[28:29]
	s_cbranch_execz .LBB4_1912
; %bb.1911:                             ;   in Loop: Header=BB4_1895 Depth=2
	v_accvgpr_read_b32 v0, a12
	v_accvgpr_read_b32 v1, a13
	;; [unrolled: 1-line block ×3, first 2 shown]
	v_mad_u64_u32 v[0:1], vcc, v4, 24, v[0:1]
	v_ashrrev_i32_e32 v3, 31, v2
	flat_store_dwordx2 v[0:1], v[2:3] offset:8
.LBB4_1912:                             ;   in Loop: Header=BB4_1895 Depth=2
	s_or_b64 exec, exec, s[28:29]
	v_and_b32_e32 v0, 0x100, v60
	v_cmp_ne_u32_e32 vcc, 0, v0
	s_mov_b64 s[28:29], -1
                                        ; implicit-def: $vgpr8_vgpr9
	s_and_saveexec_b64 s[34:35], vcc
	s_cbranch_execz .LBB4_1916
; %bb.1913:                             ;   in Loop: Header=BB4_1895 Depth=2
	v_accvgpr_read_b32 v0, a12
	v_accvgpr_read_b32 v1, a13
	v_mad_u64_u32 v[10:11], s[28:29], v4, 24, v[0:1]
	v_mov_b32_e32 v0, v11
	v_mad_u64_u32 v[0:1], s[28:29], v59, 24, v[0:1]
	v_mov_b32_e32 v11, v0
	flat_load_dword v0, v[10:11]
                                        ; implicit-def: $vgpr8_vgpr9
	s_waitcnt vmcnt(0) lgkmcnt(0)
	v_cmp_ne_u32_e32 vcc, 1, v0
	v_cmp_eq_u32_e64 s[28:29], 1, v0
	s_and_saveexec_b64 s[36:37], s[28:29]
	s_cbranch_execz .LBB4_1915
; %bb.1914:                             ;   in Loop: Header=BB4_1895 Depth=2
	flat_load_dword v8, v[10:11] offset:4 glc
	s_waitcnt vmcnt(0) lgkmcnt(0)
	v_ashrrev_i32_e32 v9, 31, v8
.LBB4_1915:                             ;   in Loop: Header=BB4_1895 Depth=2
	s_or_b64 exec, exec, s[36:37]
	s_orn2_b64 s[28:29], vcc, exec
.LBB4_1916:                             ;   in Loop: Header=BB4_1895 Depth=2
	s_or_b64 exec, exec, s[34:35]
	s_and_saveexec_b64 vcc, s[28:29]
; %bb.1917:                             ;   in Loop: Header=BB4_1895 Depth=2
	v_accvgpr_read_b32 v2, a16
	v_accvgpr_read_b32 v1, a17
	v_mul_lo_u32 v0, v59, v2
	v_mul_lo_u32 v1, v4, v1
	v_mad_u64_u32 v[8:9], s[28:29], v4, v2, 0
	v_add3_u32 v9, v9, v1, v0
; %bb.1918:                             ;   in Loop: Header=BB4_1895 Depth=2
	s_or_b64 exec, exec, vcc
	v_accvgpr_read_b32 v0, a18
	v_accvgpr_read_b32 v1, a19
	v_add_co_u32_e32 v0, vcc, v0, v8
	v_addc_co_u32_e32 v1, vcc, v1, v9, vcc
	s_trap 2
	ds_write_b64 v0, v[0:1]
	v_and_b32_e32 v0, 0x2000, v60
	v_cmp_ne_u32_e32 vcc, 0, v0
	s_and_saveexec_b64 s[28:29], vcc
	s_cbranch_execz .LBB4_1920
; %bb.1919:                             ;   in Loop: Header=BB4_1895 Depth=2
	ds_read_b64 v[0:1], v0 offset:584
	s_waitcnt lgkmcnt(0)
	v_add_co_u32_e32 v0, vcc, 1, v0
	v_addc_co_u32_e32 v1, vcc, 0, v1, vcc
	ds_write_b64 v0, v[0:1] offset:584
.LBB4_1920:                             ;   in Loop: Header=BB4_1895 Depth=2
	s_or_b64 exec, exec, s[28:29]
	v_add_co_u32_e32 v44, vcc, 2, v44
	v_addc_co_u32_e32 v45, vcc, 0, v45, vcc
.LBB4_1921:                             ;   in Loop: Header=BB4_1895 Depth=2
	s_or_b64 exec, exec, s[30:31]
	s_and_saveexec_b64 s[28:29], s[10:11]
	s_cbranch_execz .LBB4_1940
; %bb.1922:                             ;   in Loop: Header=BB4_1895 Depth=2
	s_and_saveexec_b64 vcc, s[46:47]
	s_xor_b64 s[30:31], exec, vcc
	s_cbranch_execz .LBB4_1937
; %bb.1923:                             ;   in Loop: Header=BB4_1895 Depth=2
	s_and_saveexec_b64 s[34:35], s[16:17]
	s_cbranch_execz .LBB4_1936
; %bb.1924:                             ;   in Loop: Header=BB4_1895 Depth=2
	s_mov_b64 s[66:67], exec
	v_mbcnt_lo_u32_b32 v0, s66, 0
	v_mbcnt_hi_u32_b32 v0, s67, v0
	v_cmp_eq_u32_e32 vcc, 0, v0
	s_waitcnt vmcnt(0) lgkmcnt(0)
	buffer_wbinvl1_vol
	s_and_saveexec_b64 s[36:37], vcc
	s_cbranch_execz .LBB4_1926
; %bb.1925:                             ;   in Loop: Header=BB4_1895 Depth=2
	s_bcnt1_i32_b64 s9, s[66:67]
	v_mov_b32_e32 v58, s9
	ds_add_u64 v0, v[58:59]
	s_trap 2
.LBB4_1926:                             ;   in Loop: Header=BB4_1895 Depth=2
	s_or_b64 exec, exec, s[36:37]
	s_trap 2
	ds_read_b64 v[0:1], v0
	v_accvgpr_read_b32 v2, a14
	v_accvgpr_read_b32 v3, a15
	v_add_co_u32_e32 v2, vcc, v2, v24
	v_addc_co_u32_e32 v3, vcc, 0, v3, vcc
	v_accvgpr_write_b32 a15, v3
	v_accvgpr_write_b32 a14, v2
	s_waitcnt lgkmcnt(0)
	v_cmp_lt_u64_e32 vcc, v[0:1], v[2:3]
	s_and_saveexec_b64 s[36:37], vcc
	s_cbranch_execz .LBB4_1935
; %bb.1927:                             ;   in Loop: Header=BB4_1895 Depth=2
	s_mov_b32 s9, 0
	s_mov_b64 s[66:67], 0
                                        ; implicit-def: $sgpr68_sgpr69
                                        ; implicit-def: $sgpr70_sgpr71
	s_branch .LBB4_1929
.LBB4_1928:                             ;   in Loop: Header=BB4_1929 Depth=3
	s_or_b64 exec, exec, s[74:75]
	s_and_b64 vcc, exec, vcc
	s_or_b64 s[66:67], vcc, s[66:67]
	s_andn2_b64 vcc, s[68:69], exec
	s_and_b64 s[68:69], s[70:71], exec
	s_or_b64 s[68:69], vcc, s[68:69]
	s_andn2_b64 exec, exec, s[66:67]
	s_cbranch_execz .LBB4_1933
.LBB4_1929:                             ;   Parent Loop BB4_47 Depth=1
                                        ;     Parent Loop BB4_1895 Depth=2
                                        ; =>    This Inner Loop Header: Depth=3
	s_add_i32 s9, s9, 1
	s_cmpk_lg_i32 s9, 0x2710
	s_cselect_b64 s[72:73], -1, 0
	s_and_b64 vcc, exec, s[72:73]
                                        ; implicit-def: $sgpr74_sgpr75
	s_cbranch_vccnz .LBB4_1931
; %bb.1930:                             ;   in Loop: Header=BB4_1929 Depth=3
	s_trap 2
	ds_read_b64 v[0:1], v0
	s_andn2_b64 s[72:73], s[72:73], exec
	s_mov_b32 s9, 0
	s_mov_b64 s[74:75], -1
	s_waitcnt lgkmcnt(0)
	flat_load_dword v0, v[0:1] glc
	s_waitcnt vmcnt(0) lgkmcnt(0)
	buffer_invl2
	buffer_wbinvl1_vol
	v_cmp_eq_u32_e32 vcc, 0, v0
	s_and_b64 vcc, vcc, exec
	s_or_b64 s[72:73], s[72:73], vcc
.LBB4_1931:                             ;   in Loop: Header=BB4_1929 Depth=3
	s_andn2_b64 s[70:71], s[70:71], exec
	s_and_b64 s[74:75], s[74:75], exec
	s_mov_b64 vcc, -1
	s_or_b64 s[70:71], s[70:71], s[74:75]
	s_and_saveexec_b64 s[74:75], s[72:73]
	s_cbranch_execz .LBB4_1928
; %bb.1932:                             ;   in Loop: Header=BB4_1929 Depth=3
	s_sleep 1
	s_trap 2
	ds_read_b64 v[0:1], v0
	v_accvgpr_read_b32 v2, a14
	v_accvgpr_read_b32 v3, a15
	s_andn2_b64 s[70:71], s[70:71], exec
	s_waitcnt lgkmcnt(0)
	v_cmp_ge_u64_e32 vcc, v[0:1], v[2:3]
	s_orn2_b64 vcc, vcc, exec
	s_branch .LBB4_1928
.LBB4_1933:                             ;   in Loop: Header=BB4_1895 Depth=2
	s_or_b64 exec, exec, s[66:67]
	s_and_saveexec_b64 vcc, s[68:69]
	s_xor_b64 vcc, exec, vcc
	s_cbranch_execz .LBB4_1935
; %bb.1934:                             ;   in Loop: Header=BB4_1895 Depth=2
	v_mov_b32_e32 v0, 1
	ds_write_b32 v0, v0
	s_trap 2
.LBB4_1935:                             ;   in Loop: Header=BB4_1895 Depth=2
	s_or_b64 exec, exec, s[36:37]
	;;#ASMSTART
	s_wakeup
	;;#ASMEND
.LBB4_1936:                             ;   in Loop: Header=BB4_1895 Depth=2
	s_or_b64 exec, exec, s[34:35]
.LBB4_1937:                             ;   in Loop: Header=BB4_1895 Depth=2
	s_andn2_saveexec_b64 vcc, s[30:31]
	s_cbranch_execz .LBB4_1939
; %bb.1938:                             ;   in Loop: Header=BB4_1895 Depth=2
	s_waitcnt vmcnt(0) lgkmcnt(0)
	buffer_wbinvl1_vol
	s_barrier
.LBB4_1939:                             ;   in Loop: Header=BB4_1895 Depth=2
	s_or_b64 exec, exec, vcc
.LBB4_1940:                             ;   in Loop: Header=BB4_1895 Depth=2
	s_or_b64 exec, exec, s[28:29]
	s_trap 2
	ds_read_b32 v0, v0
	v_and_b32_e32 v1, 0x4000, v60
	v_cmp_ne_u32_e32 vcc, 0, v1
	s_xor_b64 s[28:29], s[6:7], -1
	s_and_b64 vcc, s[28:29], vcc
	s_and_saveexec_b64 s[28:29], vcc
	s_cbranch_execz .LBB4_1959
; %bb.1941:                             ;   in Loop: Header=BB4_1895 Depth=2
	s_and_saveexec_b64 vcc, s[46:47]
	s_xor_b64 s[30:31], exec, vcc
	s_cbranch_execz .LBB4_1956
; %bb.1942:                             ;   in Loop: Header=BB4_1895 Depth=2
	s_and_saveexec_b64 s[34:35], s[16:17]
	s_cbranch_execz .LBB4_1955
; %bb.1943:                             ;   in Loop: Header=BB4_1895 Depth=2
	s_mov_b64 s[66:67], exec
	v_mbcnt_lo_u32_b32 v1, s66, 0
	v_mbcnt_hi_u32_b32 v1, s67, v1
	v_cmp_eq_u32_e32 vcc, 0, v1
	s_waitcnt vmcnt(0) lgkmcnt(0)
	buffer_wbinvl1_vol
	s_and_saveexec_b64 s[36:37], vcc
	s_cbranch_execz .LBB4_1945
; %bb.1944:                             ;   in Loop: Header=BB4_1895 Depth=2
	s_bcnt1_i32_b64 s9, s[66:67]
	v_mov_b32_e32 v58, s9
	ds_add_u64 v0, v[58:59]
	s_trap 2
.LBB4_1945:                             ;   in Loop: Header=BB4_1895 Depth=2
	s_or_b64 exec, exec, s[36:37]
	s_trap 2
	ds_read_b64 v[2:3], v0
	v_accvgpr_read_b32 v4, a14
	v_accvgpr_read_b32 v5, a15
	v_add_co_u32_e32 v4, vcc, v4, v24
	v_addc_co_u32_e32 v5, vcc, 0, v5, vcc
	v_accvgpr_write_b32 a15, v5
	v_accvgpr_write_b32 a14, v4
	s_waitcnt lgkmcnt(0)
	v_cmp_lt_u64_e32 vcc, v[2:3], v[4:5]
	s_and_saveexec_b64 s[36:37], vcc
	s_cbranch_execz .LBB4_1954
; %bb.1946:                             ;   in Loop: Header=BB4_1895 Depth=2
	s_mov_b32 s9, 0
	s_mov_b64 s[66:67], 0
                                        ; implicit-def: $sgpr68_sgpr69
                                        ; implicit-def: $sgpr70_sgpr71
	s_branch .LBB4_1948
.LBB4_1947:                             ;   in Loop: Header=BB4_1948 Depth=3
	s_or_b64 exec, exec, s[74:75]
	s_and_b64 vcc, exec, vcc
	s_or_b64 s[66:67], vcc, s[66:67]
	s_andn2_b64 vcc, s[68:69], exec
	s_and_b64 s[68:69], s[70:71], exec
	s_or_b64 s[68:69], vcc, s[68:69]
	s_andn2_b64 exec, exec, s[66:67]
	s_cbranch_execz .LBB4_1952
.LBB4_1948:                             ;   Parent Loop BB4_47 Depth=1
                                        ;     Parent Loop BB4_1895 Depth=2
                                        ; =>    This Inner Loop Header: Depth=3
	s_add_i32 s9, s9, 1
	s_cmpk_lg_i32 s9, 0x2710
	s_cselect_b64 s[72:73], -1, 0
	s_and_b64 vcc, exec, s[72:73]
                                        ; implicit-def: $sgpr74_sgpr75
	s_cbranch_vccnz .LBB4_1950
; %bb.1949:                             ;   in Loop: Header=BB4_1948 Depth=3
	s_trap 2
	ds_read_b64 v[2:3], v0
	s_andn2_b64 s[72:73], s[72:73], exec
	s_mov_b32 s9, 0
	s_mov_b64 s[74:75], -1
	s_waitcnt lgkmcnt(0)
	flat_load_dword v1, v[2:3] glc
	s_waitcnt vmcnt(0) lgkmcnt(0)
	buffer_invl2
	buffer_wbinvl1_vol
	v_cmp_eq_u32_e32 vcc, 0, v1
	s_and_b64 vcc, vcc, exec
	s_or_b64 s[72:73], s[72:73], vcc
.LBB4_1950:                             ;   in Loop: Header=BB4_1948 Depth=3
	s_andn2_b64 s[70:71], s[70:71], exec
	s_and_b64 s[74:75], s[74:75], exec
	s_mov_b64 vcc, -1
	s_or_b64 s[70:71], s[70:71], s[74:75]
	s_and_saveexec_b64 s[74:75], s[72:73]
	s_cbranch_execz .LBB4_1947
; %bb.1951:                             ;   in Loop: Header=BB4_1948 Depth=3
	s_sleep 1
	s_trap 2
	ds_read_b64 v[2:3], v0
	v_accvgpr_read_b32 v4, a14
	v_accvgpr_read_b32 v5, a15
	s_andn2_b64 s[70:71], s[70:71], exec
	s_waitcnt lgkmcnt(0)
	v_cmp_ge_u64_e32 vcc, v[2:3], v[4:5]
	s_orn2_b64 vcc, vcc, exec
	s_branch .LBB4_1947
.LBB4_1952:                             ;   in Loop: Header=BB4_1895 Depth=2
	s_or_b64 exec, exec, s[66:67]
	s_and_saveexec_b64 vcc, s[68:69]
	s_xor_b64 vcc, exec, vcc
	s_cbranch_execz .LBB4_1954
; %bb.1953:                             ;   in Loop: Header=BB4_1895 Depth=2
	v_mov_b32_e32 v1, 1
	ds_write_b32 v0, v1
	s_trap 2
.LBB4_1954:                             ;   in Loop: Header=BB4_1895 Depth=2
	s_or_b64 exec, exec, s[36:37]
	;;#ASMSTART
	s_wakeup
	;;#ASMEND
.LBB4_1955:                             ;   in Loop: Header=BB4_1895 Depth=2
	s_or_b64 exec, exec, s[34:35]
.LBB4_1956:                             ;   in Loop: Header=BB4_1895 Depth=2
	s_andn2_saveexec_b64 vcc, s[30:31]
	s_cbranch_execz .LBB4_1958
; %bb.1957:                             ;   in Loop: Header=BB4_1895 Depth=2
	s_waitcnt vmcnt(0) lgkmcnt(0)
	buffer_wbinvl1_vol
	s_barrier
.LBB4_1958:                             ;   in Loop: Header=BB4_1895 Depth=2
	s_or_b64 exec, exec, vcc
.LBB4_1959:                             ;   in Loop: Header=BB4_1895 Depth=2
	s_or_b64 exec, exec, s[28:29]
	s_trap 2
	s_waitcnt lgkmcnt(0)
	ds_read_b64 v[2:3], v0
	v_mov_b32_e32 v1, 0
	buffer_store_dword v1, off, s[0:3], s33 offset:168 ; 4-byte Folded Spill
	s_waitcnt lgkmcnt(0)
	v_readfirstlane_b32 s28, v2
	v_readfirstlane_b32 s29, v3
	s_cmp_eq_u64 s[28:29], 0
	s_cselect_b64 s[28:29], -1, 0
	s_or_b64 s[28:29], s[28:29], s[28:29]
	s_and_b64 vcc, exec, s[28:29]
	s_cbranch_vccnz .LBB4_1968
; %bb.1960:                             ;   in Loop: Header=BB4_1895 Depth=2
	s_trap 2
	ds_read_b64 v[2:3], v0
	v_cmp_eq_u32_e64 s[28:29], 0, v0
	v_accvgpr_read_b32 v0, a52
	v_cndmask_b32_e64 v0, 0, v0, s[28:29]
	buffer_store_dword v0, off, s[0:3], s33 offset:168 ; 4-byte Folded Spill
	s_waitcnt lgkmcnt(0)
	v_cmp_ne_u64_e32 vcc, 0, v[2:3]
	s_cbranch_vccz .LBB4_1980
; %bb.1961:                             ;   in Loop: Header=BB4_1895 Depth=2
	s_mov_b64 s[30:31], -1
	s_and_saveexec_b64 s[28:29], s[22:23]
	s_cbranch_execz .LBB4_1963
; %bb.1962:                             ;   in Loop: Header=BB4_1895 Depth=2
	ds_read_b32 v0, v0 offset:720
	s_waitcnt lgkmcnt(0)
	v_and_b32_e32 v0, 15, v0
	v_cmp_eq_u32_e32 vcc, 0, v0
	s_orn2_b64 s[30:31], vcc, exec
.LBB4_1963:                             ;   in Loop: Header=BB4_1895 Depth=2
	s_or_b64 exec, exec, s[28:29]
	s_and_saveexec_b64 s[28:29], s[22:23]
	s_cbranch_execz .LBB4_1965
; %bb.1964:                             ;   in Loop: Header=BB4_1895 Depth=2
	ds_read_b32 v0, v0 offset:784
	s_waitcnt lgkmcnt(0)
	v_and_b32_e32 v0, 15, v0
	v_cmp_eq_u32_e32 vcc, 0, v0
	s_and_b64 vcc, s[30:31], vcc
	s_andn2_b64 s[30:31], s[30:31], exec
	s_and_b64 vcc, vcc, exec
	s_or_b64 s[30:31], s[30:31], vcc
.LBB4_1965:                             ;   in Loop: Header=BB4_1895 Depth=2
	s_or_b64 exec, exec, s[28:29]
	s_xor_b64 vcc, s[30:31], -1
	v_cndmask_b32_e64 v0, 0, 1, vcc
	;;#ASMSTART
	;;#ASMEND
	buffer_load_dword v16, off, s[0:3], s33 offset:168 ; 4-byte Folded Reload
	s_mov_b64 s[28:29], -1
	v_cmp_ne_u32_e32 vcc, 0, v0
	v_mov_b32_e32 v0, 0
	v_mov_b32_e32 v17, v40
	v_accvgpr_read_b32 v4, a29
	s_cbranch_vccz .LBB4_1981
; %bb.1966:                             ;   in Loop: Header=BB4_1895 Depth=2
	s_and_saveexec_b64 s[34:35], s[28:29]
	s_cbranch_execnz .LBB4_3182
.LBB4_1967:                             ;   in Loop: Header=BB4_1895 Depth=2
	s_or_b64 exec, exec, s[34:35]
.LBB4_1968:                             ;   in Loop: Header=BB4_1895 Depth=2
	s_and_saveexec_b64 s[28:29], s[10:11]
	s_cbranch_execz .LBB4_2759
.LBB4_1969:                             ;   in Loop: Header=BB4_1895 Depth=2
	s_and_saveexec_b64 vcc, s[46:47]
	s_xor_b64 s[30:31], exec, vcc
	s_cbranch_execz .LBB4_2756
; %bb.1970:                             ;   in Loop: Header=BB4_1895 Depth=2
	s_and_saveexec_b64 s[34:35], s[16:17]
	s_cbranch_execz .LBB4_2755
; %bb.1971:                             ;   in Loop: Header=BB4_1895 Depth=2
	s_mov_b64 s[66:67], exec
	v_mbcnt_lo_u32_b32 v0, s66, 0
	v_mbcnt_hi_u32_b32 v0, s67, v0
	v_cmp_eq_u32_e32 vcc, 0, v0
	s_waitcnt vmcnt(0) lgkmcnt(0)
	buffer_wbinvl1_vol
	s_and_saveexec_b64 s[36:37], vcc
	s_cbranch_execz .LBB4_1973
; %bb.1972:                             ;   in Loop: Header=BB4_1895 Depth=2
	s_bcnt1_i32_b64 s9, s[66:67]
	v_mov_b32_e32 v58, s9
	ds_add_u64 v0, v[58:59]
	s_trap 2
.LBB4_1973:                             ;   in Loop: Header=BB4_1895 Depth=2
	s_or_b64 exec, exec, s[36:37]
	s_trap 2
	ds_read_b64 v[0:1], v0
	v_accvgpr_read_b32 v2, a14
	v_accvgpr_read_b32 v3, a15
	v_add_co_u32_e32 v2, vcc, v2, v24
	v_addc_co_u32_e32 v3, vcc, 0, v3, vcc
	v_accvgpr_write_b32 a15, v3
	v_accvgpr_write_b32 a14, v2
	s_waitcnt lgkmcnt(0)
	v_cmp_lt_u64_e32 vcc, v[0:1], v[2:3]
	s_and_saveexec_b64 s[36:37], vcc
	s_cbranch_execz .LBB4_2754
; %bb.1974:                             ;   in Loop: Header=BB4_1895 Depth=2
	s_mov_b32 s9, 0
	s_mov_b64 s[66:67], 0
                                        ; implicit-def: $sgpr68_sgpr69
                                        ; implicit-def: $sgpr70_sgpr71
	s_branch .LBB4_1976
.LBB4_1975:                             ;   in Loop: Header=BB4_1976 Depth=3
	s_or_b64 exec, exec, s[74:75]
	s_and_b64 vcc, exec, vcc
	s_or_b64 s[66:67], vcc, s[66:67]
	s_andn2_b64 vcc, s[68:69], exec
	s_and_b64 s[68:69], s[70:71], exec
	s_or_b64 s[68:69], vcc, s[68:69]
	s_andn2_b64 exec, exec, s[66:67]
	s_cbranch_execz .LBB4_2752
.LBB4_1976:                             ;   Parent Loop BB4_47 Depth=1
                                        ;     Parent Loop BB4_1895 Depth=2
                                        ; =>    This Inner Loop Header: Depth=3
	s_add_i32 s9, s9, 1
	s_cmpk_lg_i32 s9, 0x2710
	s_cselect_b64 s[72:73], -1, 0
	s_and_b64 vcc, exec, s[72:73]
                                        ; implicit-def: $sgpr74_sgpr75
	s_cbranch_vccnz .LBB4_1978
; %bb.1977:                             ;   in Loop: Header=BB4_1976 Depth=3
	s_trap 2
	ds_read_b64 v[0:1], v0
	s_andn2_b64 s[72:73], s[72:73], exec
	s_mov_b32 s9, 0
	s_mov_b64 s[74:75], -1
	s_waitcnt lgkmcnt(0)
	flat_load_dword v0, v[0:1] glc
	s_waitcnt vmcnt(0) lgkmcnt(0)
	buffer_invl2
	buffer_wbinvl1_vol
	v_cmp_eq_u32_e32 vcc, 0, v0
	s_and_b64 vcc, vcc, exec
	s_or_b64 s[72:73], s[72:73], vcc
.LBB4_1978:                             ;   in Loop: Header=BB4_1976 Depth=3
	s_andn2_b64 s[70:71], s[70:71], exec
	s_and_b64 s[74:75], s[74:75], exec
	s_mov_b64 vcc, -1
	s_or_b64 s[70:71], s[70:71], s[74:75]
	s_and_saveexec_b64 s[74:75], s[72:73]
	s_cbranch_execz .LBB4_1975
; %bb.1979:                             ;   in Loop: Header=BB4_1976 Depth=3
	s_sleep 1
	s_trap 2
	ds_read_b64 v[0:1], v0
	v_accvgpr_read_b32 v2, a14
	v_accvgpr_read_b32 v3, a15
	s_andn2_b64 s[70:71], s[70:71], exec
	s_waitcnt lgkmcnt(0)
	v_cmp_ge_u64_e32 vcc, v[0:1], v[2:3]
	s_orn2_b64 vcc, vcc, exec
	s_branch .LBB4_1975
.LBB4_1980:                             ;   in Loop: Header=BB4_1895 Depth=2
	s_cbranch_execnz .LBB4_3445
	s_branch .LBB4_1968
.LBB4_1981:                             ;   in Loop: Header=BB4_1895 Depth=2
	buffer_load_dword v1, off, s[0:3], s33 offset:168 ; 4-byte Folded Reload
	s_waitcnt vmcnt(0)
	v_ashrrev_i32_e32 v0, 31, v1
	v_lshrrev_b32_e32 v0, 21, v0
	v_add_u32_e32 v0, v1, v0
	v_ashrrev_i32_e32 v1, 11, v0
	v_accvgpr_read_b32 v0, a29
	v_sub_u32_e32 v27, v1, v0
	v_cmp_lt_i32_e32 vcc, 0, v27
	s_and_saveexec_b64 s[30:31], vcc
	s_cbranch_execz .LBB4_2787
; %bb.1982:                             ;   in Loop: Header=BB4_1895 Depth=2
	v_accvgpr_write_b32 a55, v1
	s_trap 2
	ds_read_b128 v[0:3], v0
	v_accvgpr_read_b32 v4, a42
	v_accvgpr_read_b32 v5, a43
	s_mov_b64 s[34:35], 0
	s_waitcnt lgkmcnt(0)
	v_add_co_u32_e32 v28, vcc, v0, v4
	v_addc_co_u32_e32 v29, vcc, v1, v5, vcc
	v_add_co_u32_e32 v24, vcc, v2, v4
	v_addc_co_u32_e32 v25, vcc, v3, v5, vcc
	v_pk_mov_b32 v[40:41], v[28:29], v[28:29] op_sel:[0,1]
	v_pk_mov_b32 v[4:5], v[24:25], v[24:25] op_sel:[0,1]
	s_branch .LBB4_1984
.LBB4_1983:                             ;   in Loop: Header=BB4_1984 Depth=3
	s_or_b64 exec, exec, s[28:29]
	v_lshlrev_b32_e32 v1, 8, v26
	v_perm_b32 v1, v1, v30, s94
	v_lshl_or_b32 v1, v36, 16, v1
	v_lshl_or_b32 v21, v21, 24, v1
	buffer_load_dword v1, off, s[0:3], s33 offset:160 ; 4-byte Folded Reload
	buffer_load_dword v9, off, s[0:3], s33 offset:164 ; 4-byte Folded Reload
	;; [unrolled: 1-line block ×3, first 2 shown]
	s_waitcnt vmcnt(2)
	v_and_b32_e32 v1, 0xff, v1
	s_waitcnt vmcnt(1)
	v_lshlrev_b32_e32 v9, 24, v9
	s_waitcnt vmcnt(0)
	v_lshlrev_b32_e32 v10, 8, v10
	v_lshlrev_b32_e32 v1, 16, v1
	v_perm_b32 v10, v10, v55, s94
	v_or3_b32 v20, v9, v1, v10
	v_and_b32_e32 v1, 0xff, v53
	v_lshlrev_b32_e32 v10, 8, v52
	v_lshlrev_b32_e32 v9, 24, v38
	;; [unrolled: 1-line block ×3, first 2 shown]
	v_perm_b32 v10, v10, v37, s94
	v_or3_b32 v22, v9, v1, v10
	v_lshlrev_b32_e32 v1, 8, v43
	v_perm_b32 v1, v1, v3, s94
	v_lshl_or_b32 v1, v2, 16, v1
	v_lshl_or_b32 v23, v19, 24, v1
	v_lshlrev_b32_e32 v1, 8, v18
	v_perm_b32 v0, v1, v0, s94
	v_lshl_or_b32 v0, v16, 16, v0
	v_lshl_or_b32 v1, v13, 24, v0
	v_and_b32_e32 v0, 0xff, v56
	v_lshlrev_b32_e32 v3, 8, v7
	v_lshlrev_b32_e32 v2, 24, v57
	;; [unrolled: 1-line block ×3, first 2 shown]
	v_perm_b32 v3, v3, v6, s94
	v_or3_b32 v0, v2, v0, v3
	v_and_b32_e32 v2, 0xff, v54
	v_lshlrev_b32_e32 v6, 8, v42
	v_lshlrev_b32_e32 v3, 24, v39
	;; [unrolled: 1-line block ×3, first 2 shown]
	v_perm_b32 v6, v6, v17, s94
	v_or3_b32 v2, v3, v2, v6
	v_lshlrev_b32_e32 v3, 8, v12
	v_perm_b32 v3, v3, v46, s94
	v_lshl_or_b32 v3, v31, 16, v3
	v_lshl_or_b32 v3, v8, 24, v3
	global_store_dwordx4 v[40:41], v[20:23], off glc slc
	global_store_dwordx4 v[40:41], v[0:3], off offset:1024 glc slc
	global_store_dwordx4 v[4:5], v[20:23], off glc slc
	global_store_dwordx4 v[4:5], v[0:3], off offset:1024 glc slc
	s_nop 0
	v_accvgpr_read_b32 v1, a31
	v_add_co_u32_e32 v28, vcc, v28, v1
	v_accvgpr_read_b32 v2, a32
	v_addc_co_u32_e32 v29, vcc, v29, v2, vcc
	v_add_co_u32_e32 v24, vcc, v24, v1
	v_addc_co_u32_e32 v25, vcc, v25, v2, vcc
	v_add_co_u32_e32 v40, vcc, v40, v1
	v_accvgpr_read_b32 v0, a22
	v_addc_co_u32_e32 v41, vcc, v41, v2, vcc
	v_sub_u32_e32 v27, v27, v0
	v_cmp_gt_i32_e32 vcc, 1, v27
	s_or_b64 s[34:35], vcc, s[34:35]
	v_add_co_u32_e32 v4, vcc, v4, v1
	v_addc_co_u32_e32 v5, vcc, v5, v2, vcc
	s_andn2_b64 exec, exec, s[34:35]
	s_cbranch_execz .LBB4_2786
.LBB4_1984:                             ;   Parent Loop BB4_47 Depth=1
                                        ;     Parent Loop BB4_1895 Depth=2
                                        ; =>    This Inner Loop Header: Depth=3
	global_load_dwordx4 v[20:23], v[28:29], off glc slc
	global_load_dwordx4 v[12:15], v[28:29], off offset:1024 glc slc
	global_load_dwordx4 v[16:19], v[24:25], off glc slc
	global_load_dwordx4 v[8:11], v[24:25], off offset:1024 glc slc
	v_mov_b32_e32 v0, 0
	v_mov_b32_e32 v2, 0
	s_waitcnt vmcnt(3)
	v_cmp_ne_u16_sdwa vcc, v20, v59 src0_sel:BYTE_0 src1_sel:DWORD
	s_and_saveexec_b64 s[28:29], vcc
	s_cbranch_execz .LBB4_1990
; %bb.1985:                             ;   in Loop: Header=BB4_1984 Depth=3
	v_cmp_ne_u16_sdwa vcc, v20, s91 src0_sel:BYTE_0 src1_sel:DWORD
	v_bfrev_b32_e32 v2, 1
	s_and_saveexec_b64 s[36:37], vcc
	s_cbranch_execz .LBB4_1989
; %bb.1986:                             ;   in Loop: Header=BB4_1984 Depth=3
	v_and_b32_e32 v1, 0x7f, v20
	v_cmp_ne_u32_e32 vcc, s92, v1
	v_mov_b32_e32 v2, 0x7f800001
	s_and_saveexec_b64 s[66:67], vcc
	s_cbranch_execz .LBB4_1988
; %bb.1987:                             ;   in Loop: Header=BB4_1984 Depth=3
	v_and_b32_e32 v2, 7, v20
	v_ffbh_u32_e32 v2, v2
	v_min_u32_e32 v2, 32, v2
	v_lshrrev_b32_e32 v3, 3, v1
	v_subrev_u32_e32 v6, 28, v2
	v_sub_u32_e32 v2, 29, v2
	v_cmp_gt_u32_e32 vcc, 8, v1
	v_cndmask_b32_e32 v1, v3, v2, vcc
	v_cndmask_b32_e32 v2, 0, v6, vcc
	v_lshlrev_b64 v[2:3], v2, v[20:21]
	v_lshlrev_b32_e32 v2, 20, v2
	v_lshlrev_b32_e32 v3, 24, v20
	v_bfrev_b32_e32 v6, 60
	v_and_b32_e32 v2, 0x700000, v2
	v_and_b32_e32 v3, 0x80000000, v3
	v_lshl_add_u32 v1, v1, 23, v6
	v_or3_b32 v2, v3, v1, v2
.LBB4_1988:                             ;   in Loop: Header=BB4_1984 Depth=3
	s_or_b64 exec, exec, s[66:67]
.LBB4_1989:                             ;   in Loop: Header=BB4_1984 Depth=3
	s_or_b64 exec, exec, s[36:37]
.LBB4_1990:                             ;   in Loop: Header=BB4_1984 Depth=3
	s_or_b64 exec, exec, s[28:29]
	s_waitcnt vmcnt(1)
	v_cmp_ne_u16_sdwa vcc, v16, v59 src0_sel:BYTE_0 src1_sel:DWORD
	s_and_saveexec_b64 s[28:29], vcc
	s_cbranch_execz .LBB4_1996
; %bb.1991:                             ;   in Loop: Header=BB4_1984 Depth=3
	v_cmp_ne_u16_sdwa vcc, v16, s91 src0_sel:BYTE_0 src1_sel:DWORD
	v_bfrev_b32_e32 v0, 1
	s_and_saveexec_b64 s[36:37], vcc
	s_cbranch_execz .LBB4_1995
; %bb.1992:                             ;   in Loop: Header=BB4_1984 Depth=3
	v_and_b32_e32 v1, 0x7f, v16
	v_cmp_ne_u32_e32 vcc, s92, v1
	v_mov_b32_e32 v0, 0x7f800001
	s_and_saveexec_b64 s[66:67], vcc
	s_cbranch_execz .LBB4_1994
; %bb.1993:                             ;   in Loop: Header=BB4_1984 Depth=3
	v_and_b32_e32 v0, 7, v16
	v_ffbh_u32_e32 v0, v0
	v_min_u32_e32 v0, 32, v0
	v_lshrrev_b32_e32 v3, 3, v1
	v_subrev_u32_e32 v6, 28, v0
	v_sub_u32_e32 v0, 29, v0
	v_cmp_gt_u32_e32 vcc, 8, v1
	v_cndmask_b32_e32 v3, v3, v0, vcc
	v_cndmask_b32_e32 v0, 0, v6, vcc
	v_lshlrev_b64 v[0:1], v0, v[16:17]
	v_lshlrev_b32_e32 v0, 20, v0
	v_lshlrev_b32_e32 v1, 24, v16
	v_bfrev_b32_e32 v6, 60
	v_and_b32_e32 v0, 0x700000, v0
	v_and_b32_e32 v1, 0x80000000, v1
	v_lshl_add_u32 v3, v3, 23, v6
	v_or3_b32 v0, v1, v3, v0
.LBB4_1994:                             ;   in Loop: Header=BB4_1984 Depth=3
	s_or_b64 exec, exec, s[66:67]
.LBB4_1995:                             ;   in Loop: Header=BB4_1984 Depth=3
	s_or_b64 exec, exec, s[36:37]
.LBB4_1996:                             ;   in Loop: Header=BB4_1984 Depth=3
	s_or_b64 exec, exec, s[28:29]
	v_add_f32_e32 v2, v2, v0
	v_and_b32_sdwa v0, v2, s91 dst_sel:DWORD dst_unused:UNUSED_PAD src0_sel:BYTE_3 src1_sel:DWORD
	v_and_b32_e32 v6, 0x7f800000, v2
	v_mov_b32_e32 v7, v59
	v_and_b32_e32 v58, 0x7fffff, v2
	v_or_b32_e32 v55, 0x7e, v0
	v_cmp_ne_u64_e32 vcc, s[54:55], v[6:7]
	s_and_saveexec_b64 s[28:29], vcc
	s_xor_b64 s[36:37], exec, s[28:29]
	s_cbranch_execz .LBB4_2006
; %bb.1997:                             ;   in Loop: Header=BB4_1984 Depth=3
	v_and_b32_e32 v6, 0x7fffffff, v2
	v_mov_b32_e32 v7, v59
	v_cmp_gt_u64_e32 vcc, s[56:57], v[6:7]
	s_and_saveexec_b64 s[66:67], vcc
	s_cbranch_execz .LBB4_2005
; %bb.1998:                             ;   in Loop: Header=BB4_1984 Depth=3
	v_cmp_ne_u32_e32 vcc, 0, v2
	v_mov_b32_e32 v55, 0
	s_and_saveexec_b64 s[68:69], vcc
	s_cbranch_execz .LBB4_2004
; %bb.1999:                             ;   in Loop: Header=BB4_1984 Depth=3
	v_bfe_u32 v1, v2, 23, 8
	v_sub_u32_e32 v3, 0x79, v1
	v_cmp_gt_u32_e32 vcc, s93, v1
	v_add_u32_e32 v2, 0xffffff81, v1
	v_cndmask_b32_e32 v3, 0, v3, vcc
	v_cmp_eq_u32_e32 vcc, 0, v1
	v_mov_b32_e32 v1, 0xffffff82
	v_cndmask_b32_e32 v1, v2, v1, vcc
	v_mov_b32_e32 v2, 0x78
	v_cndmask_b32_e32 v7, v3, v2, vcc
	v_add_u32_e32 v2, 20, v7
	v_or_b32_e32 v6, 0x800000, v58
	v_lshlrev_b64 v[2:3], v2, -1
	v_cndmask_b32_e32 v58, v6, v58, vcc
	v_not_b32_e32 v2, v2
	v_and_b32_e32 v30, v58, v2
	v_add_u32_e32 v2, 19, v7
	v_lshrrev_b64 v[34:35], v7, v[58:59]
	v_not_b32_e32 v3, v3
	v_lshlrev_b64 v[32:33], v2, 1
	v_lshrrev_b32_e32 v2, 23, v34
	v_and_b32_e32 v31, 0, v3
	v_add3_u32 v6, v7, v1, v2
	v_bfe_u32 v1, v34, 20, 1
	v_add_u32_e32 v1, -1, v1
	v_cmp_eq_u64_e32 vcc, v[30:31], v[32:33]
	v_cndmask_b32_e32 v1, 0, v1, vcc
	v_add_u32_e32 v1, v1, v34
	v_and_b32_e32 v1, 0xfffff, v1
	v_add_co_u32_e32 v52, vcc, v1, v34
	v_add_u32_e32 v3, 6, v6
	v_addc_co_u32_e32 v53, vcc, 0, v35, vcc
	v_cmp_ne_u32_e32 vcc, 0, v3
                                        ; implicit-def: $vgpr2
	s_and_saveexec_b64 s[28:29], vcc
	s_xor_b64 s[28:29], exec, s[28:29]
; %bb.2000:                             ;   in Loop: Header=BB4_1984 Depth=3
	v_add_u32_e32 v1, 7, v6
	v_cmp_lt_u64_e32 vcc, s[58:59], v[52:53]
	v_cndmask_b32_e32 v2, v3, v1, vcc
	v_cndmask_b32_e64 v1, 0, 1, vcc
	v_lshrrev_b64 v[52:53], v1, v[52:53]
; %bb.2001:                             ;   in Loop: Header=BB4_1984 Depth=3
	s_andn2_saveexec_b64 s[28:29], s[28:29]
; %bb.2002:                             ;   in Loop: Header=BB4_1984 Depth=3
	v_bfe_u32 v2, v52, 23, 1
; %bb.2003:                             ;   in Loop: Header=BB4_1984 Depth=3
	s_or_b64 exec, exec, s[28:29]
	v_lshrrev_b64 v[6:7], 20, v[52:53]
	v_cmp_gt_i32_e32 vcc, 16, v2
	v_cndmask_b32_e32 v7, 0, v7, vcc
	v_cndmask_b32_e32 v6, 7, v6, vcc
	v_min_i32_e32 v1, 15, v2
	v_cmp_eq_u32_e32 vcc, 0, v2
	v_cmp_eq_u64_e64 s[28:29], 0, v[6:7]
	v_lshlrev_b32_e32 v1, 3, v1
	v_and_or_b32 v1, v6, 7, v1
	s_and_b64 s[28:29], vcc, s[28:29]
	v_cndmask_b32_e64 v1, v1, 0, s[28:29]
	v_or_b32_e32 v55, v1, v0
.LBB4_2004:                             ;   in Loop: Header=BB4_1984 Depth=3
	s_or_b64 exec, exec, s[68:69]
.LBB4_2005:                             ;   in Loop: Header=BB4_1984 Depth=3
	s_or_b64 exec, exec, s[66:67]
                                        ; implicit-def: $vgpr2
.LBB4_2006:                             ;   in Loop: Header=BB4_1984 Depth=3
	s_andn2_saveexec_b64 s[28:29], s[36:37]
; %bb.2007:                             ;   in Loop: Header=BB4_1984 Depth=3
	v_or_b32_sdwa v0, v2, s92 dst_sel:DWORD dst_unused:UNUSED_PAD src0_sel:BYTE_3 src1_sel:DWORD
	v_cmp_eq_u64_e32 vcc, 0, v[58:59]
	v_cndmask_b32_e32 v55, v0, v55, vcc
; %bb.2008:                             ;   in Loop: Header=BB4_1984 Depth=3
	s_or_b64 exec, exec, s[28:29]
	v_lshrrev_b16_e32 v52, 8, v20
	v_cmp_ne_u16_e32 vcc, 0, v52
	v_mov_b32_e32 v0, 0
	v_mov_b32_e32 v2, 0
	s_and_saveexec_b64 s[28:29], vcc
	s_cbranch_execz .LBB4_2014
; %bb.2009:                             ;   in Loop: Header=BB4_1984 Depth=3
	v_cmp_ne_u16_e32 vcc, s91, v52
	v_bfrev_b32_e32 v2, 1
	s_and_saveexec_b64 s[36:37], vcc
	s_cbranch_execz .LBB4_2013
; %bb.2010:                             ;   in Loop: Header=BB4_1984 Depth=3
	v_and_b32_e32 v1, 0x7f, v52
	v_cmp_ne_u32_e32 vcc, s92, v1
	v_mov_b32_e32 v2, 0x7f800001
	s_and_saveexec_b64 s[66:67], vcc
	s_cbranch_execz .LBB4_2012
; %bb.2011:                             ;   in Loop: Header=BB4_1984 Depth=3
	v_and_b32_e32 v6, 7, v52
	v_ffbh_u32_e32 v2, v6
	v_min_u32_e32 v26, 32, v2
	v_subrev_u32_e32 v2, 28, v26
	v_lshlrev_b64 v[2:3], v2, v[52:53]
	v_lshrrev_b32_e32 v7, 3, v1
	v_sub_u32_e32 v3, 29, v26
	v_and_b32_e32 v2, 7, v2
	v_cmp_gt_u32_e32 vcc, 8, v1
	v_cndmask_b32_e32 v1, v7, v3, vcc
	v_cndmask_b32_e32 v2, v6, v2, vcc
	v_lshlrev_b32_e32 v3, 16, v20
	v_bfrev_b32_e32 v6, 60
	v_lshlrev_b32_e32 v2, 20, v2
	v_and_b32_e32 v3, 0x80000000, v3
	v_lshl_add_u32 v1, v1, 23, v6
	v_or3_b32 v2, v3, v1, v2
.LBB4_2012:                             ;   in Loop: Header=BB4_1984 Depth=3
	s_or_b64 exec, exec, s[66:67]
.LBB4_2013:                             ;   in Loop: Header=BB4_1984 Depth=3
	s_or_b64 exec, exec, s[36:37]
.LBB4_2014:                             ;   in Loop: Header=BB4_1984 Depth=3
	s_or_b64 exec, exec, s[28:29]
	v_lshrrev_b16_e32 v52, 8, v16
	v_cmp_ne_u16_e32 vcc, 0, v52
	s_and_saveexec_b64 s[28:29], vcc
	s_cbranch_execz .LBB4_2020
; %bb.2015:                             ;   in Loop: Header=BB4_1984 Depth=3
	v_cmp_ne_u16_e32 vcc, s91, v52
	v_bfrev_b32_e32 v0, 1
	s_and_saveexec_b64 s[36:37], vcc
	s_cbranch_execz .LBB4_2019
; %bb.2016:                             ;   in Loop: Header=BB4_1984 Depth=3
	v_and_b32_e32 v1, 0x7f, v52
	v_cmp_ne_u32_e32 vcc, s92, v1
	v_mov_b32_e32 v0, 0x7f800001
	s_and_saveexec_b64 s[66:67], vcc
	s_cbranch_execz .LBB4_2018
; %bb.2017:                             ;   in Loop: Header=BB4_1984 Depth=3
	v_and_b32_e32 v0, 7, v52
	v_ffbh_u32_e32 v6, v0
	v_min_u32_e32 v26, 32, v6
	v_subrev_u32_e32 v6, 28, v26
	v_lshlrev_b64 v[6:7], v6, v[52:53]
	v_lshrrev_b32_e32 v3, 3, v1
	v_sub_u32_e32 v7, 29, v26
	v_and_b32_e32 v6, 7, v6
	v_cmp_gt_u32_e32 vcc, 8, v1
	v_cndmask_b32_e32 v1, v3, v7, vcc
	v_cndmask_b32_e32 v0, v0, v6, vcc
	v_lshlrev_b32_e32 v3, 16, v16
	v_bfrev_b32_e32 v6, 60
	v_lshlrev_b32_e32 v0, 20, v0
	v_and_b32_e32 v3, 0x80000000, v3
	v_lshl_add_u32 v1, v1, 23, v6
	v_or3_b32 v0, v3, v1, v0
.LBB4_2018:                             ;   in Loop: Header=BB4_1984 Depth=3
	s_or_b64 exec, exec, s[66:67]
.LBB4_2019:                             ;   in Loop: Header=BB4_1984 Depth=3
	s_or_b64 exec, exec, s[36:37]
.LBB4_2020:                             ;   in Loop: Header=BB4_1984 Depth=3
	s_or_b64 exec, exec, s[28:29]
	v_add_f32_e32 v2, v2, v0
	v_and_b32_sdwa v0, v2, s91 dst_sel:DWORD dst_unused:UNUSED_PAD src0_sel:BYTE_3 src1_sel:DWORD
	v_and_b32_e32 v6, 0x7f800000, v2
	v_mov_b32_e32 v7, v59
	v_and_b32_e32 v58, 0x7fffff, v2
	v_or_b32_e32 v1, 0x7e, v0
	v_cmp_ne_u64_e32 vcc, s[54:55], v[6:7]
	buffer_store_dword v1, off, s[0:3], s33 offset:156 ; 4-byte Folded Spill
	s_and_saveexec_b64 s[28:29], vcc
	s_xor_b64 s[36:37], exec, s[28:29]
	s_cbranch_execz .LBB4_2030
; %bb.2021:                             ;   in Loop: Header=BB4_1984 Depth=3
	v_and_b32_e32 v6, 0x7fffffff, v2
	v_mov_b32_e32 v7, v59
	v_cmp_gt_u64_e32 vcc, s[56:57], v[6:7]
	s_and_saveexec_b64 s[66:67], vcc
	s_cbranch_execz .LBB4_2029
; %bb.2022:                             ;   in Loop: Header=BB4_1984 Depth=3
	v_cmp_ne_u32_e32 vcc, 0, v2
	v_mov_b32_e32 v1, 0
	buffer_store_dword v1, off, s[0:3], s33 offset:156 ; 4-byte Folded Spill
	s_and_saveexec_b64 s[68:69], vcc
	s_cbranch_execz .LBB4_2028
; %bb.2023:                             ;   in Loop: Header=BB4_1984 Depth=3
	v_bfe_u32 v1, v2, 23, 8
	v_sub_u32_e32 v3, 0x79, v1
	v_cmp_gt_u32_e32 vcc, s93, v1
	v_add_u32_e32 v2, 0xffffff81, v1
	v_cndmask_b32_e32 v3, 0, v3, vcc
	v_cmp_eq_u32_e32 vcc, 0, v1
	v_mov_b32_e32 v1, 0xffffff82
	v_cndmask_b32_e32 v1, v2, v1, vcc
	v_mov_b32_e32 v2, 0x78
	v_cndmask_b32_e32 v7, v3, v2, vcc
	v_add_u32_e32 v2, 20, v7
	v_or_b32_e32 v6, 0x800000, v58
	v_lshlrev_b64 v[2:3], v2, -1
	v_cndmask_b32_e32 v58, v6, v58, vcc
	v_not_b32_e32 v2, v2
	v_and_b32_e32 v30, v58, v2
	v_add_u32_e32 v2, 19, v7
	v_lshrrev_b64 v[34:35], v7, v[58:59]
	v_not_b32_e32 v3, v3
	v_lshlrev_b64 v[32:33], v2, 1
	v_lshrrev_b32_e32 v2, 23, v34
	v_and_b32_e32 v31, 0, v3
	v_add3_u32 v6, v7, v1, v2
	v_bfe_u32 v1, v34, 20, 1
	v_add_u32_e32 v1, -1, v1
	v_cmp_eq_u64_e32 vcc, v[30:31], v[32:33]
	v_cndmask_b32_e32 v1, 0, v1, vcc
	v_add_u32_e32 v1, v1, v34
	v_and_b32_e32 v1, 0xfffff, v1
	v_add_co_u32_e32 v52, vcc, v1, v34
	v_add_u32_e32 v3, 6, v6
	v_addc_co_u32_e32 v53, vcc, 0, v35, vcc
	v_cmp_ne_u32_e32 vcc, 0, v3
                                        ; implicit-def: $vgpr2
	s_and_saveexec_b64 s[28:29], vcc
	s_xor_b64 s[28:29], exec, s[28:29]
; %bb.2024:                             ;   in Loop: Header=BB4_1984 Depth=3
	v_add_u32_e32 v1, 7, v6
	v_cmp_lt_u64_e32 vcc, s[58:59], v[52:53]
	v_cndmask_b32_e32 v2, v3, v1, vcc
	v_cndmask_b32_e64 v1, 0, 1, vcc
	v_lshrrev_b64 v[52:53], v1, v[52:53]
; %bb.2025:                             ;   in Loop: Header=BB4_1984 Depth=3
	s_andn2_saveexec_b64 s[28:29], s[28:29]
; %bb.2026:                             ;   in Loop: Header=BB4_1984 Depth=3
	v_bfe_u32 v2, v52, 23, 1
; %bb.2027:                             ;   in Loop: Header=BB4_1984 Depth=3
	s_or_b64 exec, exec, s[28:29]
	v_lshrrev_b64 v[6:7], 20, v[52:53]
	v_cmp_gt_i32_e32 vcc, 16, v2
	v_cndmask_b32_e32 v7, 0, v7, vcc
	v_cndmask_b32_e32 v6, 7, v6, vcc
	v_min_i32_e32 v1, 15, v2
	v_cmp_eq_u32_e32 vcc, 0, v2
	v_cmp_eq_u64_e64 s[28:29], 0, v[6:7]
	v_lshlrev_b32_e32 v1, 3, v1
	v_and_or_b32 v1, v6, 7, v1
	s_and_b64 s[28:29], vcc, s[28:29]
	v_cndmask_b32_e64 v1, v1, 0, s[28:29]
	v_or_b32_e32 v0, v1, v0
	buffer_store_dword v0, off, s[0:3], s33 offset:156 ; 4-byte Folded Spill
.LBB4_2028:                             ;   in Loop: Header=BB4_1984 Depth=3
	s_or_b64 exec, exec, s[68:69]
.LBB4_2029:                             ;   in Loop: Header=BB4_1984 Depth=3
	s_or_b64 exec, exec, s[66:67]
                                        ; implicit-def: $vgpr2
.LBB4_2030:                             ;   in Loop: Header=BB4_1984 Depth=3
	s_andn2_saveexec_b64 s[28:29], s[36:37]
	s_cbranch_execz .LBB4_2032
; %bb.2031:                             ;   in Loop: Header=BB4_1984 Depth=3
	buffer_load_dword v1, off, s[0:3], s33 offset:156 ; 4-byte Folded Reload
	v_or_b32_sdwa v0, v2, s92 dst_sel:DWORD dst_unused:UNUSED_PAD src0_sel:BYTE_3 src1_sel:DWORD
	v_cmp_eq_u64_e32 vcc, 0, v[58:59]
	s_waitcnt vmcnt(0)
	v_cndmask_b32_e32 v1, v0, v1, vcc
	buffer_store_dword v1, off, s[0:3], s33 offset:156 ; 4-byte Folded Spill
.LBB4_2032:                             ;   in Loop: Header=BB4_1984 Depth=3
	s_or_b64 exec, exec, s[28:29]
	v_lshrrev_b32_e32 v52, 16, v20
	v_cmp_ne_u16_sdwa vcc, v52, v59 src0_sel:BYTE_0 src1_sel:DWORD
	v_mov_b32_e32 v0, 0
	v_mov_b32_e32 v2, 0
	s_and_saveexec_b64 s[28:29], vcc
	s_cbranch_execz .LBB4_2038
; %bb.2033:                             ;   in Loop: Header=BB4_1984 Depth=3
	v_cmp_ne_u16_sdwa vcc, v52, s91 src0_sel:BYTE_0 src1_sel:DWORD
	v_bfrev_b32_e32 v2, 1
	s_and_saveexec_b64 s[36:37], vcc
	s_cbranch_execz .LBB4_2037
; %bb.2034:                             ;   in Loop: Header=BB4_1984 Depth=3
	v_bfe_u32 v1, v20, 16, 7
	v_cmp_ne_u32_e32 vcc, s92, v1
	v_mov_b32_e32 v2, 0x7f800001
	s_and_saveexec_b64 s[66:67], vcc
	s_cbranch_execz .LBB4_2036
; %bb.2035:                             ;   in Loop: Header=BB4_1984 Depth=3
	v_and_b32_e32 v6, 7, v52
	v_ffbh_u32_e32 v2, v6
	v_min_u32_e32 v26, 32, v2
	v_subrev_u32_e32 v2, 28, v26
	v_lshlrev_b64 v[2:3], v2, v[52:53]
	v_lshrrev_b32_e32 v7, 3, v1
	v_sub_u32_e32 v3, 29, v26
	v_and_b32_e32 v2, 7, v2
	v_cmp_gt_u32_e32 vcc, 8, v1
	v_cndmask_b32_e32 v1, v7, v3, vcc
	v_cndmask_b32_e32 v2, v6, v2, vcc
	v_lshlrev_b32_e32 v3, 24, v52
	v_bfrev_b32_e32 v6, 60
	v_lshlrev_b32_e32 v2, 20, v2
	v_and_b32_e32 v3, 0x80000000, v3
	v_lshl_add_u32 v1, v1, 23, v6
	v_or3_b32 v2, v3, v1, v2
.LBB4_2036:                             ;   in Loop: Header=BB4_1984 Depth=3
	s_or_b64 exec, exec, s[66:67]
.LBB4_2037:                             ;   in Loop: Header=BB4_1984 Depth=3
	s_or_b64 exec, exec, s[36:37]
.LBB4_2038:                             ;   in Loop: Header=BB4_1984 Depth=3
	s_or_b64 exec, exec, s[28:29]
	v_lshrrev_b32_e32 v52, 16, v16
	v_cmp_ne_u16_sdwa vcc, v52, v59 src0_sel:BYTE_0 src1_sel:DWORD
	s_and_saveexec_b64 s[28:29], vcc
	s_cbranch_execz .LBB4_2044
; %bb.2039:                             ;   in Loop: Header=BB4_1984 Depth=3
	v_cmp_ne_u16_sdwa vcc, v52, s91 src0_sel:BYTE_0 src1_sel:DWORD
	v_bfrev_b32_e32 v0, 1
	s_and_saveexec_b64 s[36:37], vcc
	s_cbranch_execz .LBB4_2043
; %bb.2040:                             ;   in Loop: Header=BB4_1984 Depth=3
	v_bfe_u32 v1, v16, 16, 7
	v_cmp_ne_u32_e32 vcc, s92, v1
	v_mov_b32_e32 v0, 0x7f800001
	s_and_saveexec_b64 s[66:67], vcc
	s_cbranch_execz .LBB4_2042
; %bb.2041:                             ;   in Loop: Header=BB4_1984 Depth=3
	v_and_b32_e32 v0, 7, v52
	v_ffbh_u32_e32 v6, v0
	v_min_u32_e32 v26, 32, v6
	v_subrev_u32_e32 v6, 28, v26
	v_lshlrev_b64 v[6:7], v6, v[52:53]
	v_lshrrev_b32_e32 v3, 3, v1
	v_sub_u32_e32 v7, 29, v26
	v_and_b32_e32 v6, 7, v6
	v_cmp_gt_u32_e32 vcc, 8, v1
	v_cndmask_b32_e32 v1, v3, v7, vcc
	v_cndmask_b32_e32 v0, v0, v6, vcc
	v_lshlrev_b32_e32 v3, 8, v16
	v_bfrev_b32_e32 v6, 60
	v_lshlrev_b32_e32 v0, 20, v0
	v_and_b32_e32 v3, 0x80000000, v3
	v_lshl_add_u32 v1, v1, 23, v6
	v_or3_b32 v0, v3, v1, v0
.LBB4_2042:                             ;   in Loop: Header=BB4_1984 Depth=3
	s_or_b64 exec, exec, s[66:67]
.LBB4_2043:                             ;   in Loop: Header=BB4_1984 Depth=3
	s_or_b64 exec, exec, s[36:37]
.LBB4_2044:                             ;   in Loop: Header=BB4_1984 Depth=3
	s_or_b64 exec, exec, s[28:29]
	v_add_f32_e32 v2, v2, v0
	v_and_b32_sdwa v0, v2, s91 dst_sel:DWORD dst_unused:UNUSED_PAD src0_sel:BYTE_3 src1_sel:DWORD
	v_and_b32_e32 v6, 0x7f800000, v2
	v_mov_b32_e32 v7, v59
	v_and_b32_e32 v58, 0x7fffff, v2
	v_or_b32_e32 v1, 0x7e, v0
	v_cmp_ne_u64_e32 vcc, s[54:55], v[6:7]
	buffer_store_dword v1, off, s[0:3], s33 offset:160 ; 4-byte Folded Spill
	s_and_saveexec_b64 s[28:29], vcc
	s_xor_b64 s[36:37], exec, s[28:29]
	s_cbranch_execz .LBB4_2054
; %bb.2045:                             ;   in Loop: Header=BB4_1984 Depth=3
	v_and_b32_e32 v6, 0x7fffffff, v2
	v_mov_b32_e32 v7, v59
	v_cmp_gt_u64_e32 vcc, s[56:57], v[6:7]
	s_and_saveexec_b64 s[66:67], vcc
	s_cbranch_execz .LBB4_2053
; %bb.2046:                             ;   in Loop: Header=BB4_1984 Depth=3
	v_cmp_ne_u32_e32 vcc, 0, v2
	v_mov_b32_e32 v1, 0
	buffer_store_dword v1, off, s[0:3], s33 offset:160 ; 4-byte Folded Spill
	s_and_saveexec_b64 s[68:69], vcc
	s_cbranch_execz .LBB4_2052
; %bb.2047:                             ;   in Loop: Header=BB4_1984 Depth=3
	v_bfe_u32 v1, v2, 23, 8
	v_sub_u32_e32 v3, 0x79, v1
	v_cmp_gt_u32_e32 vcc, s93, v1
	v_add_u32_e32 v2, 0xffffff81, v1
	v_cndmask_b32_e32 v3, 0, v3, vcc
	v_cmp_eq_u32_e32 vcc, 0, v1
	v_mov_b32_e32 v1, 0xffffff82
	v_cndmask_b32_e32 v1, v2, v1, vcc
	v_mov_b32_e32 v2, 0x78
	v_cndmask_b32_e32 v7, v3, v2, vcc
	v_add_u32_e32 v2, 20, v7
	v_or_b32_e32 v6, 0x800000, v58
	v_lshlrev_b64 v[2:3], v2, -1
	v_cndmask_b32_e32 v58, v6, v58, vcc
	v_not_b32_e32 v2, v2
	v_and_b32_e32 v30, v58, v2
	v_add_u32_e32 v2, 19, v7
	v_lshrrev_b64 v[34:35], v7, v[58:59]
	v_not_b32_e32 v3, v3
	v_lshlrev_b64 v[32:33], v2, 1
	v_lshrrev_b32_e32 v2, 23, v34
	v_and_b32_e32 v31, 0, v3
	v_add3_u32 v6, v7, v1, v2
	v_bfe_u32 v1, v34, 20, 1
	v_add_u32_e32 v1, -1, v1
	v_cmp_eq_u64_e32 vcc, v[30:31], v[32:33]
	v_cndmask_b32_e32 v1, 0, v1, vcc
	v_add_u32_e32 v1, v1, v34
	v_and_b32_e32 v1, 0xfffff, v1
	v_add_co_u32_e32 v52, vcc, v1, v34
	v_add_u32_e32 v3, 6, v6
	v_addc_co_u32_e32 v53, vcc, 0, v35, vcc
	v_cmp_ne_u32_e32 vcc, 0, v3
                                        ; implicit-def: $vgpr2
	s_and_saveexec_b64 s[28:29], vcc
	s_xor_b64 s[28:29], exec, s[28:29]
; %bb.2048:                             ;   in Loop: Header=BB4_1984 Depth=3
	v_add_u32_e32 v1, 7, v6
	v_cmp_lt_u64_e32 vcc, s[58:59], v[52:53]
	v_cndmask_b32_e32 v2, v3, v1, vcc
	v_cndmask_b32_e64 v1, 0, 1, vcc
	v_lshrrev_b64 v[52:53], v1, v[52:53]
; %bb.2049:                             ;   in Loop: Header=BB4_1984 Depth=3
	s_andn2_saveexec_b64 s[28:29], s[28:29]
; %bb.2050:                             ;   in Loop: Header=BB4_1984 Depth=3
	v_bfe_u32 v2, v52, 23, 1
; %bb.2051:                             ;   in Loop: Header=BB4_1984 Depth=3
	s_or_b64 exec, exec, s[28:29]
	v_lshrrev_b64 v[6:7], 20, v[52:53]
	v_cmp_gt_i32_e32 vcc, 16, v2
	v_cndmask_b32_e32 v7, 0, v7, vcc
	v_cndmask_b32_e32 v6, 7, v6, vcc
	v_min_i32_e32 v1, 15, v2
	v_cmp_eq_u32_e32 vcc, 0, v2
	v_cmp_eq_u64_e64 s[28:29], 0, v[6:7]
	v_lshlrev_b32_e32 v1, 3, v1
	v_and_or_b32 v1, v6, 7, v1
	s_and_b64 s[28:29], vcc, s[28:29]
	v_cndmask_b32_e64 v1, v1, 0, s[28:29]
	v_or_b32_e32 v0, v1, v0
	buffer_store_dword v0, off, s[0:3], s33 offset:160 ; 4-byte Folded Spill
.LBB4_2052:                             ;   in Loop: Header=BB4_1984 Depth=3
	s_or_b64 exec, exec, s[68:69]
.LBB4_2053:                             ;   in Loop: Header=BB4_1984 Depth=3
	s_or_b64 exec, exec, s[66:67]
                                        ; implicit-def: $vgpr2
.LBB4_2054:                             ;   in Loop: Header=BB4_1984 Depth=3
	s_andn2_saveexec_b64 s[28:29], s[36:37]
	s_cbranch_execz .LBB4_2056
; %bb.2055:                             ;   in Loop: Header=BB4_1984 Depth=3
	buffer_load_dword v1, off, s[0:3], s33 offset:160 ; 4-byte Folded Reload
	v_or_b32_sdwa v0, v2, s92 dst_sel:DWORD dst_unused:UNUSED_PAD src0_sel:BYTE_3 src1_sel:DWORD
	v_cmp_eq_u64_e32 vcc, 0, v[58:59]
	s_waitcnt vmcnt(0)
	v_cndmask_b32_e32 v1, v0, v1, vcc
	buffer_store_dword v1, off, s[0:3], s33 offset:160 ; 4-byte Folded Spill
.LBB4_2056:                             ;   in Loop: Header=BB4_1984 Depth=3
	s_or_b64 exec, exec, s[28:29]
	v_cmp_lt_u32_e32 vcc, s45, v20
	v_mov_b32_e32 v0, 0
	v_mov_b32_e32 v2, 0
	s_and_saveexec_b64 s[28:29], vcc
	s_cbranch_execz .LBB4_2062
; %bb.2057:                             ;   in Loop: Header=BB4_1984 Depth=3
	v_lshrrev_b32_e32 v52, 24, v20
	v_cmp_ne_u32_e32 vcc, s91, v52
	v_bfrev_b32_e32 v2, 1
	s_and_saveexec_b64 s[36:37], vcc
	s_cbranch_execz .LBB4_2061
; %bb.2058:                             ;   in Loop: Header=BB4_1984 Depth=3
	v_bfe_u32 v1, v20, 24, 7
	v_cmp_ne_u32_e32 vcc, s92, v1
	v_mov_b32_e32 v2, 0x7f800001
	s_and_saveexec_b64 s[66:67], vcc
	s_cbranch_execz .LBB4_2060
; %bb.2059:                             ;   in Loop: Header=BB4_1984 Depth=3
	v_and_b32_e32 v6, 7, v52
	v_ffbh_u32_e32 v2, v6
	v_min_u32_e32 v26, 32, v2
	v_subrev_u32_e32 v2, 28, v26
	v_lshlrev_b64 v[2:3], v2, v[52:53]
	v_lshrrev_b32_e32 v7, 3, v1
	v_sub_u32_e32 v3, 29, v26
	v_and_b32_e32 v2, 7, v2
	v_cmp_gt_u32_e32 vcc, 8, v1
	v_cndmask_b32_e32 v1, v7, v3, vcc
	v_cndmask_b32_e32 v2, v6, v2, vcc
	v_lshlrev_b32_e32 v3, 24, v52
	v_bfrev_b32_e32 v6, 60
	v_lshlrev_b32_e32 v2, 20, v2
	v_and_b32_e32 v3, 0x80000000, v3
	v_lshl_add_u32 v1, v1, 23, v6
	v_or3_b32 v2, v3, v1, v2
.LBB4_2060:                             ;   in Loop: Header=BB4_1984 Depth=3
	s_or_b64 exec, exec, s[66:67]
.LBB4_2061:                             ;   in Loop: Header=BB4_1984 Depth=3
	s_or_b64 exec, exec, s[36:37]
.LBB4_2062:                             ;   in Loop: Header=BB4_1984 Depth=3
	s_or_b64 exec, exec, s[28:29]
	v_cmp_lt_u32_e32 vcc, s45, v16
	s_and_saveexec_b64 s[28:29], vcc
	s_cbranch_execz .LBB4_2068
; %bb.2063:                             ;   in Loop: Header=BB4_1984 Depth=3
	v_lshrrev_b32_e32 v52, 24, v16
	v_cmp_ne_u32_e32 vcc, s91, v52
	v_bfrev_b32_e32 v0, 1
	s_and_saveexec_b64 s[36:37], vcc
	s_cbranch_execz .LBB4_2067
; %bb.2064:                             ;   in Loop: Header=BB4_1984 Depth=3
	v_bfe_u32 v1, v16, 24, 7
	v_cmp_ne_u32_e32 vcc, s92, v1
	v_mov_b32_e32 v0, 0x7f800001
	s_and_saveexec_b64 s[66:67], vcc
	s_cbranch_execz .LBB4_2066
; %bb.2065:                             ;   in Loop: Header=BB4_1984 Depth=3
	v_and_b32_e32 v0, 7, v52
	v_ffbh_u32_e32 v6, v0
	v_min_u32_e32 v26, 32, v6
	v_subrev_u32_e32 v6, 28, v26
	v_lshlrev_b64 v[6:7], v6, v[52:53]
	v_lshrrev_b32_e32 v3, 3, v1
	v_sub_u32_e32 v7, 29, v26
	v_and_b32_e32 v6, 7, v6
	v_cmp_gt_u32_e32 vcc, 8, v1
	v_cndmask_b32_e32 v1, v3, v7, vcc
	v_cndmask_b32_e32 v0, v0, v6, vcc
	v_lshlrev_b32_e32 v3, 24, v52
	v_bfrev_b32_e32 v6, 60
	v_lshlrev_b32_e32 v0, 20, v0
	v_and_b32_e32 v3, 0x80000000, v3
	v_lshl_add_u32 v1, v1, 23, v6
	v_or3_b32 v0, v3, v1, v0
.LBB4_2066:                             ;   in Loop: Header=BB4_1984 Depth=3
	s_or_b64 exec, exec, s[66:67]
.LBB4_2067:                             ;   in Loop: Header=BB4_1984 Depth=3
	s_or_b64 exec, exec, s[36:37]
.LBB4_2068:                             ;   in Loop: Header=BB4_1984 Depth=3
	s_or_b64 exec, exec, s[28:29]
	v_add_f32_e32 v2, v2, v0
	v_and_b32_sdwa v0, v2, s91 dst_sel:DWORD dst_unused:UNUSED_PAD src0_sel:BYTE_3 src1_sel:DWORD
	v_and_b32_e32 v6, 0x7f800000, v2
	v_mov_b32_e32 v7, v59
	v_and_b32_e32 v58, 0x7fffff, v2
	v_or_b32_e32 v1, 0x7e, v0
	v_cmp_ne_u64_e32 vcc, s[54:55], v[6:7]
	buffer_store_dword v1, off, s[0:3], s33 offset:164 ; 4-byte Folded Spill
	s_and_saveexec_b64 s[28:29], vcc
	s_xor_b64 s[36:37], exec, s[28:29]
	s_cbranch_execz .LBB4_2078
; %bb.2069:                             ;   in Loop: Header=BB4_1984 Depth=3
	v_and_b32_e32 v6, 0x7fffffff, v2
	v_mov_b32_e32 v7, v59
	v_cmp_gt_u64_e32 vcc, s[56:57], v[6:7]
	s_and_saveexec_b64 s[66:67], vcc
	s_cbranch_execz .LBB4_2077
; %bb.2070:                             ;   in Loop: Header=BB4_1984 Depth=3
	v_cmp_ne_u32_e32 vcc, 0, v2
	v_mov_b32_e32 v1, 0
	buffer_store_dword v1, off, s[0:3], s33 offset:164 ; 4-byte Folded Spill
	s_and_saveexec_b64 s[68:69], vcc
	s_cbranch_execz .LBB4_2076
; %bb.2071:                             ;   in Loop: Header=BB4_1984 Depth=3
	v_bfe_u32 v1, v2, 23, 8
	v_sub_u32_e32 v3, 0x79, v1
	v_cmp_gt_u32_e32 vcc, s93, v1
	v_add_u32_e32 v2, 0xffffff81, v1
	v_cndmask_b32_e32 v3, 0, v3, vcc
	v_cmp_eq_u32_e32 vcc, 0, v1
	v_mov_b32_e32 v1, 0xffffff82
	v_cndmask_b32_e32 v1, v2, v1, vcc
	v_mov_b32_e32 v2, 0x78
	v_cndmask_b32_e32 v7, v3, v2, vcc
	v_add_u32_e32 v2, 20, v7
	v_or_b32_e32 v6, 0x800000, v58
	v_lshlrev_b64 v[2:3], v2, -1
	v_cndmask_b32_e32 v58, v6, v58, vcc
	v_not_b32_e32 v2, v2
	v_and_b32_e32 v30, v58, v2
	v_add_u32_e32 v2, 19, v7
	v_lshrrev_b64 v[34:35], v7, v[58:59]
	v_not_b32_e32 v3, v3
	v_lshlrev_b64 v[32:33], v2, 1
	v_lshrrev_b32_e32 v2, 23, v34
	v_and_b32_e32 v31, 0, v3
	v_add3_u32 v7, v7, v1, v2
	v_bfe_u32 v1, v34, 20, 1
	v_add_u32_e32 v1, -1, v1
	v_cmp_eq_u64_e32 vcc, v[30:31], v[32:33]
	v_cndmask_b32_e32 v1, 0, v1, vcc
	v_add_u32_e32 v1, v1, v34
	v_and_b32_e32 v1, 0xfffff, v1
	v_add_co_u32_e32 v52, vcc, v1, v34
	v_add_u32_e32 v3, 6, v7
	v_addc_co_u32_e32 v53, vcc, 0, v35, vcc
	v_cmp_ne_u32_e32 vcc, 0, v3
                                        ; implicit-def: $vgpr2
	s_and_saveexec_b64 s[28:29], vcc
	s_xor_b64 s[28:29], exec, s[28:29]
; %bb.2072:                             ;   in Loop: Header=BB4_1984 Depth=3
	v_add_u32_e32 v1, 7, v7
	v_cmp_lt_u64_e32 vcc, s[58:59], v[52:53]
	v_cndmask_b32_e32 v2, v3, v1, vcc
	v_cndmask_b32_e64 v1, 0, 1, vcc
	v_lshrrev_b64 v[52:53], v1, v[52:53]
; %bb.2073:                             ;   in Loop: Header=BB4_1984 Depth=3
	s_andn2_saveexec_b64 s[28:29], s[28:29]
; %bb.2074:                             ;   in Loop: Header=BB4_1984 Depth=3
	v_bfe_u32 v2, v52, 23, 1
; %bb.2075:                             ;   in Loop: Header=BB4_1984 Depth=3
	s_or_b64 exec, exec, s[28:29]
	v_lshrrev_b64 v[6:7], 20, v[52:53]
	v_cmp_gt_i32_e32 vcc, 16, v2
	v_cndmask_b32_e32 v7, 0, v7, vcc
	v_cndmask_b32_e32 v6, 7, v6, vcc
	v_min_i32_e32 v1, 15, v2
	v_cmp_eq_u32_e32 vcc, 0, v2
	v_cmp_eq_u64_e64 s[28:29], 0, v[6:7]
	v_lshlrev_b32_e32 v1, 3, v1
	v_and_or_b32 v1, v6, 7, v1
	s_and_b64 s[28:29], vcc, s[28:29]
	v_cndmask_b32_e64 v1, v1, 0, s[28:29]
	v_or_b32_e32 v0, v1, v0
	buffer_store_dword v0, off, s[0:3], s33 offset:164 ; 4-byte Folded Spill
.LBB4_2076:                             ;   in Loop: Header=BB4_1984 Depth=3
	s_or_b64 exec, exec, s[68:69]
.LBB4_2077:                             ;   in Loop: Header=BB4_1984 Depth=3
	s_or_b64 exec, exec, s[66:67]
                                        ; implicit-def: $vgpr2
.LBB4_2078:                             ;   in Loop: Header=BB4_1984 Depth=3
	s_andn2_saveexec_b64 s[28:29], s[36:37]
	s_cbranch_execz .LBB4_2080
; %bb.2079:                             ;   in Loop: Header=BB4_1984 Depth=3
	buffer_load_dword v1, off, s[0:3], s33 offset:164 ; 4-byte Folded Reload
	v_or_b32_sdwa v0, v2, s92 dst_sel:DWORD dst_unused:UNUSED_PAD src0_sel:BYTE_3 src1_sel:DWORD
	v_cmp_eq_u64_e32 vcc, 0, v[58:59]
	s_waitcnt vmcnt(0)
	v_cndmask_b32_e32 v1, v0, v1, vcc
	buffer_store_dword v1, off, s[0:3], s33 offset:164 ; 4-byte Folded Spill
.LBB4_2080:                             ;   in Loop: Header=BB4_1984 Depth=3
	s_or_b64 exec, exec, s[28:29]
	v_mov_b32_e32 v58, v21
	v_cmp_ne_u16_sdwa vcc, v21, v59 src0_sel:BYTE_0 src1_sel:DWORD
	v_mov_b32_e32 v2, 0
	v_mov_b32_e32 v0, 0
	s_and_saveexec_b64 s[28:29], vcc
	s_cbranch_execz .LBB4_2086
; %bb.2081:                             ;   in Loop: Header=BB4_1984 Depth=3
	v_cmp_ne_u16_sdwa vcc, v21, s91 src0_sel:BYTE_0 src1_sel:DWORD
	v_bfrev_b32_e32 v0, 1
	s_and_saveexec_b64 s[36:37], vcc
	s_cbranch_execz .LBB4_2085
; %bb.2082:                             ;   in Loop: Header=BB4_1984 Depth=3
	v_and_b32_e32 v1, 0x7f, v21
	v_cmp_ne_u32_e32 vcc, s92, v1
	v_mov_b32_e32 v0, 0x7f800001
	s_and_saveexec_b64 s[66:67], vcc
	s_cbranch_execz .LBB4_2084
; %bb.2083:                             ;   in Loop: Header=BB4_1984 Depth=3
	v_and_b32_e32 v0, 7, v21
	v_ffbh_u32_e32 v0, v0
	v_min_u32_e32 v0, 32, v0
	v_lshrrev_b32_e32 v3, 3, v1
	v_subrev_u32_e32 v6, 28, v0
	v_sub_u32_e32 v0, 29, v0
	v_cmp_gt_u32_e32 vcc, 8, v1
	v_cndmask_b32_e32 v3, v3, v0, vcc
	v_cndmask_b32_e32 v0, 0, v6, vcc
	v_lshlrev_b64 v[0:1], v0, v[58:59]
	v_lshlrev_b32_e32 v0, 20, v0
	v_lshlrev_b32_e32 v1, 24, v58
	v_bfrev_b32_e32 v6, 60
	v_and_b32_e32 v0, 0x700000, v0
	v_and_b32_e32 v1, 0x80000000, v1
	v_lshl_add_u32 v3, v3, 23, v6
	v_or3_b32 v0, v1, v3, v0
.LBB4_2084:                             ;   in Loop: Header=BB4_1984 Depth=3
	s_or_b64 exec, exec, s[66:67]
.LBB4_2085:                             ;   in Loop: Header=BB4_1984 Depth=3
	s_or_b64 exec, exec, s[36:37]
.LBB4_2086:                             ;   in Loop: Header=BB4_1984 Depth=3
	s_or_b64 exec, exec, s[28:29]
	v_cmp_ne_u16_sdwa vcc, v17, v59 src0_sel:BYTE_0 src1_sel:DWORD
	s_and_saveexec_b64 s[28:29], vcc
	s_cbranch_execz .LBB4_2092
; %bb.2087:                             ;   in Loop: Header=BB4_1984 Depth=3
	v_cmp_ne_u16_sdwa vcc, v17, s91 src0_sel:BYTE_0 src1_sel:DWORD
	v_bfrev_b32_e32 v2, 1
	s_and_saveexec_b64 s[36:37], vcc
	s_cbranch_execz .LBB4_2091
; %bb.2088:                             ;   in Loop: Header=BB4_1984 Depth=3
	v_and_b32_e32 v1, 0x7f, v17
	v_cmp_ne_u32_e32 vcc, s92, v1
	v_mov_b32_e32 v2, 0x7f800001
	s_and_saveexec_b64 s[66:67], vcc
	s_cbranch_execz .LBB4_2090
; %bb.2089:                             ;   in Loop: Header=BB4_1984 Depth=3
	v_and_b32_e32 v6, 7, v17
	v_ffbh_u32_e32 v6, v6
	v_min_u32_e32 v6, 32, v6
	v_lshrrev_b32_e32 v7, 3, v1
	v_subrev_u32_e32 v26, 28, v6
	v_sub_u32_e32 v6, 29, v6
	v_cmp_gt_u32_e32 vcc, 8, v1
	v_mov_b32_e32 v2, v17
	v_mov_b32_e32 v3, v59
	v_cndmask_b32_e32 v1, v7, v6, vcc
	v_cndmask_b32_e32 v6, 0, v26, vcc
	v_lshlrev_b64 v[6:7], v6, v[2:3]
	v_lshlrev_b32_e32 v3, 20, v6
	v_lshlrev_b32_e32 v2, 24, v2
	v_bfrev_b32_e32 v6, 60
	v_and_b32_e32 v3, 0x700000, v3
	v_and_b32_e32 v2, 0x80000000, v2
	v_lshl_add_u32 v1, v1, 23, v6
	v_or3_b32 v2, v2, v1, v3
.LBB4_2090:                             ;   in Loop: Header=BB4_1984 Depth=3
	s_or_b64 exec, exec, s[66:67]
.LBB4_2091:                             ;   in Loop: Header=BB4_1984 Depth=3
	s_or_b64 exec, exec, s[36:37]
.LBB4_2092:                             ;   in Loop: Header=BB4_1984 Depth=3
	s_or_b64 exec, exec, s[28:29]
	v_add_f32_e32 v2, v0, v2
	v_and_b32_sdwa v0, v2, s91 dst_sel:DWORD dst_unused:UNUSED_PAD src0_sel:BYTE_3 src1_sel:DWORD
	v_and_b32_e32 v6, 0x7f800000, v2
	v_mov_b32_e32 v7, v59
	v_and_b32_e32 v52, 0x7fffff, v2
	v_mov_b32_e32 v53, v59
	v_or_b32_e32 v30, 0x7e, v0
	v_cmp_ne_u64_e32 vcc, s[54:55], v[6:7]
	s_and_saveexec_b64 s[28:29], vcc
	s_xor_b64 s[36:37], exec, s[28:29]
	s_cbranch_execz .LBB4_2102
; %bb.2093:                             ;   in Loop: Header=BB4_1984 Depth=3
	v_and_b32_e32 v6, 0x7fffffff, v2
	v_mov_b32_e32 v7, v59
	v_cmp_gt_u64_e32 vcc, s[56:57], v[6:7]
	s_and_saveexec_b64 s[66:67], vcc
	s_cbranch_execz .LBB4_2101
; %bb.2094:                             ;   in Loop: Header=BB4_1984 Depth=3
	v_cmp_ne_u32_e32 vcc, 0, v2
	v_mov_b32_e32 v30, 0
	s_and_saveexec_b64 s[68:69], vcc
	s_cbranch_execz .LBB4_2100
; %bb.2095:                             ;   in Loop: Header=BB4_1984 Depth=3
	v_bfe_u32 v1, v2, 23, 8
	v_sub_u32_e32 v3, 0x79, v1
	v_cmp_gt_u32_e32 vcc, s93, v1
	v_add_u32_e32 v2, 0xffffff81, v1
	v_cndmask_b32_e32 v3, 0, v3, vcc
	v_cmp_eq_u32_e32 vcc, 0, v1
	v_mov_b32_e32 v1, 0xffffff82
	v_cndmask_b32_e32 v1, v2, v1, vcc
	v_mov_b32_e32 v2, 0x78
	v_cndmask_b32_e32 v26, v3, v2, vcc
	v_add_u32_e32 v2, 20, v26
	v_or_b32_e32 v6, 0x800000, v52
	v_lshlrev_b64 v[2:3], v2, -1
	v_cndmask_b32_e32 v52, v6, v52, vcc
	v_not_b32_e32 v2, v2
	v_and_b32_e32 v6, v52, v2
	v_add_u32_e32 v2, 19, v26
	v_lshrrev_b64 v[32:33], v26, v[52:53]
	v_not_b32_e32 v3, v3
	v_lshlrev_b64 v[30:31], v2, 1
	v_lshrrev_b32_e32 v2, 23, v32
	v_and_b32_e32 v7, 0, v3
	v_add3_u32 v26, v26, v1, v2
	v_bfe_u32 v1, v32, 20, 1
	v_add_u32_e32 v1, -1, v1
	v_cmp_eq_u64_e32 vcc, v[6:7], v[30:31]
	v_cndmask_b32_e32 v1, 0, v1, vcc
	v_add_u32_e32 v1, v1, v32
	v_and_b32_e32 v1, 0xfffff, v1
	v_add_co_u32_e32 v52, vcc, v1, v32
	v_add_u32_e32 v3, 6, v26
	v_addc_co_u32_e32 v53, vcc, 0, v33, vcc
	v_cmp_ne_u32_e32 vcc, 0, v3
                                        ; implicit-def: $vgpr2
	s_and_saveexec_b64 s[28:29], vcc
	s_xor_b64 s[28:29], exec, s[28:29]
; %bb.2096:                             ;   in Loop: Header=BB4_1984 Depth=3
	v_add_u32_e32 v1, 7, v26
	v_cmp_lt_u64_e32 vcc, s[58:59], v[52:53]
	v_cndmask_b32_e32 v2, v3, v1, vcc
	v_cndmask_b32_e64 v1, 0, 1, vcc
	v_lshrrev_b64 v[52:53], v1, v[52:53]
; %bb.2097:                             ;   in Loop: Header=BB4_1984 Depth=3
	s_andn2_saveexec_b64 s[28:29], s[28:29]
; %bb.2098:                             ;   in Loop: Header=BB4_1984 Depth=3
	v_bfe_u32 v2, v52, 23, 1
; %bb.2099:                             ;   in Loop: Header=BB4_1984 Depth=3
	s_or_b64 exec, exec, s[28:29]
	v_lshrrev_b64 v[6:7], 20, v[52:53]
	v_cmp_gt_i32_e32 vcc, 16, v2
	v_cndmask_b32_e32 v7, 0, v7, vcc
	v_cndmask_b32_e32 v6, 7, v6, vcc
	v_min_i32_e32 v1, 15, v2
	v_cmp_eq_u32_e32 vcc, 0, v2
	v_cmp_eq_u64_e64 s[28:29], 0, v[6:7]
	v_lshlrev_b32_e32 v1, 3, v1
	v_and_or_b32 v1, v6, 7, v1
	s_and_b64 s[28:29], vcc, s[28:29]
	v_cndmask_b32_e64 v1, v1, 0, s[28:29]
	v_or_b32_e32 v30, v1, v0
.LBB4_2100:                             ;   in Loop: Header=BB4_1984 Depth=3
	s_or_b64 exec, exec, s[68:69]
.LBB4_2101:                             ;   in Loop: Header=BB4_1984 Depth=3
	s_or_b64 exec, exec, s[66:67]
                                        ; implicit-def: $vgpr2
                                        ; implicit-def: $vgpr52_vgpr53
.LBB4_2102:                             ;   in Loop: Header=BB4_1984 Depth=3
	s_andn2_saveexec_b64 s[28:29], s[36:37]
; %bb.2103:                             ;   in Loop: Header=BB4_1984 Depth=3
	v_or_b32_sdwa v0, v2, s92 dst_sel:DWORD dst_unused:UNUSED_PAD src0_sel:BYTE_3 src1_sel:DWORD
	v_cmp_eq_u64_e32 vcc, 0, v[52:53]
	v_cndmask_b32_e32 v30, v0, v30, vcc
; %bb.2104:                             ;   in Loop: Header=BB4_1984 Depth=3
	s_or_b64 exec, exec, s[28:29]
	v_lshrrev_b16_e32 v52, 8, v58
	v_cmp_ne_u16_e32 vcc, 0, v52
	v_mov_b32_e32 v0, 0
	v_mov_b32_e32 v2, 0
	s_and_saveexec_b64 s[28:29], vcc
	s_cbranch_execz .LBB4_2110
; %bb.2105:                             ;   in Loop: Header=BB4_1984 Depth=3
	v_cmp_ne_u16_e32 vcc, s91, v52
	v_bfrev_b32_e32 v2, 1
	s_and_saveexec_b64 s[36:37], vcc
	s_cbranch_execz .LBB4_2109
; %bb.2106:                             ;   in Loop: Header=BB4_1984 Depth=3
	v_and_b32_e32 v1, 0x7f, v52
	v_cmp_ne_u32_e32 vcc, s92, v1
	v_mov_b32_e32 v2, 0x7f800001
	s_and_saveexec_b64 s[66:67], vcc
	s_cbranch_execz .LBB4_2108
; %bb.2107:                             ;   in Loop: Header=BB4_1984 Depth=3
	v_and_b32_e32 v6, 7, v52
	v_ffbh_u32_e32 v2, v6
	v_min_u32_e32 v26, 32, v2
	v_subrev_u32_e32 v2, 28, v26
	v_lshlrev_b64 v[2:3], v2, v[52:53]
	v_lshrrev_b32_e32 v7, 3, v1
	v_sub_u32_e32 v3, 29, v26
	v_and_b32_e32 v2, 7, v2
	v_cmp_gt_u32_e32 vcc, 8, v1
	v_cndmask_b32_e32 v1, v7, v3, vcc
	v_cndmask_b32_e32 v2, v6, v2, vcc
	v_lshlrev_b32_e32 v3, 16, v58
	v_bfrev_b32_e32 v6, 60
	v_lshlrev_b32_e32 v2, 20, v2
	v_and_b32_e32 v3, 0x80000000, v3
	v_lshl_add_u32 v1, v1, 23, v6
	v_or3_b32 v2, v3, v1, v2
.LBB4_2108:                             ;   in Loop: Header=BB4_1984 Depth=3
	s_or_b64 exec, exec, s[66:67]
.LBB4_2109:                             ;   in Loop: Header=BB4_1984 Depth=3
	s_or_b64 exec, exec, s[36:37]
.LBB4_2110:                             ;   in Loop: Header=BB4_1984 Depth=3
	s_or_b64 exec, exec, s[28:29]
	v_mov_b32_e32 v52, v17
	v_lshrrev_b16_e32 v58, 8, v52
	v_cmp_ne_u16_e32 vcc, 0, v58
	s_and_saveexec_b64 s[28:29], vcc
	s_cbranch_execz .LBB4_2116
; %bb.2111:                             ;   in Loop: Header=BB4_1984 Depth=3
	v_cmp_ne_u16_e32 vcc, s91, v58
	v_bfrev_b32_e32 v0, 1
	s_and_saveexec_b64 s[36:37], vcc
	s_cbranch_execz .LBB4_2115
; %bb.2112:                             ;   in Loop: Header=BB4_1984 Depth=3
	v_and_b32_e32 v1, 0x7f, v58
	v_cmp_ne_u32_e32 vcc, s92, v1
	v_mov_b32_e32 v0, 0x7f800001
	s_and_saveexec_b64 s[66:67], vcc
	s_cbranch_execz .LBB4_2114
; %bb.2113:                             ;   in Loop: Header=BB4_1984 Depth=3
	v_and_b32_e32 v0, 7, v58
	v_ffbh_u32_e32 v6, v0
	v_min_u32_e32 v26, 32, v6
	v_subrev_u32_e32 v6, 28, v26
	v_lshlrev_b64 v[6:7], v6, v[58:59]
	v_lshrrev_b32_e32 v3, 3, v1
	v_sub_u32_e32 v7, 29, v26
	v_and_b32_e32 v6, 7, v6
	v_cmp_gt_u32_e32 vcc, 8, v1
	v_cndmask_b32_e32 v1, v3, v7, vcc
	v_cndmask_b32_e32 v0, v0, v6, vcc
	v_lshlrev_b32_e32 v3, 16, v52
	v_bfrev_b32_e32 v6, 60
	v_lshlrev_b32_e32 v0, 20, v0
	v_and_b32_e32 v3, 0x80000000, v3
	v_lshl_add_u32 v1, v1, 23, v6
	v_or3_b32 v0, v3, v1, v0
.LBB4_2114:                             ;   in Loop: Header=BB4_1984 Depth=3
	s_or_b64 exec, exec, s[66:67]
.LBB4_2115:                             ;   in Loop: Header=BB4_1984 Depth=3
	s_or_b64 exec, exec, s[36:37]
.LBB4_2116:                             ;   in Loop: Header=BB4_1984 Depth=3
	s_or_b64 exec, exec, s[28:29]
	v_add_f32_e32 v2, v2, v0
	v_and_b32_sdwa v0, v2, s91 dst_sel:DWORD dst_unused:UNUSED_PAD src0_sel:BYTE_3 src1_sel:DWORD
	v_and_b32_e32 v6, 0x7f800000, v2
	v_mov_b32_e32 v7, v59
	v_and_b32_e32 v58, 0x7fffff, v2
	v_or_b32_e32 v26, 0x7e, v0
	v_cmp_ne_u64_e32 vcc, s[54:55], v[6:7]
	s_and_saveexec_b64 s[28:29], vcc
	s_xor_b64 s[36:37], exec, s[28:29]
	s_cbranch_execz .LBB4_2126
; %bb.2117:                             ;   in Loop: Header=BB4_1984 Depth=3
	v_and_b32_e32 v6, 0x7fffffff, v2
	v_mov_b32_e32 v7, v59
	v_cmp_gt_u64_e32 vcc, s[56:57], v[6:7]
	s_and_saveexec_b64 s[66:67], vcc
	s_cbranch_execz .LBB4_2125
; %bb.2118:                             ;   in Loop: Header=BB4_1984 Depth=3
	v_cmp_ne_u32_e32 vcc, 0, v2
	v_mov_b32_e32 v26, 0
	s_and_saveexec_b64 s[68:69], vcc
	s_cbranch_execz .LBB4_2124
; %bb.2119:                             ;   in Loop: Header=BB4_1984 Depth=3
	v_bfe_u32 v1, v2, 23, 8
	v_sub_u32_e32 v3, 0x79, v1
	v_cmp_gt_u32_e32 vcc, s93, v1
	v_add_u32_e32 v2, 0xffffff81, v1
	v_cndmask_b32_e32 v3, 0, v3, vcc
	v_cmp_eq_u32_e32 vcc, 0, v1
	v_mov_b32_e32 v1, 0xffffff82
	v_cndmask_b32_e32 v1, v2, v1, vcc
	v_mov_b32_e32 v2, 0x78
	v_cndmask_b32_e32 v26, v3, v2, vcc
	v_add_u32_e32 v2, 20, v26
	v_or_b32_e32 v6, 0x800000, v58
	v_lshlrev_b64 v[2:3], v2, -1
	v_cndmask_b32_e32 v58, v6, v58, vcc
	v_not_b32_e32 v2, v2
	v_and_b32_e32 v6, v58, v2
	v_add_u32_e32 v2, 19, v26
	v_lshrrev_b64 v[34:35], v26, v[58:59]
	v_not_b32_e32 v3, v3
	v_lshlrev_b64 v[32:33], v2, 1
	v_lshrrev_b32_e32 v2, 23, v34
	v_and_b32_e32 v7, 0, v3
	v_add3_u32 v26, v26, v1, v2
	v_bfe_u32 v1, v34, 20, 1
	v_add_u32_e32 v1, -1, v1
	v_cmp_eq_u64_e32 vcc, v[6:7], v[32:33]
	v_cndmask_b32_e32 v1, 0, v1, vcc
	v_add_u32_e32 v1, v1, v34
	v_and_b32_e32 v1, 0xfffff, v1
	v_add_co_u32_e32 v52, vcc, v1, v34
	v_add_u32_e32 v3, 6, v26
	v_addc_co_u32_e32 v53, vcc, 0, v35, vcc
	v_cmp_ne_u32_e32 vcc, 0, v3
                                        ; implicit-def: $vgpr2
	s_and_saveexec_b64 s[28:29], vcc
	s_xor_b64 s[28:29], exec, s[28:29]
; %bb.2120:                             ;   in Loop: Header=BB4_1984 Depth=3
	v_add_u32_e32 v1, 7, v26
	v_cmp_lt_u64_e32 vcc, s[58:59], v[52:53]
	v_cndmask_b32_e32 v2, v3, v1, vcc
	v_cndmask_b32_e64 v1, 0, 1, vcc
	v_lshrrev_b64 v[52:53], v1, v[52:53]
; %bb.2121:                             ;   in Loop: Header=BB4_1984 Depth=3
	s_andn2_saveexec_b64 s[28:29], s[28:29]
; %bb.2122:                             ;   in Loop: Header=BB4_1984 Depth=3
	v_bfe_u32 v2, v52, 23, 1
; %bb.2123:                             ;   in Loop: Header=BB4_1984 Depth=3
	s_or_b64 exec, exec, s[28:29]
	v_lshrrev_b64 v[6:7], 20, v[52:53]
	v_cmp_gt_i32_e32 vcc, 16, v2
	v_cndmask_b32_e32 v7, 0, v7, vcc
	v_cndmask_b32_e32 v6, 7, v6, vcc
	v_min_i32_e32 v1, 15, v2
	v_cmp_eq_u32_e32 vcc, 0, v2
	v_cmp_eq_u64_e64 s[28:29], 0, v[6:7]
	v_lshlrev_b32_e32 v1, 3, v1
	v_and_or_b32 v1, v6, 7, v1
	s_and_b64 s[28:29], vcc, s[28:29]
	v_cndmask_b32_e64 v1, v1, 0, s[28:29]
	v_or_b32_e32 v26, v1, v0
.LBB4_2124:                             ;   in Loop: Header=BB4_1984 Depth=3
	s_or_b64 exec, exec, s[68:69]
.LBB4_2125:                             ;   in Loop: Header=BB4_1984 Depth=3
	s_or_b64 exec, exec, s[66:67]
                                        ; implicit-def: $vgpr2
.LBB4_2126:                             ;   in Loop: Header=BB4_1984 Depth=3
	s_andn2_saveexec_b64 s[28:29], s[36:37]
; %bb.2127:                             ;   in Loop: Header=BB4_1984 Depth=3
	v_or_b32_sdwa v0, v2, s92 dst_sel:DWORD dst_unused:UNUSED_PAD src0_sel:BYTE_3 src1_sel:DWORD
	v_cmp_eq_u64_e32 vcc, 0, v[58:59]
	v_cndmask_b32_e32 v26, v0, v26, vcc
; %bb.2128:                             ;   in Loop: Header=BB4_1984 Depth=3
	s_or_b64 exec, exec, s[28:29]
	v_lshrrev_b32_e32 v52, 16, v21
	v_cmp_ne_u16_sdwa vcc, v52, v59 src0_sel:BYTE_0 src1_sel:DWORD
	v_mov_b32_e32 v0, 0
	v_mov_b32_e32 v2, 0
	s_and_saveexec_b64 s[28:29], vcc
	s_cbranch_execz .LBB4_2134
; %bb.2129:                             ;   in Loop: Header=BB4_1984 Depth=3
	v_cmp_ne_u16_sdwa vcc, v52, s91 src0_sel:BYTE_0 src1_sel:DWORD
	v_bfrev_b32_e32 v2, 1
	s_and_saveexec_b64 s[36:37], vcc
	s_cbranch_execz .LBB4_2133
; %bb.2130:                             ;   in Loop: Header=BB4_1984 Depth=3
	v_bfe_u32 v1, v21, 16, 7
	v_cmp_ne_u32_e32 vcc, s92, v1
	v_mov_b32_e32 v2, 0x7f800001
	s_and_saveexec_b64 s[66:67], vcc
	s_cbranch_execz .LBB4_2132
; %bb.2131:                             ;   in Loop: Header=BB4_1984 Depth=3
	v_and_b32_e32 v6, 7, v52
	v_ffbh_u32_e32 v2, v6
	v_min_u32_e32 v31, 32, v2
	v_subrev_u32_e32 v2, 28, v31
	v_lshlrev_b64 v[2:3], v2, v[52:53]
	v_lshrrev_b32_e32 v7, 3, v1
	v_sub_u32_e32 v3, 29, v31
	v_and_b32_e32 v2, 7, v2
	v_cmp_gt_u32_e32 vcc, 8, v1
	v_cndmask_b32_e32 v1, v7, v3, vcc
	v_cndmask_b32_e32 v2, v6, v2, vcc
	v_lshlrev_b32_e32 v3, 24, v52
	v_bfrev_b32_e32 v6, 60
	v_lshlrev_b32_e32 v2, 20, v2
	v_and_b32_e32 v3, 0x80000000, v3
	v_lshl_add_u32 v1, v1, 23, v6
	v_or3_b32 v2, v3, v1, v2
.LBB4_2132:                             ;   in Loop: Header=BB4_1984 Depth=3
	s_or_b64 exec, exec, s[66:67]
.LBB4_2133:                             ;   in Loop: Header=BB4_1984 Depth=3
	s_or_b64 exec, exec, s[36:37]
.LBB4_2134:                             ;   in Loop: Header=BB4_1984 Depth=3
	s_or_b64 exec, exec, s[28:29]
	v_lshrrev_b32_e32 v52, 16, v17
	v_cmp_ne_u16_sdwa vcc, v52, v59 src0_sel:BYTE_0 src1_sel:DWORD
	s_and_saveexec_b64 s[28:29], vcc
	s_cbranch_execz .LBB4_2140
; %bb.2135:                             ;   in Loop: Header=BB4_1984 Depth=3
	v_cmp_ne_u16_sdwa vcc, v52, s91 src0_sel:BYTE_0 src1_sel:DWORD
	v_bfrev_b32_e32 v0, 1
	s_and_saveexec_b64 s[36:37], vcc
	s_cbranch_execz .LBB4_2139
; %bb.2136:                             ;   in Loop: Header=BB4_1984 Depth=3
	v_bfe_u32 v1, v17, 16, 7
	v_cmp_ne_u32_e32 vcc, s92, v1
	v_mov_b32_e32 v0, 0x7f800001
	s_and_saveexec_b64 s[66:67], vcc
	s_cbranch_execz .LBB4_2138
; %bb.2137:                             ;   in Loop: Header=BB4_1984 Depth=3
	v_and_b32_e32 v0, 7, v52
	v_ffbh_u32_e32 v6, v0
	v_min_u32_e32 v31, 32, v6
	v_subrev_u32_e32 v6, 28, v31
	v_lshlrev_b64 v[6:7], v6, v[52:53]
	v_lshrrev_b32_e32 v3, 3, v1
	v_sub_u32_e32 v7, 29, v31
	v_and_b32_e32 v6, 7, v6
	v_cmp_gt_u32_e32 vcc, 8, v1
	v_cndmask_b32_e32 v1, v3, v7, vcc
	v_cndmask_b32_e32 v0, v0, v6, vcc
	v_lshlrev_b32_e32 v3, 8, v17
	v_bfrev_b32_e32 v6, 60
	v_lshlrev_b32_e32 v0, 20, v0
	v_and_b32_e32 v3, 0x80000000, v3
	v_lshl_add_u32 v1, v1, 23, v6
	v_or3_b32 v0, v3, v1, v0
.LBB4_2138:                             ;   in Loop: Header=BB4_1984 Depth=3
	s_or_b64 exec, exec, s[66:67]
.LBB4_2139:                             ;   in Loop: Header=BB4_1984 Depth=3
	s_or_b64 exec, exec, s[36:37]
.LBB4_2140:                             ;   in Loop: Header=BB4_1984 Depth=3
	s_or_b64 exec, exec, s[28:29]
	v_add_f32_e32 v2, v2, v0
	v_and_b32_sdwa v0, v2, s91 dst_sel:DWORD dst_unused:UNUSED_PAD src0_sel:BYTE_3 src1_sel:DWORD
	v_and_b32_e32 v6, 0x7f800000, v2
	v_mov_b32_e32 v7, v59
	v_and_b32_e32 v58, 0x7fffff, v2
	v_or_b32_e32 v36, 0x7e, v0
	v_cmp_ne_u64_e32 vcc, s[54:55], v[6:7]
	s_and_saveexec_b64 s[28:29], vcc
	s_xor_b64 s[36:37], exec, s[28:29]
	s_cbranch_execz .LBB4_2150
; %bb.2141:                             ;   in Loop: Header=BB4_1984 Depth=3
	v_and_b32_e32 v6, 0x7fffffff, v2
	v_mov_b32_e32 v7, v59
	v_cmp_gt_u64_e32 vcc, s[56:57], v[6:7]
	s_and_saveexec_b64 s[66:67], vcc
	s_cbranch_execz .LBB4_2149
; %bb.2142:                             ;   in Loop: Header=BB4_1984 Depth=3
	v_cmp_ne_u32_e32 vcc, 0, v2
	v_mov_b32_e32 v36, 0
	s_and_saveexec_b64 s[68:69], vcc
	s_cbranch_execz .LBB4_2148
; %bb.2143:                             ;   in Loop: Header=BB4_1984 Depth=3
	v_bfe_u32 v1, v2, 23, 8
	v_sub_u32_e32 v3, 0x79, v1
	v_cmp_gt_u32_e32 vcc, s93, v1
	v_add_u32_e32 v2, 0xffffff81, v1
	v_cndmask_b32_e32 v3, 0, v3, vcc
	v_cmp_eq_u32_e32 vcc, 0, v1
	v_mov_b32_e32 v1, 0xffffff82
	v_cndmask_b32_e32 v1, v2, v1, vcc
	v_mov_b32_e32 v2, 0x78
	v_cndmask_b32_e32 v31, v3, v2, vcc
	v_add_u32_e32 v2, 20, v31
	v_or_b32_e32 v6, 0x800000, v58
	v_lshlrev_b64 v[2:3], v2, -1
	v_cndmask_b32_e32 v58, v6, v58, vcc
	v_not_b32_e32 v2, v2
	v_and_b32_e32 v6, v58, v2
	v_add_u32_e32 v2, 19, v31
	v_lshrrev_b64 v[34:35], v31, v[58:59]
	v_not_b32_e32 v3, v3
	v_lshlrev_b64 v[32:33], v2, 1
	v_lshrrev_b32_e32 v2, 23, v34
	v_and_b32_e32 v7, 0, v3
	v_add3_u32 v31, v31, v1, v2
	v_bfe_u32 v1, v34, 20, 1
	v_add_u32_e32 v1, -1, v1
	v_cmp_eq_u64_e32 vcc, v[6:7], v[32:33]
	v_cndmask_b32_e32 v1, 0, v1, vcc
	v_add_u32_e32 v1, v1, v34
	v_and_b32_e32 v1, 0xfffff, v1
	v_add_co_u32_e32 v52, vcc, v1, v34
	v_add_u32_e32 v3, 6, v31
	v_addc_co_u32_e32 v53, vcc, 0, v35, vcc
	v_cmp_ne_u32_e32 vcc, 0, v3
                                        ; implicit-def: $vgpr2
	s_and_saveexec_b64 s[28:29], vcc
	s_xor_b64 s[28:29], exec, s[28:29]
; %bb.2144:                             ;   in Loop: Header=BB4_1984 Depth=3
	v_add_u32_e32 v1, 7, v31
	v_cmp_lt_u64_e32 vcc, s[58:59], v[52:53]
	v_cndmask_b32_e32 v2, v3, v1, vcc
	v_cndmask_b32_e64 v1, 0, 1, vcc
	v_lshrrev_b64 v[52:53], v1, v[52:53]
; %bb.2145:                             ;   in Loop: Header=BB4_1984 Depth=3
	s_andn2_saveexec_b64 s[28:29], s[28:29]
; %bb.2146:                             ;   in Loop: Header=BB4_1984 Depth=3
	v_bfe_u32 v2, v52, 23, 1
; %bb.2147:                             ;   in Loop: Header=BB4_1984 Depth=3
	s_or_b64 exec, exec, s[28:29]
	v_lshrrev_b64 v[6:7], 20, v[52:53]
	v_cmp_gt_i32_e32 vcc, 16, v2
	v_min_i32_e32 v1, 15, v2
	v_cndmask_b32_e32 v7, 0, v7, vcc
	v_cndmask_b32_e32 v6, 7, v6, vcc
	v_lshlrev_b32_e32 v1, 3, v1
	v_cmp_eq_u32_e32 vcc, 0, v2
	v_cmp_eq_u64_e64 s[28:29], 0, v[6:7]
	v_and_b32_e32 v1, 0xf8, v1
	v_and_or_b32 v1, v6, 7, v1
	s_and_b64 s[28:29], vcc, s[28:29]
	v_cndmask_b32_e64 v1, v1, 0, s[28:29]
	v_or_b32_e32 v36, v1, v0
.LBB4_2148:                             ;   in Loop: Header=BB4_1984 Depth=3
	s_or_b64 exec, exec, s[68:69]
.LBB4_2149:                             ;   in Loop: Header=BB4_1984 Depth=3
	s_or_b64 exec, exec, s[66:67]
                                        ; implicit-def: $vgpr2
.LBB4_2150:                             ;   in Loop: Header=BB4_1984 Depth=3
	s_andn2_saveexec_b64 s[28:29], s[36:37]
; %bb.2151:                             ;   in Loop: Header=BB4_1984 Depth=3
	v_or_b32_sdwa v0, v2, s92 dst_sel:DWORD dst_unused:UNUSED_PAD src0_sel:BYTE_3 src1_sel:DWORD
	v_cmp_eq_u64_e32 vcc, 0, v[58:59]
	v_cndmask_b32_e32 v36, v0, v36, vcc
; %bb.2152:                             ;   in Loop: Header=BB4_1984 Depth=3
	s_or_b64 exec, exec, s[28:29]
	v_cmp_lt_u64_e32 vcc, s[44:45], v[20:21]
	v_mov_b32_e32 v0, 0
	v_mov_b32_e32 v2, 0
	s_and_saveexec_b64 s[28:29], vcc
	s_cbranch_execz .LBB4_2158
; %bb.2153:                             ;   in Loop: Header=BB4_1984 Depth=3
	v_lshrrev_b32_e32 v20, 24, v21
	v_cmp_ne_u32_e32 vcc, s91, v20
	v_bfrev_b32_e32 v2, 1
	s_and_saveexec_b64 s[36:37], vcc
	s_cbranch_execz .LBB4_2157
; %bb.2154:                             ;   in Loop: Header=BB4_1984 Depth=3
	v_bfe_u32 v1, v21, 24, 7
	v_cmp_ne_u32_e32 vcc, s92, v1
	v_mov_b32_e32 v2, 0x7f800001
	s_and_saveexec_b64 s[66:67], vcc
	s_cbranch_execz .LBB4_2156
; %bb.2155:                             ;   in Loop: Header=BB4_1984 Depth=3
	v_and_b32_e32 v6, 7, v20
	v_ffbh_u32_e32 v2, v6
	v_min_u32_e32 v21, 32, v2
	v_subrev_u32_e32 v2, 28, v21
	v_lshlrev_b64 v[2:3], v2, v[20:21]
	v_lshrrev_b32_e32 v7, 3, v1
	v_sub_u32_e32 v3, 29, v21
	v_and_b32_e32 v2, 7, v2
	v_cmp_gt_u32_e32 vcc, 8, v1
	v_cndmask_b32_e32 v1, v7, v3, vcc
	v_cndmask_b32_e32 v2, v6, v2, vcc
	v_lshlrev_b32_e32 v3, 24, v20
	v_bfrev_b32_e32 v6, 60
	v_lshlrev_b32_e32 v2, 20, v2
	v_and_b32_e32 v3, 0x80000000, v3
	v_lshl_add_u32 v1, v1, 23, v6
	v_or3_b32 v2, v3, v1, v2
.LBB4_2156:                             ;   in Loop: Header=BB4_1984 Depth=3
	s_or_b64 exec, exec, s[66:67]
.LBB4_2157:                             ;   in Loop: Header=BB4_1984 Depth=3
	s_or_b64 exec, exec, s[36:37]
.LBB4_2158:                             ;   in Loop: Header=BB4_1984 Depth=3
	s_or_b64 exec, exec, s[28:29]
	v_cmp_lt_u64_e32 vcc, s[44:45], v[16:17]
	s_and_saveexec_b64 s[28:29], vcc
	s_cbranch_execz .LBB4_2164
; %bb.2159:                             ;   in Loop: Header=BB4_1984 Depth=3
	v_lshrrev_b32_e32 v16, 24, v17
	v_cmp_ne_u32_e32 vcc, s91, v16
	v_bfrev_b32_e32 v0, 1
	s_and_saveexec_b64 s[36:37], vcc
	s_cbranch_execz .LBB4_2163
; %bb.2160:                             ;   in Loop: Header=BB4_1984 Depth=3
	v_bfe_u32 v1, v17, 24, 7
	v_cmp_ne_u32_e32 vcc, s92, v1
	v_mov_b32_e32 v0, 0x7f800001
	s_and_saveexec_b64 s[66:67], vcc
	s_cbranch_execz .LBB4_2162
; %bb.2161:                             ;   in Loop: Header=BB4_1984 Depth=3
	v_and_b32_e32 v0, 7, v16
	v_ffbh_u32_e32 v6, v0
	v_min_u32_e32 v17, 32, v6
	v_subrev_u32_e32 v6, 28, v17
	v_lshlrev_b64 v[6:7], v6, v[16:17]
	v_lshrrev_b32_e32 v3, 3, v1
	v_sub_u32_e32 v7, 29, v17
	v_and_b32_e32 v6, 7, v6
	v_cmp_gt_u32_e32 vcc, 8, v1
	v_cndmask_b32_e32 v1, v3, v7, vcc
	v_cndmask_b32_e32 v0, v0, v6, vcc
	v_lshlrev_b32_e32 v3, 24, v16
	v_bfrev_b32_e32 v6, 60
	v_lshlrev_b32_e32 v0, 20, v0
	v_and_b32_e32 v3, 0x80000000, v3
	v_lshl_add_u32 v1, v1, 23, v6
	v_or3_b32 v0, v3, v1, v0
.LBB4_2162:                             ;   in Loop: Header=BB4_1984 Depth=3
	s_or_b64 exec, exec, s[66:67]
.LBB4_2163:                             ;   in Loop: Header=BB4_1984 Depth=3
	s_or_b64 exec, exec, s[36:37]
.LBB4_2164:                             ;   in Loop: Header=BB4_1984 Depth=3
	s_or_b64 exec, exec, s[28:29]
	v_add_f32_e32 v2, v2, v0
	v_and_b32_sdwa v0, v2, s91 dst_sel:DWORD dst_unused:UNUSED_PAD src0_sel:BYTE_3 src1_sel:DWORD
	v_and_b32_e32 v6, 0x7f800000, v2
	v_mov_b32_e32 v7, v59
	v_and_b32_e32 v58, 0x7fffff, v2
	v_or_b32_e32 v21, 0x7e, v0
	v_cmp_ne_u64_e32 vcc, s[54:55], v[6:7]
	s_and_saveexec_b64 s[28:29], vcc
	s_xor_b64 s[36:37], exec, s[28:29]
	s_cbranch_execz .LBB4_2174
; %bb.2165:                             ;   in Loop: Header=BB4_1984 Depth=3
	v_and_b32_e32 v6, 0x7fffffff, v2
	v_mov_b32_e32 v7, v59
	v_cmp_gt_u64_e32 vcc, s[56:57], v[6:7]
	s_and_saveexec_b64 s[66:67], vcc
	s_cbranch_execz .LBB4_2173
; %bb.2166:                             ;   in Loop: Header=BB4_1984 Depth=3
	v_cmp_ne_u32_e32 vcc, 0, v2
	v_mov_b32_e32 v21, 0
	s_and_saveexec_b64 s[68:69], vcc
	s_cbranch_execz .LBB4_2172
; %bb.2167:                             ;   in Loop: Header=BB4_1984 Depth=3
	v_bfe_u32 v1, v2, 23, 8
	v_sub_u32_e32 v3, 0x79, v1
	v_cmp_gt_u32_e32 vcc, s93, v1
	v_add_u32_e32 v2, 0xffffff81, v1
	v_cndmask_b32_e32 v3, 0, v3, vcc
	v_cmp_eq_u32_e32 vcc, 0, v1
	v_mov_b32_e32 v1, 0xffffff82
	v_cndmask_b32_e32 v1, v2, v1, vcc
	v_mov_b32_e32 v2, 0x78
	v_cndmask_b32_e32 v20, v3, v2, vcc
	v_add_u32_e32 v2, 20, v20
	v_or_b32_e32 v6, 0x800000, v58
	v_lshlrev_b64 v[2:3], v2, -1
	v_cndmask_b32_e32 v58, v6, v58, vcc
	v_not_b32_e32 v2, v2
	v_and_b32_e32 v6, v58, v2
	v_add_u32_e32 v2, 19, v20
	v_lshrrev_b64 v[32:33], v20, v[58:59]
	v_not_b32_e32 v3, v3
	v_lshlrev_b64 v[16:17], v2, 1
	v_lshrrev_b32_e32 v2, 23, v32
	v_and_b32_e32 v7, 0, v3
	v_add3_u32 v20, v20, v1, v2
	v_bfe_u32 v1, v32, 20, 1
	v_add_u32_e32 v1, -1, v1
	v_cmp_eq_u64_e32 vcc, v[6:7], v[16:17]
	v_cndmask_b32_e32 v1, 0, v1, vcc
	v_add_u32_e32 v1, v1, v32
	v_and_b32_e32 v1, 0xfffff, v1
	v_add_co_u32_e32 v16, vcc, v1, v32
	v_add_u32_e32 v3, 6, v20
	v_addc_co_u32_e32 v17, vcc, 0, v33, vcc
	v_cmp_ne_u32_e32 vcc, 0, v3
                                        ; implicit-def: $vgpr2
	s_and_saveexec_b64 s[28:29], vcc
	s_xor_b64 s[28:29], exec, s[28:29]
; %bb.2168:                             ;   in Loop: Header=BB4_1984 Depth=3
	v_add_u32_e32 v1, 7, v20
	v_cmp_lt_u64_e32 vcc, s[58:59], v[16:17]
	v_cndmask_b32_e32 v2, v3, v1, vcc
	v_cndmask_b32_e64 v1, 0, 1, vcc
	v_lshrrev_b64 v[16:17], v1, v[16:17]
; %bb.2169:                             ;   in Loop: Header=BB4_1984 Depth=3
	s_andn2_saveexec_b64 s[28:29], s[28:29]
; %bb.2170:                             ;   in Loop: Header=BB4_1984 Depth=3
	v_bfe_u32 v2, v16, 23, 1
; %bb.2171:                             ;   in Loop: Header=BB4_1984 Depth=3
	s_or_b64 exec, exec, s[28:29]
	v_lshrrev_b64 v[6:7], 20, v[16:17]
	v_cmp_gt_i32_e32 vcc, 16, v2
	v_min_i32_e32 v1, 15, v2
	v_cndmask_b32_e32 v7, 0, v7, vcc
	v_cndmask_b32_e32 v6, 7, v6, vcc
	v_lshlrev_b32_e32 v1, 3, v1
	v_cmp_eq_u32_e32 vcc, 0, v2
	v_cmp_eq_u64_e64 s[28:29], 0, v[6:7]
	v_and_b32_e32 v1, 0xf8, v1
	v_and_or_b32 v1, v6, 7, v1
	s_and_b64 s[28:29], vcc, s[28:29]
	v_cndmask_b32_e64 v1, v1, 0, s[28:29]
	v_or_b32_e32 v21, v1, v0
.LBB4_2172:                             ;   in Loop: Header=BB4_1984 Depth=3
	s_or_b64 exec, exec, s[68:69]
.LBB4_2173:                             ;   in Loop: Header=BB4_1984 Depth=3
	s_or_b64 exec, exec, s[66:67]
                                        ; implicit-def: $vgpr2
.LBB4_2174:                             ;   in Loop: Header=BB4_1984 Depth=3
	s_andn2_saveexec_b64 s[28:29], s[36:37]
; %bb.2175:                             ;   in Loop: Header=BB4_1984 Depth=3
	v_or_b32_sdwa v0, v2, s92 dst_sel:DWORD dst_unused:UNUSED_PAD src0_sel:BYTE_3 src1_sel:DWORD
	v_cmp_eq_u64_e32 vcc, 0, v[58:59]
	v_cndmask_b32_e32 v21, v0, v21, vcc
; %bb.2176:                             ;   in Loop: Header=BB4_1984 Depth=3
	s_or_b64 exec, exec, s[28:29]
	v_cmp_ne_u16_sdwa vcc, v22, v59 src0_sel:BYTE_0 src1_sel:DWORD
	v_mov_b32_e32 v0, 0
	v_mov_b32_e32 v2, 0
	s_and_saveexec_b64 s[28:29], vcc
	s_cbranch_execz .LBB4_2182
; %bb.2177:                             ;   in Loop: Header=BB4_1984 Depth=3
	v_cmp_ne_u16_sdwa vcc, v22, s91 src0_sel:BYTE_0 src1_sel:DWORD
	v_bfrev_b32_e32 v2, 1
	s_and_saveexec_b64 s[36:37], vcc
	s_cbranch_execz .LBB4_2181
; %bb.2178:                             ;   in Loop: Header=BB4_1984 Depth=3
	v_and_b32_e32 v1, 0x7f, v22
	v_cmp_ne_u32_e32 vcc, s92, v1
	v_mov_b32_e32 v2, 0x7f800001
	s_and_saveexec_b64 s[66:67], vcc
	s_cbranch_execz .LBB4_2180
; %bb.2179:                             ;   in Loop: Header=BB4_1984 Depth=3
	v_and_b32_e32 v2, 7, v22
	v_ffbh_u32_e32 v2, v2
	v_min_u32_e32 v2, 32, v2
	v_lshrrev_b32_e32 v3, 3, v1
	v_subrev_u32_e32 v6, 28, v2
	v_sub_u32_e32 v2, 29, v2
	v_cmp_gt_u32_e32 vcc, 8, v1
	v_cndmask_b32_e32 v1, v3, v2, vcc
	v_cndmask_b32_e32 v2, 0, v6, vcc
	v_lshlrev_b64 v[2:3], v2, v[22:23]
	v_lshlrev_b32_e32 v2, 20, v2
	v_lshlrev_b32_e32 v3, 24, v22
	v_bfrev_b32_e32 v6, 60
	v_and_b32_e32 v2, 0x700000, v2
	v_and_b32_e32 v3, 0x80000000, v3
	v_lshl_add_u32 v1, v1, 23, v6
	v_or3_b32 v2, v3, v1, v2
.LBB4_2180:                             ;   in Loop: Header=BB4_1984 Depth=3
	s_or_b64 exec, exec, s[66:67]
.LBB4_2181:                             ;   in Loop: Header=BB4_1984 Depth=3
	s_or_b64 exec, exec, s[36:37]
.LBB4_2182:                             ;   in Loop: Header=BB4_1984 Depth=3
	s_or_b64 exec, exec, s[28:29]
	v_cmp_ne_u16_sdwa vcc, v18, v59 src0_sel:BYTE_0 src1_sel:DWORD
	s_and_saveexec_b64 s[28:29], vcc
	s_cbranch_execz .LBB4_2188
; %bb.2183:                             ;   in Loop: Header=BB4_1984 Depth=3
	v_cmp_ne_u16_sdwa vcc, v18, s91 src0_sel:BYTE_0 src1_sel:DWORD
	v_bfrev_b32_e32 v0, 1
	s_and_saveexec_b64 s[36:37], vcc
	s_cbranch_execz .LBB4_2187
; %bb.2184:                             ;   in Loop: Header=BB4_1984 Depth=3
	v_and_b32_e32 v1, 0x7f, v18
	v_cmp_ne_u32_e32 vcc, s92, v1
	v_mov_b32_e32 v0, 0x7f800001
	s_and_saveexec_b64 s[66:67], vcc
	s_cbranch_execz .LBB4_2186
; %bb.2185:                             ;   in Loop: Header=BB4_1984 Depth=3
	v_and_b32_e32 v0, 7, v18
	v_ffbh_u32_e32 v0, v0
	v_min_u32_e32 v0, 32, v0
	v_lshrrev_b32_e32 v3, 3, v1
	v_subrev_u32_e32 v6, 28, v0
	v_sub_u32_e32 v0, 29, v0
	v_cmp_gt_u32_e32 vcc, 8, v1
	v_cndmask_b32_e32 v3, v3, v0, vcc
	v_cndmask_b32_e32 v0, 0, v6, vcc
	v_lshlrev_b64 v[0:1], v0, v[18:19]
	v_lshlrev_b32_e32 v0, 20, v0
	v_lshlrev_b32_e32 v1, 24, v18
	v_bfrev_b32_e32 v6, 60
	v_and_b32_e32 v0, 0x700000, v0
	v_and_b32_e32 v1, 0x80000000, v1
	v_lshl_add_u32 v3, v3, 23, v6
	v_or3_b32 v0, v1, v3, v0
.LBB4_2186:                             ;   in Loop: Header=BB4_1984 Depth=3
	s_or_b64 exec, exec, s[66:67]
.LBB4_2187:                             ;   in Loop: Header=BB4_1984 Depth=3
	s_or_b64 exec, exec, s[36:37]
.LBB4_2188:                             ;   in Loop: Header=BB4_1984 Depth=3
	s_or_b64 exec, exec, s[28:29]
	v_add_f32_e32 v2, v2, v0
	v_and_b32_sdwa v0, v2, s91 dst_sel:DWORD dst_unused:UNUSED_PAD src0_sel:BYTE_3 src1_sel:DWORD
	v_and_b32_e32 v6, 0x7f800000, v2
	v_mov_b32_e32 v7, v59
	v_and_b32_e32 v58, 0x7fffff, v2
	v_or_b32_e32 v37, 0x7e, v0
	v_cmp_ne_u64_e32 vcc, s[54:55], v[6:7]
	s_and_saveexec_b64 s[28:29], vcc
	s_xor_b64 s[36:37], exec, s[28:29]
	s_cbranch_execz .LBB4_2198
; %bb.2189:                             ;   in Loop: Header=BB4_1984 Depth=3
	v_and_b32_e32 v6, 0x7fffffff, v2
	v_mov_b32_e32 v7, v59
	v_cmp_gt_u64_e32 vcc, s[56:57], v[6:7]
	s_and_saveexec_b64 s[66:67], vcc
	s_cbranch_execz .LBB4_2197
; %bb.2190:                             ;   in Loop: Header=BB4_1984 Depth=3
	v_cmp_ne_u32_e32 vcc, 0, v2
	v_mov_b32_e32 v37, 0
	s_and_saveexec_b64 s[68:69], vcc
	s_cbranch_execz .LBB4_2196
; %bb.2191:                             ;   in Loop: Header=BB4_1984 Depth=3
	v_bfe_u32 v1, v2, 23, 8
	v_sub_u32_e32 v3, 0x79, v1
	v_cmp_gt_u32_e32 vcc, s93, v1
	v_add_u32_e32 v2, 0xffffff81, v1
	v_cndmask_b32_e32 v3, 0, v3, vcc
	v_cmp_eq_u32_e32 vcc, 0, v1
	v_mov_b32_e32 v1, 0xffffff82
	v_cndmask_b32_e32 v1, v2, v1, vcc
	v_mov_b32_e32 v2, 0x78
	v_cndmask_b32_e32 v20, v3, v2, vcc
	v_add_u32_e32 v2, 20, v20
	v_or_b32_e32 v6, 0x800000, v58
	v_lshlrev_b64 v[2:3], v2, -1
	v_cndmask_b32_e32 v58, v6, v58, vcc
	v_not_b32_e32 v2, v2
	v_and_b32_e32 v6, v58, v2
	v_add_u32_e32 v2, 19, v20
	v_lshrrev_b64 v[32:33], v20, v[58:59]
	v_not_b32_e32 v3, v3
	v_lshlrev_b64 v[16:17], v2, 1
	v_lshrrev_b32_e32 v2, 23, v32
	v_and_b32_e32 v7, 0, v3
	v_add3_u32 v20, v20, v1, v2
	v_bfe_u32 v1, v32, 20, 1
	v_add_u32_e32 v1, -1, v1
	v_cmp_eq_u64_e32 vcc, v[6:7], v[16:17]
	v_cndmask_b32_e32 v1, 0, v1, vcc
	v_add_u32_e32 v1, v1, v32
	v_and_b32_e32 v1, 0xfffff, v1
	v_add_co_u32_e32 v16, vcc, v1, v32
	v_add_u32_e32 v3, 6, v20
	v_addc_co_u32_e32 v17, vcc, 0, v33, vcc
	v_cmp_ne_u32_e32 vcc, 0, v3
                                        ; implicit-def: $vgpr2
	s_and_saveexec_b64 s[28:29], vcc
	s_xor_b64 s[28:29], exec, s[28:29]
; %bb.2192:                             ;   in Loop: Header=BB4_1984 Depth=3
	v_add_u32_e32 v1, 7, v20
	v_cmp_lt_u64_e32 vcc, s[58:59], v[16:17]
	v_cndmask_b32_e32 v2, v3, v1, vcc
	v_cndmask_b32_e64 v1, 0, 1, vcc
	v_lshrrev_b64 v[16:17], v1, v[16:17]
; %bb.2193:                             ;   in Loop: Header=BB4_1984 Depth=3
	s_andn2_saveexec_b64 s[28:29], s[28:29]
; %bb.2194:                             ;   in Loop: Header=BB4_1984 Depth=3
	v_bfe_u32 v2, v16, 23, 1
; %bb.2195:                             ;   in Loop: Header=BB4_1984 Depth=3
	s_or_b64 exec, exec, s[28:29]
	v_lshrrev_b64 v[6:7], 20, v[16:17]
	v_cmp_gt_i32_e32 vcc, 16, v2
	v_cndmask_b32_e32 v7, 0, v7, vcc
	v_cndmask_b32_e32 v6, 7, v6, vcc
	v_min_i32_e32 v1, 15, v2
	v_cmp_eq_u32_e32 vcc, 0, v2
	v_cmp_eq_u64_e64 s[28:29], 0, v[6:7]
	v_lshlrev_b32_e32 v1, 3, v1
	v_and_or_b32 v1, v6, 7, v1
	s_and_b64 s[28:29], vcc, s[28:29]
	v_cndmask_b32_e64 v1, v1, 0, s[28:29]
	v_or_b32_e32 v37, v1, v0
.LBB4_2196:                             ;   in Loop: Header=BB4_1984 Depth=3
	s_or_b64 exec, exec, s[68:69]
.LBB4_2197:                             ;   in Loop: Header=BB4_1984 Depth=3
	s_or_b64 exec, exec, s[66:67]
                                        ; implicit-def: $vgpr2
.LBB4_2198:                             ;   in Loop: Header=BB4_1984 Depth=3
	s_andn2_saveexec_b64 s[28:29], s[36:37]
; %bb.2199:                             ;   in Loop: Header=BB4_1984 Depth=3
	v_or_b32_sdwa v0, v2, s92 dst_sel:DWORD dst_unused:UNUSED_PAD src0_sel:BYTE_3 src1_sel:DWORD
	v_cmp_eq_u64_e32 vcc, 0, v[58:59]
	v_cndmask_b32_e32 v37, v0, v37, vcc
; %bb.2200:                             ;   in Loop: Header=BB4_1984 Depth=3
	s_or_b64 exec, exec, s[28:29]
	v_lshrrev_b16_e32 v16, 8, v22
	v_cmp_ne_u16_e32 vcc, 0, v16
	v_mov_b32_e32 v0, 0
	v_mov_b32_e32 v2, 0
	s_and_saveexec_b64 s[28:29], vcc
	s_cbranch_execz .LBB4_2206
; %bb.2201:                             ;   in Loop: Header=BB4_1984 Depth=3
	v_cmp_ne_u16_e32 vcc, s91, v16
	v_bfrev_b32_e32 v2, 1
	s_and_saveexec_b64 s[36:37], vcc
	s_cbranch_execz .LBB4_2205
; %bb.2202:                             ;   in Loop: Header=BB4_1984 Depth=3
	v_and_b32_e32 v1, 0x7f, v16
	v_cmp_ne_u32_e32 vcc, s92, v1
	v_mov_b32_e32 v2, 0x7f800001
	s_and_saveexec_b64 s[66:67], vcc
	s_cbranch_execz .LBB4_2204
; %bb.2203:                             ;   in Loop: Header=BB4_1984 Depth=3
	v_and_b32_e32 v6, 7, v16
	v_ffbh_u32_e32 v2, v6
	v_min_u32_e32 v17, 32, v2
	v_subrev_u32_e32 v2, 28, v17
	v_lshlrev_b64 v[2:3], v2, v[16:17]
	v_lshrrev_b32_e32 v7, 3, v1
	v_sub_u32_e32 v3, 29, v17
	v_and_b32_e32 v2, 7, v2
	v_cmp_gt_u32_e32 vcc, 8, v1
	v_cndmask_b32_e32 v1, v7, v3, vcc
	v_cndmask_b32_e32 v2, v6, v2, vcc
	v_lshlrev_b32_e32 v3, 16, v22
	v_bfrev_b32_e32 v6, 60
	v_lshlrev_b32_e32 v2, 20, v2
	v_and_b32_e32 v3, 0x80000000, v3
	v_lshl_add_u32 v1, v1, 23, v6
	v_or3_b32 v2, v3, v1, v2
.LBB4_2204:                             ;   in Loop: Header=BB4_1984 Depth=3
	s_or_b64 exec, exec, s[66:67]
.LBB4_2205:                             ;   in Loop: Header=BB4_1984 Depth=3
	s_or_b64 exec, exec, s[36:37]
.LBB4_2206:                             ;   in Loop: Header=BB4_1984 Depth=3
	s_or_b64 exec, exec, s[28:29]
	v_lshrrev_b16_e32 v16, 8, v18
	v_cmp_ne_u16_e32 vcc, 0, v16
	s_and_saveexec_b64 s[28:29], vcc
	s_cbranch_execz .LBB4_2212
; %bb.2207:                             ;   in Loop: Header=BB4_1984 Depth=3
	v_cmp_ne_u16_e32 vcc, s91, v16
	v_bfrev_b32_e32 v0, 1
	s_and_saveexec_b64 s[36:37], vcc
	s_cbranch_execz .LBB4_2211
; %bb.2208:                             ;   in Loop: Header=BB4_1984 Depth=3
	v_and_b32_e32 v1, 0x7f, v16
	v_cmp_ne_u32_e32 vcc, s92, v1
	v_mov_b32_e32 v0, 0x7f800001
	s_and_saveexec_b64 s[66:67], vcc
	s_cbranch_execz .LBB4_2210
; %bb.2209:                             ;   in Loop: Header=BB4_1984 Depth=3
	v_and_b32_e32 v0, 7, v16
	v_ffbh_u32_e32 v6, v0
	v_min_u32_e32 v17, 32, v6
	v_subrev_u32_e32 v6, 28, v17
	v_lshlrev_b64 v[6:7], v6, v[16:17]
	v_lshrrev_b32_e32 v3, 3, v1
	v_sub_u32_e32 v7, 29, v17
	v_and_b32_e32 v6, 7, v6
	v_cmp_gt_u32_e32 vcc, 8, v1
	v_cndmask_b32_e32 v1, v3, v7, vcc
	v_cndmask_b32_e32 v0, v0, v6, vcc
	v_lshlrev_b32_e32 v3, 16, v18
	v_bfrev_b32_e32 v6, 60
	v_lshlrev_b32_e32 v0, 20, v0
	v_and_b32_e32 v3, 0x80000000, v3
	v_lshl_add_u32 v1, v1, 23, v6
	v_or3_b32 v0, v3, v1, v0
.LBB4_2210:                             ;   in Loop: Header=BB4_1984 Depth=3
	s_or_b64 exec, exec, s[66:67]
.LBB4_2211:                             ;   in Loop: Header=BB4_1984 Depth=3
	s_or_b64 exec, exec, s[36:37]
.LBB4_2212:                             ;   in Loop: Header=BB4_1984 Depth=3
	s_or_b64 exec, exec, s[28:29]
	v_add_f32_e32 v2, v2, v0
	v_and_b32_sdwa v0, v2, s91 dst_sel:DWORD dst_unused:UNUSED_PAD src0_sel:BYTE_3 src1_sel:DWORD
	v_and_b32_e32 v6, 0x7f800000, v2
	v_mov_b32_e32 v7, v59
	v_and_b32_e32 v58, 0x7fffff, v2
	v_or_b32_e32 v52, 0x7e, v0
	v_cmp_ne_u64_e32 vcc, s[54:55], v[6:7]
	s_and_saveexec_b64 s[28:29], vcc
	s_xor_b64 s[36:37], exec, s[28:29]
	s_cbranch_execz .LBB4_2222
; %bb.2213:                             ;   in Loop: Header=BB4_1984 Depth=3
	v_and_b32_e32 v6, 0x7fffffff, v2
	v_mov_b32_e32 v7, v59
	v_cmp_gt_u64_e32 vcc, s[56:57], v[6:7]
	s_and_saveexec_b64 s[66:67], vcc
	s_cbranch_execz .LBB4_2221
; %bb.2214:                             ;   in Loop: Header=BB4_1984 Depth=3
	v_cmp_ne_u32_e32 vcc, 0, v2
	v_mov_b32_e32 v52, 0
	s_and_saveexec_b64 s[68:69], vcc
	s_cbranch_execz .LBB4_2220
; %bb.2215:                             ;   in Loop: Header=BB4_1984 Depth=3
	v_bfe_u32 v1, v2, 23, 8
	v_sub_u32_e32 v3, 0x79, v1
	v_cmp_gt_u32_e32 vcc, s93, v1
	v_add_u32_e32 v2, 0xffffff81, v1
	v_cndmask_b32_e32 v3, 0, v3, vcc
	v_cmp_eq_u32_e32 vcc, 0, v1
	v_mov_b32_e32 v1, 0xffffff82
	v_cndmask_b32_e32 v1, v2, v1, vcc
	v_mov_b32_e32 v2, 0x78
	v_cndmask_b32_e32 v20, v3, v2, vcc
	v_add_u32_e32 v2, 20, v20
	v_or_b32_e32 v6, 0x800000, v58
	v_lshlrev_b64 v[2:3], v2, -1
	v_cndmask_b32_e32 v58, v6, v58, vcc
	v_not_b32_e32 v2, v2
	v_and_b32_e32 v6, v58, v2
	v_add_u32_e32 v2, 19, v20
	v_lshrrev_b64 v[32:33], v20, v[58:59]
	v_not_b32_e32 v3, v3
	v_lshlrev_b64 v[16:17], v2, 1
	v_lshrrev_b32_e32 v2, 23, v32
	v_and_b32_e32 v7, 0, v3
	v_add3_u32 v20, v20, v1, v2
	v_bfe_u32 v1, v32, 20, 1
	v_add_u32_e32 v1, -1, v1
	v_cmp_eq_u64_e32 vcc, v[6:7], v[16:17]
	v_cndmask_b32_e32 v1, 0, v1, vcc
	v_add_u32_e32 v1, v1, v32
	v_and_b32_e32 v1, 0xfffff, v1
	v_add_co_u32_e32 v16, vcc, v1, v32
	v_add_u32_e32 v3, 6, v20
	v_addc_co_u32_e32 v17, vcc, 0, v33, vcc
	v_cmp_ne_u32_e32 vcc, 0, v3
                                        ; implicit-def: $vgpr2
	s_and_saveexec_b64 s[28:29], vcc
	s_xor_b64 s[28:29], exec, s[28:29]
; %bb.2216:                             ;   in Loop: Header=BB4_1984 Depth=3
	v_add_u32_e32 v1, 7, v20
	v_cmp_lt_u64_e32 vcc, s[58:59], v[16:17]
	v_cndmask_b32_e32 v2, v3, v1, vcc
	v_cndmask_b32_e64 v1, 0, 1, vcc
	v_lshrrev_b64 v[16:17], v1, v[16:17]
; %bb.2217:                             ;   in Loop: Header=BB4_1984 Depth=3
	s_andn2_saveexec_b64 s[28:29], s[28:29]
; %bb.2218:                             ;   in Loop: Header=BB4_1984 Depth=3
	v_bfe_u32 v2, v16, 23, 1
; %bb.2219:                             ;   in Loop: Header=BB4_1984 Depth=3
	s_or_b64 exec, exec, s[28:29]
	v_lshrrev_b64 v[6:7], 20, v[16:17]
	v_cmp_gt_i32_e32 vcc, 16, v2
	v_cndmask_b32_e32 v7, 0, v7, vcc
	v_cndmask_b32_e32 v6, 7, v6, vcc
	v_min_i32_e32 v1, 15, v2
	v_cmp_eq_u32_e32 vcc, 0, v2
	v_cmp_eq_u64_e64 s[28:29], 0, v[6:7]
	v_lshlrev_b32_e32 v1, 3, v1
	v_and_or_b32 v1, v6, 7, v1
	s_and_b64 s[28:29], vcc, s[28:29]
	v_cndmask_b32_e64 v1, v1, 0, s[28:29]
	v_or_b32_e32 v52, v1, v0
.LBB4_2220:                             ;   in Loop: Header=BB4_1984 Depth=3
	s_or_b64 exec, exec, s[68:69]
.LBB4_2221:                             ;   in Loop: Header=BB4_1984 Depth=3
	s_or_b64 exec, exec, s[66:67]
                                        ; implicit-def: $vgpr2
.LBB4_2222:                             ;   in Loop: Header=BB4_1984 Depth=3
	s_andn2_saveexec_b64 s[28:29], s[36:37]
; %bb.2223:                             ;   in Loop: Header=BB4_1984 Depth=3
	v_or_b32_sdwa v0, v2, s92 dst_sel:DWORD dst_unused:UNUSED_PAD src0_sel:BYTE_3 src1_sel:DWORD
	v_cmp_eq_u64_e32 vcc, 0, v[58:59]
	v_cndmask_b32_e32 v52, v0, v52, vcc
; %bb.2224:                             ;   in Loop: Header=BB4_1984 Depth=3
	s_or_b64 exec, exec, s[28:29]
	v_lshrrev_b32_e32 v16, 16, v22
	v_cmp_ne_u16_sdwa vcc, v16, v59 src0_sel:BYTE_0 src1_sel:DWORD
	v_mov_b32_e32 v0, 0
	v_mov_b32_e32 v2, 0
	s_and_saveexec_b64 s[28:29], vcc
	s_cbranch_execz .LBB4_2230
; %bb.2225:                             ;   in Loop: Header=BB4_1984 Depth=3
	v_cmp_ne_u16_sdwa vcc, v16, s91 src0_sel:BYTE_0 src1_sel:DWORD
	v_bfrev_b32_e32 v2, 1
	s_and_saveexec_b64 s[36:37], vcc
	s_cbranch_execz .LBB4_2229
; %bb.2226:                             ;   in Loop: Header=BB4_1984 Depth=3
	v_bfe_u32 v1, v22, 16, 7
	v_cmp_ne_u32_e32 vcc, s92, v1
	v_mov_b32_e32 v2, 0x7f800001
	s_and_saveexec_b64 s[66:67], vcc
	s_cbranch_execz .LBB4_2228
; %bb.2227:                             ;   in Loop: Header=BB4_1984 Depth=3
	v_and_b32_e32 v6, 7, v16
	v_ffbh_u32_e32 v2, v6
	v_min_u32_e32 v17, 32, v2
	v_subrev_u32_e32 v2, 28, v17
	v_lshlrev_b64 v[2:3], v2, v[16:17]
	v_lshrrev_b32_e32 v7, 3, v1
	v_sub_u32_e32 v3, 29, v17
	v_and_b32_e32 v2, 7, v2
	v_cmp_gt_u32_e32 vcc, 8, v1
	v_cndmask_b32_e32 v1, v7, v3, vcc
	v_cndmask_b32_e32 v2, v6, v2, vcc
	v_lshlrev_b32_e32 v3, 24, v16
	v_bfrev_b32_e32 v6, 60
	v_lshlrev_b32_e32 v2, 20, v2
	v_and_b32_e32 v3, 0x80000000, v3
	v_lshl_add_u32 v1, v1, 23, v6
	v_or3_b32 v2, v3, v1, v2
.LBB4_2228:                             ;   in Loop: Header=BB4_1984 Depth=3
	s_or_b64 exec, exec, s[66:67]
.LBB4_2229:                             ;   in Loop: Header=BB4_1984 Depth=3
	s_or_b64 exec, exec, s[36:37]
.LBB4_2230:                             ;   in Loop: Header=BB4_1984 Depth=3
	s_or_b64 exec, exec, s[28:29]
	v_lshrrev_b32_e32 v16, 16, v18
	v_cmp_ne_u16_sdwa vcc, v16, v59 src0_sel:BYTE_0 src1_sel:DWORD
	s_and_saveexec_b64 s[28:29], vcc
	s_cbranch_execz .LBB4_2236
; %bb.2231:                             ;   in Loop: Header=BB4_1984 Depth=3
	v_cmp_ne_u16_sdwa vcc, v16, s91 src0_sel:BYTE_0 src1_sel:DWORD
	v_bfrev_b32_e32 v0, 1
	s_and_saveexec_b64 s[36:37], vcc
	s_cbranch_execz .LBB4_2235
; %bb.2232:                             ;   in Loop: Header=BB4_1984 Depth=3
	v_bfe_u32 v1, v18, 16, 7
	v_cmp_ne_u32_e32 vcc, s92, v1
	v_mov_b32_e32 v0, 0x7f800001
	s_and_saveexec_b64 s[66:67], vcc
	s_cbranch_execz .LBB4_2234
; %bb.2233:                             ;   in Loop: Header=BB4_1984 Depth=3
	v_and_b32_e32 v0, 7, v16
	v_ffbh_u32_e32 v6, v0
	v_min_u32_e32 v17, 32, v6
	v_subrev_u32_e32 v6, 28, v17
	v_lshlrev_b64 v[6:7], v6, v[16:17]
	v_lshrrev_b32_e32 v3, 3, v1
	v_sub_u32_e32 v7, 29, v17
	v_and_b32_e32 v6, 7, v6
	v_cmp_gt_u32_e32 vcc, 8, v1
	v_cndmask_b32_e32 v1, v3, v7, vcc
	v_cndmask_b32_e32 v0, v0, v6, vcc
	v_lshlrev_b32_e32 v3, 8, v18
	v_bfrev_b32_e32 v6, 60
	v_lshlrev_b32_e32 v0, 20, v0
	v_and_b32_e32 v3, 0x80000000, v3
	v_lshl_add_u32 v1, v1, 23, v6
	v_or3_b32 v0, v3, v1, v0
.LBB4_2234:                             ;   in Loop: Header=BB4_1984 Depth=3
	s_or_b64 exec, exec, s[66:67]
.LBB4_2235:                             ;   in Loop: Header=BB4_1984 Depth=3
	s_or_b64 exec, exec, s[36:37]
.LBB4_2236:                             ;   in Loop: Header=BB4_1984 Depth=3
	s_or_b64 exec, exec, s[28:29]
	v_add_f32_e32 v2, v2, v0
	v_and_b32_sdwa v0, v2, s91 dst_sel:DWORD dst_unused:UNUSED_PAD src0_sel:BYTE_3 src1_sel:DWORD
	v_and_b32_e32 v6, 0x7f800000, v2
	v_mov_b32_e32 v7, v59
	v_and_b32_e32 v58, 0x7fffff, v2
	v_or_b32_e32 v53, 0x7e, v0
	v_cmp_ne_u64_e32 vcc, s[54:55], v[6:7]
	s_and_saveexec_b64 s[28:29], vcc
	s_xor_b64 s[36:37], exec, s[28:29]
	s_cbranch_execz .LBB4_2246
; %bb.2237:                             ;   in Loop: Header=BB4_1984 Depth=3
	v_and_b32_e32 v6, 0x7fffffff, v2
	v_mov_b32_e32 v7, v59
	v_cmp_gt_u64_e32 vcc, s[56:57], v[6:7]
	s_and_saveexec_b64 s[66:67], vcc
	s_cbranch_execz .LBB4_2245
; %bb.2238:                             ;   in Loop: Header=BB4_1984 Depth=3
	v_cmp_ne_u32_e32 vcc, 0, v2
	v_mov_b32_e32 v53, 0
	s_and_saveexec_b64 s[68:69], vcc
	s_cbranch_execz .LBB4_2244
; %bb.2239:                             ;   in Loop: Header=BB4_1984 Depth=3
	v_bfe_u32 v1, v2, 23, 8
	v_sub_u32_e32 v3, 0x79, v1
	v_cmp_gt_u32_e32 vcc, s93, v1
	v_add_u32_e32 v2, 0xffffff81, v1
	v_cndmask_b32_e32 v3, 0, v3, vcc
	v_cmp_eq_u32_e32 vcc, 0, v1
	v_mov_b32_e32 v1, 0xffffff82
	v_cndmask_b32_e32 v1, v2, v1, vcc
	v_mov_b32_e32 v2, 0x78
	v_cndmask_b32_e32 v20, v3, v2, vcc
	v_add_u32_e32 v2, 20, v20
	v_or_b32_e32 v6, 0x800000, v58
	v_lshlrev_b64 v[2:3], v2, -1
	v_cndmask_b32_e32 v58, v6, v58, vcc
	v_not_b32_e32 v2, v2
	v_and_b32_e32 v6, v58, v2
	v_add_u32_e32 v2, 19, v20
	v_lshrrev_b64 v[32:33], v20, v[58:59]
	v_not_b32_e32 v3, v3
	v_lshlrev_b64 v[16:17], v2, 1
	v_lshrrev_b32_e32 v2, 23, v32
	v_and_b32_e32 v7, 0, v3
	v_add3_u32 v20, v20, v1, v2
	v_bfe_u32 v1, v32, 20, 1
	v_add_u32_e32 v1, -1, v1
	v_cmp_eq_u64_e32 vcc, v[6:7], v[16:17]
	v_cndmask_b32_e32 v1, 0, v1, vcc
	v_add_u32_e32 v1, v1, v32
	v_and_b32_e32 v1, 0xfffff, v1
	v_add_co_u32_e32 v16, vcc, v1, v32
	v_add_u32_e32 v3, 6, v20
	v_addc_co_u32_e32 v17, vcc, 0, v33, vcc
	v_cmp_ne_u32_e32 vcc, 0, v3
                                        ; implicit-def: $vgpr2
	s_and_saveexec_b64 s[28:29], vcc
	s_xor_b64 s[28:29], exec, s[28:29]
; %bb.2240:                             ;   in Loop: Header=BB4_1984 Depth=3
	v_add_u32_e32 v1, 7, v20
	v_cmp_lt_u64_e32 vcc, s[58:59], v[16:17]
	v_cndmask_b32_e32 v2, v3, v1, vcc
	v_cndmask_b32_e64 v1, 0, 1, vcc
	v_lshrrev_b64 v[16:17], v1, v[16:17]
; %bb.2241:                             ;   in Loop: Header=BB4_1984 Depth=3
	s_andn2_saveexec_b64 s[28:29], s[28:29]
; %bb.2242:                             ;   in Loop: Header=BB4_1984 Depth=3
	v_bfe_u32 v2, v16, 23, 1
; %bb.2243:                             ;   in Loop: Header=BB4_1984 Depth=3
	s_or_b64 exec, exec, s[28:29]
	v_lshrrev_b64 v[6:7], 20, v[16:17]
	v_cmp_gt_i32_e32 vcc, 16, v2
	v_cndmask_b32_e32 v7, 0, v7, vcc
	v_cndmask_b32_e32 v6, 7, v6, vcc
	v_min_i32_e32 v1, 15, v2
	v_cmp_eq_u32_e32 vcc, 0, v2
	v_cmp_eq_u64_e64 s[28:29], 0, v[6:7]
	v_lshlrev_b32_e32 v1, 3, v1
	v_and_or_b32 v1, v6, 7, v1
	s_and_b64 s[28:29], vcc, s[28:29]
	v_cndmask_b32_e64 v1, v1, 0, s[28:29]
	v_or_b32_e32 v53, v1, v0
.LBB4_2244:                             ;   in Loop: Header=BB4_1984 Depth=3
	s_or_b64 exec, exec, s[68:69]
.LBB4_2245:                             ;   in Loop: Header=BB4_1984 Depth=3
	s_or_b64 exec, exec, s[66:67]
                                        ; implicit-def: $vgpr2
.LBB4_2246:                             ;   in Loop: Header=BB4_1984 Depth=3
	s_andn2_saveexec_b64 s[28:29], s[36:37]
; %bb.2247:                             ;   in Loop: Header=BB4_1984 Depth=3
	v_or_b32_sdwa v0, v2, s92 dst_sel:DWORD dst_unused:UNUSED_PAD src0_sel:BYTE_3 src1_sel:DWORD
	v_cmp_eq_u64_e32 vcc, 0, v[58:59]
	v_cndmask_b32_e32 v53, v0, v53, vcc
; %bb.2248:                             ;   in Loop: Header=BB4_1984 Depth=3
	s_or_b64 exec, exec, s[28:29]
	v_cmp_lt_u32_e32 vcc, s45, v22
	v_mov_b32_e32 v0, 0
	v_mov_b32_e32 v2, 0
	s_and_saveexec_b64 s[28:29], vcc
	s_cbranch_execz .LBB4_2254
; %bb.2249:                             ;   in Loop: Header=BB4_1984 Depth=3
	v_lshrrev_b32_e32 v16, 24, v22
	v_cmp_ne_u32_e32 vcc, s91, v16
	v_bfrev_b32_e32 v2, 1
	s_and_saveexec_b64 s[36:37], vcc
	s_cbranch_execz .LBB4_2253
; %bb.2250:                             ;   in Loop: Header=BB4_1984 Depth=3
	v_bfe_u32 v1, v22, 24, 7
	v_cmp_ne_u32_e32 vcc, s92, v1
	v_mov_b32_e32 v2, 0x7f800001
	s_and_saveexec_b64 s[66:67], vcc
	s_cbranch_execz .LBB4_2252
; %bb.2251:                             ;   in Loop: Header=BB4_1984 Depth=3
	v_and_b32_e32 v6, 7, v16
	v_ffbh_u32_e32 v2, v6
	v_min_u32_e32 v17, 32, v2
	v_subrev_u32_e32 v2, 28, v17
	v_lshlrev_b64 v[2:3], v2, v[16:17]
	v_lshrrev_b32_e32 v7, 3, v1
	v_sub_u32_e32 v3, 29, v17
	v_and_b32_e32 v2, 7, v2
	v_cmp_gt_u32_e32 vcc, 8, v1
	v_cndmask_b32_e32 v1, v7, v3, vcc
	v_cndmask_b32_e32 v2, v6, v2, vcc
	v_lshlrev_b32_e32 v3, 24, v16
	v_bfrev_b32_e32 v6, 60
	v_lshlrev_b32_e32 v2, 20, v2
	v_and_b32_e32 v3, 0x80000000, v3
	v_lshl_add_u32 v1, v1, 23, v6
	v_or3_b32 v2, v3, v1, v2
.LBB4_2252:                             ;   in Loop: Header=BB4_1984 Depth=3
	s_or_b64 exec, exec, s[66:67]
.LBB4_2253:                             ;   in Loop: Header=BB4_1984 Depth=3
	s_or_b64 exec, exec, s[36:37]
.LBB4_2254:                             ;   in Loop: Header=BB4_1984 Depth=3
	s_or_b64 exec, exec, s[28:29]
	v_cmp_lt_u32_e32 vcc, s45, v18
	s_and_saveexec_b64 s[28:29], vcc
	s_cbranch_execz .LBB4_2260
; %bb.2255:                             ;   in Loop: Header=BB4_1984 Depth=3
	v_lshrrev_b32_e32 v16, 24, v18
	v_cmp_ne_u32_e32 vcc, s91, v16
	v_bfrev_b32_e32 v0, 1
	s_and_saveexec_b64 s[36:37], vcc
	s_cbranch_execz .LBB4_2259
; %bb.2256:                             ;   in Loop: Header=BB4_1984 Depth=3
	v_bfe_u32 v1, v18, 24, 7
	v_cmp_ne_u32_e32 vcc, s92, v1
	v_mov_b32_e32 v0, 0x7f800001
	s_and_saveexec_b64 s[66:67], vcc
	s_cbranch_execz .LBB4_2258
; %bb.2257:                             ;   in Loop: Header=BB4_1984 Depth=3
	v_and_b32_e32 v0, 7, v16
	v_ffbh_u32_e32 v6, v0
	v_min_u32_e32 v17, 32, v6
	v_subrev_u32_e32 v6, 28, v17
	v_lshlrev_b64 v[6:7], v6, v[16:17]
	v_lshrrev_b32_e32 v3, 3, v1
	v_sub_u32_e32 v7, 29, v17
	v_and_b32_e32 v6, 7, v6
	v_cmp_gt_u32_e32 vcc, 8, v1
	v_cndmask_b32_e32 v1, v3, v7, vcc
	v_cndmask_b32_e32 v0, v0, v6, vcc
	v_lshlrev_b32_e32 v3, 24, v16
	v_bfrev_b32_e32 v6, 60
	v_lshlrev_b32_e32 v0, 20, v0
	v_and_b32_e32 v3, 0x80000000, v3
	v_lshl_add_u32 v1, v1, 23, v6
	v_or3_b32 v0, v3, v1, v0
.LBB4_2258:                             ;   in Loop: Header=BB4_1984 Depth=3
	s_or_b64 exec, exec, s[66:67]
.LBB4_2259:                             ;   in Loop: Header=BB4_1984 Depth=3
	s_or_b64 exec, exec, s[36:37]
.LBB4_2260:                             ;   in Loop: Header=BB4_1984 Depth=3
	s_or_b64 exec, exec, s[28:29]
	v_add_f32_e32 v2, v2, v0
	v_and_b32_sdwa v0, v2, s91 dst_sel:DWORD dst_unused:UNUSED_PAD src0_sel:BYTE_3 src1_sel:DWORD
	v_and_b32_e32 v6, 0x7f800000, v2
	v_mov_b32_e32 v7, v59
	v_and_b32_e32 v58, 0x7fffff, v2
	v_or_b32_e32 v38, 0x7e, v0
	v_cmp_ne_u64_e32 vcc, s[54:55], v[6:7]
	s_and_saveexec_b64 s[28:29], vcc
	s_xor_b64 s[36:37], exec, s[28:29]
	s_cbranch_execz .LBB4_2270
; %bb.2261:                             ;   in Loop: Header=BB4_1984 Depth=3
	v_and_b32_e32 v6, 0x7fffffff, v2
	v_mov_b32_e32 v7, v59
	v_cmp_gt_u64_e32 vcc, s[56:57], v[6:7]
	s_and_saveexec_b64 s[66:67], vcc
	s_cbranch_execz .LBB4_2269
; %bb.2262:                             ;   in Loop: Header=BB4_1984 Depth=3
	v_cmp_ne_u32_e32 vcc, 0, v2
	v_mov_b32_e32 v38, 0
	s_and_saveexec_b64 s[68:69], vcc
	s_cbranch_execz .LBB4_2268
; %bb.2263:                             ;   in Loop: Header=BB4_1984 Depth=3
	v_bfe_u32 v1, v2, 23, 8
	v_sub_u32_e32 v3, 0x79, v1
	v_cmp_gt_u32_e32 vcc, s93, v1
	v_add_u32_e32 v2, 0xffffff81, v1
	v_cndmask_b32_e32 v3, 0, v3, vcc
	v_cmp_eq_u32_e32 vcc, 0, v1
	v_mov_b32_e32 v1, 0xffffff82
	v_cndmask_b32_e32 v1, v2, v1, vcc
	v_mov_b32_e32 v2, 0x78
	v_cndmask_b32_e32 v20, v3, v2, vcc
	v_add_u32_e32 v2, 20, v20
	v_or_b32_e32 v6, 0x800000, v58
	v_lshlrev_b64 v[2:3], v2, -1
	v_cndmask_b32_e32 v58, v6, v58, vcc
	v_not_b32_e32 v2, v2
	v_and_b32_e32 v6, v58, v2
	v_add_u32_e32 v2, 19, v20
	v_lshrrev_b64 v[32:33], v20, v[58:59]
	v_not_b32_e32 v3, v3
	v_lshlrev_b64 v[16:17], v2, 1
	v_lshrrev_b32_e32 v2, 23, v32
	v_and_b32_e32 v7, 0, v3
	v_add3_u32 v20, v20, v1, v2
	v_bfe_u32 v1, v32, 20, 1
	v_add_u32_e32 v1, -1, v1
	v_cmp_eq_u64_e32 vcc, v[6:7], v[16:17]
	v_cndmask_b32_e32 v1, 0, v1, vcc
	v_add_u32_e32 v1, v1, v32
	v_and_b32_e32 v1, 0xfffff, v1
	v_add_co_u32_e32 v16, vcc, v1, v32
	v_add_u32_e32 v3, 6, v20
	v_addc_co_u32_e32 v17, vcc, 0, v33, vcc
	v_cmp_ne_u32_e32 vcc, 0, v3
                                        ; implicit-def: $vgpr2
	s_and_saveexec_b64 s[28:29], vcc
	s_xor_b64 s[28:29], exec, s[28:29]
; %bb.2264:                             ;   in Loop: Header=BB4_1984 Depth=3
	v_add_u32_e32 v1, 7, v20
	v_cmp_lt_u64_e32 vcc, s[58:59], v[16:17]
	v_cndmask_b32_e32 v2, v3, v1, vcc
	v_cndmask_b32_e64 v1, 0, 1, vcc
	v_lshrrev_b64 v[16:17], v1, v[16:17]
; %bb.2265:                             ;   in Loop: Header=BB4_1984 Depth=3
	s_andn2_saveexec_b64 s[28:29], s[28:29]
; %bb.2266:                             ;   in Loop: Header=BB4_1984 Depth=3
	v_bfe_u32 v2, v16, 23, 1
; %bb.2267:                             ;   in Loop: Header=BB4_1984 Depth=3
	s_or_b64 exec, exec, s[28:29]
	v_lshrrev_b64 v[6:7], 20, v[16:17]
	v_cmp_gt_i32_e32 vcc, 16, v2
	v_cndmask_b32_e32 v7, 0, v7, vcc
	v_cndmask_b32_e32 v6, 7, v6, vcc
	v_min_i32_e32 v1, 15, v2
	v_cmp_eq_u32_e32 vcc, 0, v2
	v_cmp_eq_u64_e64 s[28:29], 0, v[6:7]
	v_lshlrev_b32_e32 v1, 3, v1
	v_and_or_b32 v1, v6, 7, v1
	s_and_b64 s[28:29], vcc, s[28:29]
	v_cndmask_b32_e64 v1, v1, 0, s[28:29]
	v_or_b32_e32 v38, v1, v0
.LBB4_2268:                             ;   in Loop: Header=BB4_1984 Depth=3
	s_or_b64 exec, exec, s[68:69]
.LBB4_2269:                             ;   in Loop: Header=BB4_1984 Depth=3
	s_or_b64 exec, exec, s[66:67]
                                        ; implicit-def: $vgpr2
.LBB4_2270:                             ;   in Loop: Header=BB4_1984 Depth=3
	s_andn2_saveexec_b64 s[28:29], s[36:37]
; %bb.2271:                             ;   in Loop: Header=BB4_1984 Depth=3
	v_or_b32_sdwa v0, v2, s92 dst_sel:DWORD dst_unused:UNUSED_PAD src0_sel:BYTE_3 src1_sel:DWORD
	v_cmp_eq_u64_e32 vcc, 0, v[58:59]
	v_cndmask_b32_e32 v38, v0, v38, vcc
; %bb.2272:                             ;   in Loop: Header=BB4_1984 Depth=3
	s_or_b64 exec, exec, s[28:29]
	v_mov_b32_e32 v58, v23
	v_cmp_ne_u16_sdwa vcc, v23, v59 src0_sel:BYTE_0 src1_sel:DWORD
	v_mov_b32_e32 v2, 0
	v_mov_b32_e32 v0, 0
	s_and_saveexec_b64 s[28:29], vcc
	s_cbranch_execz .LBB4_2278
; %bb.2273:                             ;   in Loop: Header=BB4_1984 Depth=3
	v_cmp_ne_u16_sdwa vcc, v23, s91 src0_sel:BYTE_0 src1_sel:DWORD
	v_bfrev_b32_e32 v0, 1
	s_and_saveexec_b64 s[36:37], vcc
	s_cbranch_execz .LBB4_2277
; %bb.2274:                             ;   in Loop: Header=BB4_1984 Depth=3
	v_and_b32_e32 v1, 0x7f, v23
	v_cmp_ne_u32_e32 vcc, s92, v1
	v_mov_b32_e32 v0, 0x7f800001
	s_and_saveexec_b64 s[66:67], vcc
	s_cbranch_execz .LBB4_2276
; %bb.2275:                             ;   in Loop: Header=BB4_1984 Depth=3
	v_and_b32_e32 v0, 7, v23
	v_ffbh_u32_e32 v0, v0
	v_min_u32_e32 v0, 32, v0
	v_lshrrev_b32_e32 v3, 3, v1
	v_subrev_u32_e32 v6, 28, v0
	v_sub_u32_e32 v0, 29, v0
	v_cmp_gt_u32_e32 vcc, 8, v1
	v_cndmask_b32_e32 v3, v3, v0, vcc
	v_cndmask_b32_e32 v0, 0, v6, vcc
	v_lshlrev_b64 v[0:1], v0, v[58:59]
	v_lshlrev_b32_e32 v0, 20, v0
	v_lshlrev_b32_e32 v1, 24, v58
	v_bfrev_b32_e32 v6, 60
	v_and_b32_e32 v0, 0x700000, v0
	v_and_b32_e32 v1, 0x80000000, v1
	v_lshl_add_u32 v3, v3, 23, v6
	v_or3_b32 v0, v1, v3, v0
.LBB4_2276:                             ;   in Loop: Header=BB4_1984 Depth=3
	s_or_b64 exec, exec, s[66:67]
.LBB4_2277:                             ;   in Loop: Header=BB4_1984 Depth=3
	s_or_b64 exec, exec, s[36:37]
.LBB4_2278:                             ;   in Loop: Header=BB4_1984 Depth=3
	s_or_b64 exec, exec, s[28:29]
	v_cmp_ne_u16_sdwa vcc, v19, v59 src0_sel:BYTE_0 src1_sel:DWORD
	s_and_saveexec_b64 s[28:29], vcc
	s_cbranch_execz .LBB4_2284
; %bb.2279:                             ;   in Loop: Header=BB4_1984 Depth=3
	v_cmp_ne_u16_sdwa vcc, v19, s91 src0_sel:BYTE_0 src1_sel:DWORD
	v_bfrev_b32_e32 v2, 1
	s_and_saveexec_b64 s[36:37], vcc
	s_cbranch_execz .LBB4_2283
; %bb.2280:                             ;   in Loop: Header=BB4_1984 Depth=3
	v_and_b32_e32 v1, 0x7f, v19
	v_cmp_ne_u32_e32 vcc, s92, v1
	v_mov_b32_e32 v2, 0x7f800001
	s_and_saveexec_b64 s[66:67], vcc
	s_cbranch_execz .LBB4_2282
; %bb.2281:                             ;   in Loop: Header=BB4_1984 Depth=3
	v_and_b32_e32 v6, 7, v19
	v_ffbh_u32_e32 v6, v6
	v_min_u32_e32 v6, 32, v6
	v_lshrrev_b32_e32 v7, 3, v1
	v_subrev_u32_e32 v16, 28, v6
	v_sub_u32_e32 v6, 29, v6
	v_cmp_gt_u32_e32 vcc, 8, v1
	v_mov_b32_e32 v2, v19
	v_mov_b32_e32 v3, v59
	v_cndmask_b32_e32 v1, v7, v6, vcc
	v_cndmask_b32_e32 v6, 0, v16, vcc
	v_lshlrev_b64 v[6:7], v6, v[2:3]
	v_lshlrev_b32_e32 v3, 20, v6
	v_lshlrev_b32_e32 v2, 24, v2
	v_bfrev_b32_e32 v6, 60
	v_and_b32_e32 v3, 0x700000, v3
	v_and_b32_e32 v2, 0x80000000, v2
	v_lshl_add_u32 v1, v1, 23, v6
	v_or3_b32 v2, v2, v1, v3
.LBB4_2282:                             ;   in Loop: Header=BB4_1984 Depth=3
	s_or_b64 exec, exec, s[66:67]
.LBB4_2283:                             ;   in Loop: Header=BB4_1984 Depth=3
	s_or_b64 exec, exec, s[36:37]
.LBB4_2284:                             ;   in Loop: Header=BB4_1984 Depth=3
	s_or_b64 exec, exec, s[28:29]
	v_add_f32_e32 v2, v0, v2
	v_and_b32_sdwa v0, v2, s91 dst_sel:DWORD dst_unused:UNUSED_PAD src0_sel:BYTE_3 src1_sel:DWORD
	v_and_b32_e32 v6, 0x7f800000, v2
	v_mov_b32_e32 v7, v59
	v_and_b32_e32 v16, 0x7fffff, v2
	v_mov_b32_e32 v17, v59
	v_or_b32_e32 v3, 0x7e, v0
	v_cmp_ne_u64_e32 vcc, s[54:55], v[6:7]
	s_and_saveexec_b64 s[28:29], vcc
	s_xor_b64 s[36:37], exec, s[28:29]
	s_cbranch_execz .LBB4_2294
; %bb.2285:                             ;   in Loop: Header=BB4_1984 Depth=3
	v_and_b32_e32 v6, 0x7fffffff, v2
	v_mov_b32_e32 v7, v59
	v_cmp_gt_u64_e32 vcc, s[56:57], v[6:7]
	s_and_saveexec_b64 s[66:67], vcc
	s_cbranch_execz .LBB4_2293
; %bb.2286:                             ;   in Loop: Header=BB4_1984 Depth=3
	v_cmp_ne_u32_e32 vcc, 0, v2
	v_mov_b32_e32 v3, 0
	s_and_saveexec_b64 s[68:69], vcc
	s_cbranch_execz .LBB4_2292
; %bb.2287:                             ;   in Loop: Header=BB4_1984 Depth=3
	v_bfe_u32 v1, v2, 23, 8
	v_sub_u32_e32 v3, 0x79, v1
	v_cmp_gt_u32_e32 vcc, s93, v1
	v_add_u32_e32 v2, 0xffffff81, v1
	v_cndmask_b32_e32 v3, 0, v3, vcc
	v_cmp_eq_u32_e32 vcc, 0, v1
	v_mov_b32_e32 v1, 0xffffff82
	v_cndmask_b32_e32 v1, v2, v1, vcc
	v_mov_b32_e32 v2, 0x78
	v_cndmask_b32_e32 v20, v3, v2, vcc
	v_add_u32_e32 v2, 20, v20
	v_or_b32_e32 v6, 0x800000, v16
	v_lshlrev_b64 v[2:3], v2, -1
	v_cndmask_b32_e32 v16, v6, v16, vcc
	v_not_b32_e32 v2, v2
	v_and_b32_e32 v6, v16, v2
	v_add_u32_e32 v2, 19, v20
	v_lshrrev_b64 v[16:17], v20, v[16:17]
	v_not_b32_e32 v3, v3
	v_lshlrev_b64 v[32:33], v2, 1
	v_lshrrev_b32_e32 v2, 23, v16
	v_and_b32_e32 v7, 0, v3
	v_add3_u32 v20, v20, v1, v2
	v_bfe_u32 v1, v16, 20, 1
	v_add_u32_e32 v1, -1, v1
	v_cmp_eq_u64_e32 vcc, v[6:7], v[32:33]
	v_cndmask_b32_e32 v1, 0, v1, vcc
	v_add_u32_e32 v1, v1, v16
	v_and_b32_e32 v1, 0xfffff, v1
	v_add_co_u32_e32 v16, vcc, v1, v16
	v_add_u32_e32 v3, 6, v20
	v_addc_co_u32_e32 v17, vcc, 0, v17, vcc
	v_cmp_ne_u32_e32 vcc, 0, v3
                                        ; implicit-def: $vgpr2
	s_and_saveexec_b64 s[28:29], vcc
	s_xor_b64 s[28:29], exec, s[28:29]
; %bb.2288:                             ;   in Loop: Header=BB4_1984 Depth=3
	v_add_u32_e32 v1, 7, v20
	v_cmp_lt_u64_e32 vcc, s[58:59], v[16:17]
	v_cndmask_b32_e32 v2, v3, v1, vcc
	v_cndmask_b32_e64 v1, 0, 1, vcc
	v_lshrrev_b64 v[16:17], v1, v[16:17]
; %bb.2289:                             ;   in Loop: Header=BB4_1984 Depth=3
	s_andn2_saveexec_b64 s[28:29], s[28:29]
; %bb.2290:                             ;   in Loop: Header=BB4_1984 Depth=3
	v_bfe_u32 v2, v16, 23, 1
; %bb.2291:                             ;   in Loop: Header=BB4_1984 Depth=3
	s_or_b64 exec, exec, s[28:29]
	v_lshrrev_b64 v[6:7], 20, v[16:17]
	v_cmp_gt_i32_e32 vcc, 16, v2
	v_cndmask_b32_e32 v7, 0, v7, vcc
	v_cndmask_b32_e32 v6, 7, v6, vcc
	v_min_i32_e32 v1, 15, v2
	v_cmp_eq_u32_e32 vcc, 0, v2
	v_cmp_eq_u64_e64 s[28:29], 0, v[6:7]
	v_lshlrev_b32_e32 v1, 3, v1
	v_and_or_b32 v1, v6, 7, v1
	s_and_b64 s[28:29], vcc, s[28:29]
	v_cndmask_b32_e64 v1, v1, 0, s[28:29]
	v_or_b32_e32 v3, v1, v0
.LBB4_2292:                             ;   in Loop: Header=BB4_1984 Depth=3
	s_or_b64 exec, exec, s[68:69]
.LBB4_2293:                             ;   in Loop: Header=BB4_1984 Depth=3
	s_or_b64 exec, exec, s[66:67]
                                        ; implicit-def: $vgpr2
                                        ; implicit-def: $vgpr16_vgpr17
.LBB4_2294:                             ;   in Loop: Header=BB4_1984 Depth=3
	s_andn2_saveexec_b64 s[28:29], s[36:37]
; %bb.2295:                             ;   in Loop: Header=BB4_1984 Depth=3
	v_or_b32_sdwa v0, v2, s92 dst_sel:DWORD dst_unused:UNUSED_PAD src0_sel:BYTE_3 src1_sel:DWORD
	v_cmp_eq_u64_e32 vcc, 0, v[16:17]
	v_cndmask_b32_e32 v3, v0, v3, vcc
; %bb.2296:                             ;   in Loop: Header=BB4_1984 Depth=3
	s_or_b64 exec, exec, s[28:29]
	v_lshrrev_b16_e32 v16, 8, v58
	v_cmp_ne_u16_e32 vcc, 0, v16
	v_mov_b32_e32 v0, 0
	v_mov_b32_e32 v2, 0
	s_and_saveexec_b64 s[28:29], vcc
	s_cbranch_execz .LBB4_2302
; %bb.2297:                             ;   in Loop: Header=BB4_1984 Depth=3
	v_cmp_ne_u16_e32 vcc, s91, v16
	v_bfrev_b32_e32 v2, 1
	s_and_saveexec_b64 s[36:37], vcc
	s_cbranch_execz .LBB4_2301
; %bb.2298:                             ;   in Loop: Header=BB4_1984 Depth=3
	v_and_b32_e32 v1, 0x7f, v16
	v_cmp_ne_u32_e32 vcc, s92, v1
	v_mov_b32_e32 v2, 0x7f800001
	s_and_saveexec_b64 s[66:67], vcc
	s_cbranch_execz .LBB4_2300
; %bb.2299:                             ;   in Loop: Header=BB4_1984 Depth=3
	v_and_b32_e32 v2, 7, v16
	v_ffbh_u32_e32 v6, v2
	v_min_u32_e32 v20, 32, v6
	v_lshrrev_b32_e32 v17, 3, v1
	v_subrev_u32_e32 v6, 28, v20
	v_lshlrev_b64 v[6:7], v6, v[16:17]
	v_sub_u32_e32 v7, 29, v20
	v_and_b32_e32 v6, 7, v6
	v_cmp_gt_u32_e32 vcc, 8, v1
	v_cndmask_b32_e32 v1, v17, v7, vcc
	v_cndmask_b32_e32 v2, v2, v6, vcc
	v_lshlrev_b32_e32 v6, 16, v58
	v_bfrev_b32_e32 v7, 60
	v_lshlrev_b32_e32 v2, 20, v2
	v_and_b32_e32 v6, 0x80000000, v6
	v_lshl_add_u32 v1, v1, 23, v7
	v_or3_b32 v2, v6, v1, v2
.LBB4_2300:                             ;   in Loop: Header=BB4_1984 Depth=3
	s_or_b64 exec, exec, s[66:67]
.LBB4_2301:                             ;   in Loop: Header=BB4_1984 Depth=3
	s_or_b64 exec, exec, s[36:37]
.LBB4_2302:                             ;   in Loop: Header=BB4_1984 Depth=3
	s_or_b64 exec, exec, s[28:29]
	v_mov_b32_e32 v16, v19
	v_lshrrev_b16_e32 v20, 8, v16
	v_cmp_ne_u16_e32 vcc, 0, v20
	s_and_saveexec_b64 s[28:29], vcc
	s_cbranch_execz .LBB4_2308
; %bb.2303:                             ;   in Loop: Header=BB4_1984 Depth=3
	v_cmp_ne_u16_e32 vcc, s91, v20
	v_bfrev_b32_e32 v0, 1
	s_and_saveexec_b64 s[36:37], vcc
	s_cbranch_execz .LBB4_2307
; %bb.2304:                             ;   in Loop: Header=BB4_1984 Depth=3
	v_and_b32_e32 v1, 0x7f, v20
	v_cmp_ne_u32_e32 vcc, s92, v1
	v_mov_b32_e32 v0, 0x7f800001
	s_and_saveexec_b64 s[66:67], vcc
	s_cbranch_execz .LBB4_2306
; %bb.2305:                             ;   in Loop: Header=BB4_1984 Depth=3
	v_and_b32_e32 v0, 7, v20
	v_ffbh_u32_e32 v6, v0
	v_min_u32_e32 v31, 32, v6
	v_subrev_u32_e32 v6, 28, v31
	v_lshlrev_b64 v[6:7], v6, v[20:21]
	v_lshrrev_b32_e32 v17, 3, v1
	v_sub_u32_e32 v7, 29, v31
	v_and_b32_e32 v6, 7, v6
	v_cmp_gt_u32_e32 vcc, 8, v1
	v_cndmask_b32_e32 v1, v17, v7, vcc
	v_cndmask_b32_e32 v0, v0, v6, vcc
	v_lshlrev_b32_e32 v6, 16, v16
	v_bfrev_b32_e32 v7, 60
	v_lshlrev_b32_e32 v0, 20, v0
	v_and_b32_e32 v6, 0x80000000, v6
	v_lshl_add_u32 v1, v1, 23, v7
	v_or3_b32 v0, v6, v1, v0
.LBB4_2306:                             ;   in Loop: Header=BB4_1984 Depth=3
	s_or_b64 exec, exec, s[66:67]
.LBB4_2307:                             ;   in Loop: Header=BB4_1984 Depth=3
	s_or_b64 exec, exec, s[36:37]
.LBB4_2308:                             ;   in Loop: Header=BB4_1984 Depth=3
	s_or_b64 exec, exec, s[28:29]
	v_add_f32_e32 v2, v2, v0
	v_and_b32_sdwa v0, v2, s91 dst_sel:DWORD dst_unused:UNUSED_PAD src0_sel:BYTE_3 src1_sel:DWORD
	v_and_b32_e32 v6, 0x7f800000, v2
	v_mov_b32_e32 v7, v59
	v_and_b32_e32 v58, 0x7fffff, v2
	v_or_b32_e32 v43, 0x7e, v0
	v_cmp_ne_u64_e32 vcc, s[54:55], v[6:7]
	s_and_saveexec_b64 s[28:29], vcc
	s_xor_b64 s[36:37], exec, s[28:29]
	s_cbranch_execz .LBB4_2318
; %bb.2309:                             ;   in Loop: Header=BB4_1984 Depth=3
	v_and_b32_e32 v6, 0x7fffffff, v2
	v_mov_b32_e32 v7, v59
	v_cmp_gt_u64_e32 vcc, s[56:57], v[6:7]
	s_and_saveexec_b64 s[66:67], vcc
	s_cbranch_execz .LBB4_2317
; %bb.2310:                             ;   in Loop: Header=BB4_1984 Depth=3
	v_cmp_ne_u32_e32 vcc, 0, v2
	v_mov_b32_e32 v43, 0
	s_and_saveexec_b64 s[68:69], vcc
	s_cbranch_execz .LBB4_2316
; %bb.2311:                             ;   in Loop: Header=BB4_1984 Depth=3
	v_bfe_u32 v1, v2, 23, 8
	v_sub_u32_e32 v6, 0x79, v1
	v_cmp_gt_u32_e32 vcc, s93, v1
	v_add_u32_e32 v2, 0xffffff81, v1
	v_cndmask_b32_e32 v6, 0, v6, vcc
	v_cmp_eq_u32_e32 vcc, 0, v1
	v_mov_b32_e32 v1, 0xffffff82
	v_cndmask_b32_e32 v1, v2, v1, vcc
	v_mov_b32_e32 v2, 0x78
	v_or_b32_e32 v7, 0x800000, v58
	v_cndmask_b32_e32 v2, v6, v2, vcc
	v_cndmask_b32_e32 v58, v7, v58, vcc
	v_add_u32_e32 v6, 20, v2
	v_lshlrev_b64 v[6:7], v6, -1
	v_lshrrev_b64 v[32:33], v2, v[58:59]
	v_not_b32_e32 v7, v7
	v_not_b32_e32 v6, v6
	v_add_u32_e32 v16, 19, v2
	v_lshrrev_b32_e32 v20, 23, v32
	v_and_b32_e32 v7, 0, v7
	v_and_b32_e32 v6, v58, v6
	v_lshlrev_b64 v[16:17], v16, 1
	v_add3_u32 v31, v2, v1, v20
	v_bfe_u32 v1, v32, 20, 1
	v_add_u32_e32 v1, -1, v1
	v_cmp_eq_u64_e32 vcc, v[6:7], v[16:17]
	v_cndmask_b32_e32 v1, 0, v1, vcc
	v_add_u32_e32 v1, v1, v32
	v_and_b32_e32 v1, 0xfffff, v1
	v_add_co_u32_e32 v16, vcc, v1, v32
	v_add_u32_e32 v20, 6, v31
	v_addc_co_u32_e32 v17, vcc, 0, v33, vcc
	v_cmp_ne_u32_e32 vcc, 0, v20
                                        ; implicit-def: $vgpr2
	s_and_saveexec_b64 s[28:29], vcc
	s_xor_b64 s[28:29], exec, s[28:29]
; %bb.2312:                             ;   in Loop: Header=BB4_1984 Depth=3
	v_add_u32_e32 v1, 7, v31
	v_cmp_lt_u64_e32 vcc, s[58:59], v[16:17]
	v_cndmask_b32_e32 v2, v20, v1, vcc
	v_cndmask_b32_e64 v1, 0, 1, vcc
	v_lshrrev_b64 v[16:17], v1, v[16:17]
; %bb.2313:                             ;   in Loop: Header=BB4_1984 Depth=3
	s_andn2_saveexec_b64 s[28:29], s[28:29]
; %bb.2314:                             ;   in Loop: Header=BB4_1984 Depth=3
	v_bfe_u32 v2, v16, 23, 1
; %bb.2315:                             ;   in Loop: Header=BB4_1984 Depth=3
	s_or_b64 exec, exec, s[28:29]
	v_lshrrev_b64 v[6:7], 20, v[16:17]
	v_cmp_gt_i32_e32 vcc, 16, v2
	v_cndmask_b32_e32 v7, 0, v7, vcc
	v_cndmask_b32_e32 v6, 7, v6, vcc
	v_min_i32_e32 v1, 15, v2
	v_cmp_eq_u32_e32 vcc, 0, v2
	v_cmp_eq_u64_e64 s[28:29], 0, v[6:7]
	v_lshlrev_b32_e32 v1, 3, v1
	v_and_or_b32 v1, v6, 7, v1
	s_and_b64 s[28:29], vcc, s[28:29]
	v_cndmask_b32_e64 v1, v1, 0, s[28:29]
	v_or_b32_e32 v43, v1, v0
.LBB4_2316:                             ;   in Loop: Header=BB4_1984 Depth=3
	s_or_b64 exec, exec, s[68:69]
.LBB4_2317:                             ;   in Loop: Header=BB4_1984 Depth=3
	s_or_b64 exec, exec, s[66:67]
                                        ; implicit-def: $vgpr2
.LBB4_2318:                             ;   in Loop: Header=BB4_1984 Depth=3
	s_andn2_saveexec_b64 s[28:29], s[36:37]
; %bb.2319:                             ;   in Loop: Header=BB4_1984 Depth=3
	v_or_b32_sdwa v0, v2, s92 dst_sel:DWORD dst_unused:UNUSED_PAD src0_sel:BYTE_3 src1_sel:DWORD
	v_cmp_eq_u64_e32 vcc, 0, v[58:59]
	v_cndmask_b32_e32 v43, v0, v43, vcc
; %bb.2320:                             ;   in Loop: Header=BB4_1984 Depth=3
	s_or_b64 exec, exec, s[28:29]
	v_lshrrev_b32_e32 v16, 16, v23
	v_cmp_ne_u16_sdwa vcc, v16, v59 src0_sel:BYTE_0 src1_sel:DWORD
	v_mov_b32_e32 v0, 0
	v_mov_b32_e32 v2, 0
	s_and_saveexec_b64 s[28:29], vcc
	s_cbranch_execz .LBB4_2326
; %bb.2321:                             ;   in Loop: Header=BB4_1984 Depth=3
	v_cmp_ne_u16_sdwa vcc, v16, s91 src0_sel:BYTE_0 src1_sel:DWORD
	v_bfrev_b32_e32 v2, 1
	s_and_saveexec_b64 s[36:37], vcc
	s_cbranch_execz .LBB4_2325
; %bb.2322:                             ;   in Loop: Header=BB4_1984 Depth=3
	v_bfe_u32 v1, v23, 16, 7
	v_cmp_ne_u32_e32 vcc, s92, v1
	v_mov_b32_e32 v2, 0x7f800001
	s_and_saveexec_b64 s[66:67], vcc
	s_cbranch_execz .LBB4_2324
; %bb.2323:                             ;   in Loop: Header=BB4_1984 Depth=3
	v_and_b32_e32 v2, 7, v16
	v_ffbh_u32_e32 v6, v2
	v_min_u32_e32 v20, 32, v6
	v_lshrrev_b32_e32 v17, 3, v1
	v_subrev_u32_e32 v6, 28, v20
	v_lshlrev_b64 v[6:7], v6, v[16:17]
	v_sub_u32_e32 v7, 29, v20
	v_and_b32_e32 v6, 7, v6
	v_cmp_gt_u32_e32 vcc, 8, v1
	v_cndmask_b32_e32 v1, v17, v7, vcc
	v_cndmask_b32_e32 v2, v2, v6, vcc
	v_lshlrev_b32_e32 v6, 24, v16
	v_bfrev_b32_e32 v7, 60
	v_lshlrev_b32_e32 v2, 20, v2
	v_and_b32_e32 v6, 0x80000000, v6
	v_lshl_add_u32 v1, v1, 23, v7
	v_or3_b32 v2, v6, v1, v2
.LBB4_2324:                             ;   in Loop: Header=BB4_1984 Depth=3
	s_or_b64 exec, exec, s[66:67]
.LBB4_2325:                             ;   in Loop: Header=BB4_1984 Depth=3
	s_or_b64 exec, exec, s[36:37]
.LBB4_2326:                             ;   in Loop: Header=BB4_1984 Depth=3
	s_or_b64 exec, exec, s[28:29]
	v_lshrrev_b32_e32 v16, 16, v19
	v_cmp_ne_u16_sdwa vcc, v16, v59 src0_sel:BYTE_0 src1_sel:DWORD
	s_and_saveexec_b64 s[28:29], vcc
	s_cbranch_execz .LBB4_2332
; %bb.2327:                             ;   in Loop: Header=BB4_1984 Depth=3
	v_cmp_ne_u16_sdwa vcc, v16, s91 src0_sel:BYTE_0 src1_sel:DWORD
	v_bfrev_b32_e32 v0, 1
	s_and_saveexec_b64 s[36:37], vcc
	s_cbranch_execz .LBB4_2331
; %bb.2328:                             ;   in Loop: Header=BB4_1984 Depth=3
	v_bfe_u32 v1, v19, 16, 7
	v_cmp_ne_u32_e32 vcc, s92, v1
	v_mov_b32_e32 v0, 0x7f800001
	s_and_saveexec_b64 s[66:67], vcc
	s_cbranch_execz .LBB4_2330
; %bb.2329:                             ;   in Loop: Header=BB4_1984 Depth=3
	v_and_b32_e32 v0, 7, v16
	v_ffbh_u32_e32 v6, v0
	v_min_u32_e32 v20, 32, v6
	v_lshrrev_b32_e32 v17, 3, v1
	v_subrev_u32_e32 v6, 28, v20
	v_lshlrev_b64 v[6:7], v6, v[16:17]
	v_sub_u32_e32 v7, 29, v20
	v_and_b32_e32 v6, 7, v6
	v_cmp_gt_u32_e32 vcc, 8, v1
	v_cndmask_b32_e32 v1, v17, v7, vcc
	v_cndmask_b32_e32 v0, v0, v6, vcc
	v_lshlrev_b32_e32 v6, 8, v19
	v_bfrev_b32_e32 v7, 60
	v_lshlrev_b32_e32 v0, 20, v0
	v_and_b32_e32 v6, 0x80000000, v6
	v_lshl_add_u32 v1, v1, 23, v7
	v_or3_b32 v0, v6, v1, v0
.LBB4_2330:                             ;   in Loop: Header=BB4_1984 Depth=3
	s_or_b64 exec, exec, s[66:67]
.LBB4_2331:                             ;   in Loop: Header=BB4_1984 Depth=3
	s_or_b64 exec, exec, s[36:37]
.LBB4_2332:                             ;   in Loop: Header=BB4_1984 Depth=3
	s_or_b64 exec, exec, s[28:29]
	v_add_f32_e32 v16, v2, v0
	v_and_b32_sdwa v0, v16, s91 dst_sel:DWORD dst_unused:UNUSED_PAD src0_sel:BYTE_3 src1_sel:DWORD
	v_and_b32_e32 v6, 0x7f800000, v16
	v_mov_b32_e32 v7, v59
	v_and_b32_e32 v58, 0x7fffff, v16
	v_or_b32_e32 v2, 0x7e, v0
	v_cmp_ne_u64_e32 vcc, s[54:55], v[6:7]
	s_and_saveexec_b64 s[28:29], vcc
	s_xor_b64 s[36:37], exec, s[28:29]
	s_cbranch_execz .LBB4_2342
; %bb.2333:                             ;   in Loop: Header=BB4_1984 Depth=3
	v_and_b32_e32 v6, 0x7fffffff, v16
	v_mov_b32_e32 v7, v59
	v_cmp_gt_u64_e32 vcc, s[56:57], v[6:7]
	s_and_saveexec_b64 s[66:67], vcc
	s_cbranch_execz .LBB4_2341
; %bb.2334:                             ;   in Loop: Header=BB4_1984 Depth=3
	v_cmp_ne_u32_e32 vcc, 0, v16
	v_mov_b32_e32 v2, 0
	s_and_saveexec_b64 s[68:69], vcc
	s_cbranch_execz .LBB4_2340
; %bb.2335:                             ;   in Loop: Header=BB4_1984 Depth=3
	v_bfe_u32 v1, v16, 23, 8
	v_sub_u32_e32 v6, 0x79, v1
	v_cmp_gt_u32_e32 vcc, s93, v1
	v_add_u32_e32 v2, 0xffffff81, v1
	v_cndmask_b32_e32 v6, 0, v6, vcc
	v_cmp_eq_u32_e32 vcc, 0, v1
	v_mov_b32_e32 v1, 0xffffff82
	v_cndmask_b32_e32 v1, v2, v1, vcc
	v_mov_b32_e32 v2, 0x78
	v_or_b32_e32 v7, 0x800000, v58
	v_cndmask_b32_e32 v2, v6, v2, vcc
	v_cndmask_b32_e32 v58, v7, v58, vcc
	v_add_u32_e32 v6, 20, v2
	v_lshlrev_b64 v[6:7], v6, -1
	v_lshrrev_b64 v[32:33], v2, v[58:59]
	v_not_b32_e32 v7, v7
	v_not_b32_e32 v6, v6
	v_add_u32_e32 v16, 19, v2
	v_lshrrev_b32_e32 v20, 23, v32
	v_and_b32_e32 v7, 0, v7
	v_and_b32_e32 v6, v58, v6
	v_lshlrev_b64 v[16:17], v16, 1
	v_add3_u32 v39, v2, v1, v20
	v_bfe_u32 v1, v32, 20, 1
	v_add_u32_e32 v1, -1, v1
	v_cmp_eq_u64_e32 vcc, v[6:7], v[16:17]
	v_cndmask_b32_e32 v1, 0, v1, vcc
	v_add_u32_e32 v1, v1, v32
	v_and_b32_e32 v1, 0xfffff, v1
	v_add_co_u32_e32 v16, vcc, v1, v32
	v_add_u32_e32 v31, 6, v39
	v_addc_co_u32_e32 v17, vcc, 0, v33, vcc
	v_cmp_ne_u32_e32 vcc, 0, v31
                                        ; implicit-def: $vgpr2
	s_and_saveexec_b64 s[28:29], vcc
	s_xor_b64 s[28:29], exec, s[28:29]
; %bb.2336:                             ;   in Loop: Header=BB4_1984 Depth=3
	v_add_u32_e32 v1, 7, v39
	v_cmp_lt_u64_e32 vcc, s[58:59], v[16:17]
	v_cndmask_b32_e32 v2, v31, v1, vcc
	v_cndmask_b32_e64 v1, 0, 1, vcc
	v_lshrrev_b64 v[16:17], v1, v[16:17]
; %bb.2337:                             ;   in Loop: Header=BB4_1984 Depth=3
	s_andn2_saveexec_b64 s[28:29], s[28:29]
; %bb.2338:                             ;   in Loop: Header=BB4_1984 Depth=3
	v_bfe_u32 v2, v16, 23, 1
; %bb.2339:                             ;   in Loop: Header=BB4_1984 Depth=3
	s_or_b64 exec, exec, s[28:29]
	v_lshrrev_b64 v[6:7], 20, v[16:17]
	v_cmp_gt_i32_e32 vcc, 16, v2
	v_min_i32_e32 v1, 15, v2
	v_cndmask_b32_e32 v7, 0, v7, vcc
	v_cndmask_b32_e32 v6, 7, v6, vcc
	v_lshlrev_b32_e32 v1, 3, v1
	v_cmp_eq_u32_e32 vcc, 0, v2
	v_cmp_eq_u64_e64 s[28:29], 0, v[6:7]
	v_and_b32_e32 v1, 0xf8, v1
	v_and_or_b32 v1, v6, 7, v1
	s_and_b64 s[28:29], vcc, s[28:29]
	v_cndmask_b32_e64 v1, v1, 0, s[28:29]
	v_or_b32_e32 v2, v1, v0
.LBB4_2340:                             ;   in Loop: Header=BB4_1984 Depth=3
	s_or_b64 exec, exec, s[68:69]
.LBB4_2341:                             ;   in Loop: Header=BB4_1984 Depth=3
	s_or_b64 exec, exec, s[66:67]
                                        ; implicit-def: $vgpr16
.LBB4_2342:                             ;   in Loop: Header=BB4_1984 Depth=3
	s_andn2_saveexec_b64 s[28:29], s[36:37]
; %bb.2343:                             ;   in Loop: Header=BB4_1984 Depth=3
	v_or_b32_sdwa v0, v16, s92 dst_sel:DWORD dst_unused:UNUSED_PAD src0_sel:BYTE_3 src1_sel:DWORD
	v_cmp_eq_u64_e32 vcc, 0, v[58:59]
	v_cndmask_b32_e32 v2, v0, v2, vcc
; %bb.2344:                             ;   in Loop: Header=BB4_1984 Depth=3
	s_or_b64 exec, exec, s[28:29]
	v_cmp_lt_u64_e32 vcc, s[44:45], v[22:23]
	v_mov_b32_e32 v0, 0
	v_mov_b32_e32 v17, 0
	s_and_saveexec_b64 s[28:29], vcc
	s_cbranch_execz .LBB4_2350
; %bb.2345:                             ;   in Loop: Header=BB4_1984 Depth=3
	v_lshrrev_b32_e32 v16, 24, v23
	v_cmp_ne_u32_e32 vcc, s91, v16
	v_bfrev_b32_e32 v17, 1
	s_and_saveexec_b64 s[36:37], vcc
	s_cbranch_execz .LBB4_2349
; %bb.2346:                             ;   in Loop: Header=BB4_1984 Depth=3
	v_bfe_u32 v1, v23, 24, 7
	v_cmp_ne_u32_e32 vcc, s92, v1
	v_mov_b32_e32 v17, 0x7f800001
	s_and_saveexec_b64 s[66:67], vcc
	s_cbranch_execz .LBB4_2348
; %bb.2347:                             ;   in Loop: Header=BB4_1984 Depth=3
	v_and_b32_e32 v17, 7, v16
	v_ffbh_u32_e32 v6, v17
	v_min_u32_e32 v22, 32, v6
	v_subrev_u32_e32 v6, 28, v22
	v_lshlrev_b64 v[6:7], v6, v[16:17]
	v_lshrrev_b32_e32 v20, 3, v1
	v_sub_u32_e32 v7, 29, v22
	v_and_b32_e32 v6, 7, v6
	v_cmp_gt_u32_e32 vcc, 8, v1
	v_cndmask_b32_e32 v1, v20, v7, vcc
	v_cndmask_b32_e32 v6, v17, v6, vcc
	v_lshlrev_b32_e32 v7, 24, v16
	v_bfrev_b32_e32 v16, 60
	v_lshlrev_b32_e32 v6, 20, v6
	v_and_b32_e32 v7, 0x80000000, v7
	v_lshl_add_u32 v1, v1, 23, v16
	v_or3_b32 v17, v7, v1, v6
.LBB4_2348:                             ;   in Loop: Header=BB4_1984 Depth=3
	s_or_b64 exec, exec, s[66:67]
.LBB4_2349:                             ;   in Loop: Header=BB4_1984 Depth=3
	s_or_b64 exec, exec, s[36:37]
.LBB4_2350:                             ;   in Loop: Header=BB4_1984 Depth=3
	s_or_b64 exec, exec, s[28:29]
	v_cmp_lt_u64_e32 vcc, s[44:45], v[18:19]
	s_and_saveexec_b64 s[28:29], vcc
	s_cbranch_execz .LBB4_2356
; %bb.2351:                             ;   in Loop: Header=BB4_1984 Depth=3
	v_lshrrev_b32_e32 v16, 24, v19
	v_cmp_ne_u32_e32 vcc, s91, v16
	v_bfrev_b32_e32 v0, 1
	s_and_saveexec_b64 s[36:37], vcc
	s_cbranch_execz .LBB4_2355
; %bb.2352:                             ;   in Loop: Header=BB4_1984 Depth=3
	v_bfe_u32 v1, v19, 24, 7
	v_cmp_ne_u32_e32 vcc, s92, v1
	v_mov_b32_e32 v0, 0x7f800001
	s_and_saveexec_b64 s[66:67], vcc
	s_cbranch_execz .LBB4_2354
; %bb.2353:                             ;   in Loop: Header=BB4_1984 Depth=3
	v_and_b32_e32 v0, 7, v16
	v_ffbh_u32_e32 v6, v0
	v_min_u32_e32 v19, 32, v6
	v_subrev_u32_e32 v6, 28, v19
	v_lshlrev_b64 v[6:7], v6, v[16:17]
	v_lshrrev_b32_e32 v18, 3, v1
	v_sub_u32_e32 v7, 29, v19
	v_and_b32_e32 v6, 7, v6
	v_cmp_gt_u32_e32 vcc, 8, v1
	v_cndmask_b32_e32 v1, v18, v7, vcc
	v_cndmask_b32_e32 v0, v0, v6, vcc
	v_lshlrev_b32_e32 v6, 24, v16
	v_bfrev_b32_e32 v7, 60
	v_lshlrev_b32_e32 v0, 20, v0
	v_and_b32_e32 v6, 0x80000000, v6
	v_lshl_add_u32 v1, v1, 23, v7
	v_or3_b32 v0, v6, v1, v0
.LBB4_2354:                             ;   in Loop: Header=BB4_1984 Depth=3
	s_or_b64 exec, exec, s[66:67]
.LBB4_2355:                             ;   in Loop: Header=BB4_1984 Depth=3
	s_or_b64 exec, exec, s[36:37]
.LBB4_2356:                             ;   in Loop: Header=BB4_1984 Depth=3
	s_or_b64 exec, exec, s[28:29]
	v_add_f32_e32 v16, v17, v0
	v_and_b32_sdwa v0, v16, s91 dst_sel:DWORD dst_unused:UNUSED_PAD src0_sel:BYTE_3 src1_sel:DWORD
	v_and_b32_e32 v6, 0x7f800000, v16
	v_mov_b32_e32 v7, v59
	v_and_b32_e32 v58, 0x7fffff, v16
	v_or_b32_e32 v19, 0x7e, v0
	v_cmp_ne_u64_e32 vcc, s[54:55], v[6:7]
	s_and_saveexec_b64 s[28:29], vcc
	s_xor_b64 s[36:37], exec, s[28:29]
	s_cbranch_execz .LBB4_2366
; %bb.2357:                             ;   in Loop: Header=BB4_1984 Depth=3
	v_and_b32_e32 v6, 0x7fffffff, v16
	v_mov_b32_e32 v7, v59
	v_cmp_gt_u64_e32 vcc, s[56:57], v[6:7]
	s_and_saveexec_b64 s[66:67], vcc
	s_cbranch_execz .LBB4_2365
; %bb.2358:                             ;   in Loop: Header=BB4_1984 Depth=3
	v_cmp_ne_u32_e32 vcc, 0, v16
	v_mov_b32_e32 v19, 0
	s_and_saveexec_b64 s[68:69], vcc
	s_cbranch_execz .LBB4_2364
; %bb.2359:                             ;   in Loop: Header=BB4_1984 Depth=3
	v_bfe_u32 v1, v16, 23, 8
	v_sub_u32_e32 v7, 0x79, v1
	v_cmp_gt_u32_e32 vcc, s93, v1
	v_add_u32_e32 v6, 0xffffff81, v1
	v_cndmask_b32_e32 v7, 0, v7, vcc
	v_cmp_eq_u32_e32 vcc, 0, v1
	v_mov_b32_e32 v1, 0xffffff82
	v_cndmask_b32_e32 v1, v6, v1, vcc
	v_mov_b32_e32 v6, 0x78
	v_or_b32_e32 v16, 0x800000, v58
	v_cndmask_b32_e32 v18, v7, v6, vcc
	v_cndmask_b32_e32 v58, v16, v58, vcc
	v_add_u32_e32 v6, 20, v18
	v_lshlrev_b64 v[6:7], v6, -1
	v_lshrrev_b64 v[32:33], v18, v[58:59]
	v_not_b32_e32 v7, v7
	v_not_b32_e32 v6, v6
	v_add_u32_e32 v16, 19, v18
	v_lshrrev_b32_e32 v19, 23, v32
	v_and_b32_e32 v7, 0, v7
	v_and_b32_e32 v6, v58, v6
	v_lshlrev_b64 v[16:17], v16, 1
	v_add3_u32 v22, v18, v1, v19
	v_bfe_u32 v1, v32, 20, 1
	v_add_u32_e32 v1, -1, v1
	v_cmp_eq_u64_e32 vcc, v[6:7], v[16:17]
	v_cndmask_b32_e32 v1, 0, v1, vcc
	v_add_u32_e32 v1, v1, v32
	v_and_b32_e32 v1, 0xfffff, v1
	v_add_co_u32_e32 v16, vcc, v1, v32
	v_add_u32_e32 v19, 6, v22
	v_addc_co_u32_e32 v17, vcc, 0, v33, vcc
	v_cmp_ne_u32_e32 vcc, 0, v19
                                        ; implicit-def: $vgpr18
	s_and_saveexec_b64 s[28:29], vcc
	s_xor_b64 s[28:29], exec, s[28:29]
; %bb.2360:                             ;   in Loop: Header=BB4_1984 Depth=3
	v_add_u32_e32 v1, 7, v22
	v_cmp_lt_u64_e32 vcc, s[58:59], v[16:17]
	v_cndmask_b32_e32 v18, v19, v1, vcc
	v_cndmask_b32_e64 v1, 0, 1, vcc
	v_lshrrev_b64 v[16:17], v1, v[16:17]
; %bb.2361:                             ;   in Loop: Header=BB4_1984 Depth=3
	s_andn2_saveexec_b64 s[28:29], s[28:29]
; %bb.2362:                             ;   in Loop: Header=BB4_1984 Depth=3
	v_bfe_u32 v18, v16, 23, 1
; %bb.2363:                             ;   in Loop: Header=BB4_1984 Depth=3
	s_or_b64 exec, exec, s[28:29]
	v_lshrrev_b64 v[6:7], 20, v[16:17]
	v_cmp_gt_i32_e32 vcc, 16, v18
	v_min_i32_e32 v1, 15, v18
	v_cndmask_b32_e32 v7, 0, v7, vcc
	v_cndmask_b32_e32 v6, 7, v6, vcc
	v_lshlrev_b32_e32 v1, 3, v1
	v_cmp_eq_u32_e32 vcc, 0, v18
	v_cmp_eq_u64_e64 s[28:29], 0, v[6:7]
	v_and_b32_e32 v1, 0xf8, v1
	v_and_or_b32 v1, v6, 7, v1
	s_and_b64 s[28:29], vcc, s[28:29]
	v_cndmask_b32_e64 v1, v1, 0, s[28:29]
	v_or_b32_e32 v19, v1, v0
.LBB4_2364:                             ;   in Loop: Header=BB4_1984 Depth=3
	s_or_b64 exec, exec, s[68:69]
.LBB4_2365:                             ;   in Loop: Header=BB4_1984 Depth=3
	s_or_b64 exec, exec, s[66:67]
                                        ; implicit-def: $vgpr16
.LBB4_2366:                             ;   in Loop: Header=BB4_1984 Depth=3
	s_andn2_saveexec_b64 s[28:29], s[36:37]
; %bb.2367:                             ;   in Loop: Header=BB4_1984 Depth=3
	v_or_b32_sdwa v0, v16, s92 dst_sel:DWORD dst_unused:UNUSED_PAD src0_sel:BYTE_3 src1_sel:DWORD
	v_cmp_eq_u64_e32 vcc, 0, v[58:59]
	v_cndmask_b32_e32 v19, v0, v19, vcc
; %bb.2368:                             ;   in Loop: Header=BB4_1984 Depth=3
	s_or_b64 exec, exec, s[28:29]
	v_cmp_ne_u16_sdwa vcc, v12, v59 src0_sel:BYTE_0 src1_sel:DWORD
	v_mov_b32_e32 v0, 0
	v_mov_b32_e32 v16, 0
	s_and_saveexec_b64 s[28:29], vcc
	s_cbranch_execz .LBB4_2374
; %bb.2369:                             ;   in Loop: Header=BB4_1984 Depth=3
	v_cmp_ne_u16_sdwa vcc, v12, s91 src0_sel:BYTE_0 src1_sel:DWORD
	v_bfrev_b32_e32 v16, 1
	s_and_saveexec_b64 s[36:37], vcc
	s_cbranch_execz .LBB4_2373
; %bb.2370:                             ;   in Loop: Header=BB4_1984 Depth=3
	v_and_b32_e32 v1, 0x7f, v12
	v_cmp_ne_u32_e32 vcc, s92, v1
	v_mov_b32_e32 v16, 0x7f800001
	s_and_saveexec_b64 s[66:67], vcc
	s_cbranch_execz .LBB4_2372
; %bb.2371:                             ;   in Loop: Header=BB4_1984 Depth=3
	v_and_b32_e32 v6, 7, v12
	v_ffbh_u32_e32 v6, v6
	v_min_u32_e32 v6, 32, v6
	v_lshrrev_b32_e32 v7, 3, v1
	v_subrev_u32_e32 v16, 28, v6
	v_sub_u32_e32 v6, 29, v6
	v_cmp_gt_u32_e32 vcc, 8, v1
	v_cndmask_b32_e32 v1, v7, v6, vcc
	v_cndmask_b32_e32 v6, 0, v16, vcc
	v_lshlrev_b64 v[6:7], v6, v[12:13]
	v_lshlrev_b32_e32 v6, 20, v6
	v_lshlrev_b32_e32 v7, 24, v12
	v_bfrev_b32_e32 v16, 60
	v_and_b32_e32 v6, 0x700000, v6
	v_and_b32_e32 v7, 0x80000000, v7
	v_lshl_add_u32 v1, v1, 23, v16
	v_or3_b32 v16, v7, v1, v6
.LBB4_2372:                             ;   in Loop: Header=BB4_1984 Depth=3
	s_or_b64 exec, exec, s[66:67]
.LBB4_2373:                             ;   in Loop: Header=BB4_1984 Depth=3
	s_or_b64 exec, exec, s[36:37]
.LBB4_2374:                             ;   in Loop: Header=BB4_1984 Depth=3
	s_or_b64 exec, exec, s[28:29]
	s_waitcnt vmcnt(3)
	v_cmp_ne_u16_sdwa vcc, v8, v59 src0_sel:BYTE_0 src1_sel:DWORD
	s_and_saveexec_b64 s[28:29], vcc
	s_cbranch_execz .LBB4_2380
; %bb.2375:                             ;   in Loop: Header=BB4_1984 Depth=3
	v_cmp_ne_u16_sdwa vcc, v8, s91 src0_sel:BYTE_0 src1_sel:DWORD
	v_bfrev_b32_e32 v0, 1
	s_and_saveexec_b64 s[36:37], vcc
	s_cbranch_execz .LBB4_2379
; %bb.2376:                             ;   in Loop: Header=BB4_1984 Depth=3
	v_and_b32_e32 v1, 0x7f, v8
	v_cmp_ne_u32_e32 vcc, s92, v1
	v_mov_b32_e32 v0, 0x7f800001
	s_and_saveexec_b64 s[66:67], vcc
	s_cbranch_execz .LBB4_2378
; %bb.2377:                             ;   in Loop: Header=BB4_1984 Depth=3
	v_and_b32_e32 v0, 7, v8
	v_ffbh_u32_e32 v0, v0
	v_min_u32_e32 v0, 32, v0
	v_lshrrev_b32_e32 v6, 3, v1
	v_subrev_u32_e32 v7, 28, v0
	v_sub_u32_e32 v0, 29, v0
	v_cmp_gt_u32_e32 vcc, 8, v1
	v_cndmask_b32_e32 v6, v6, v0, vcc
	v_cndmask_b32_e32 v0, 0, v7, vcc
	v_lshlrev_b64 v[0:1], v0, v[8:9]
	v_lshlrev_b32_e32 v0, 20, v0
	v_lshlrev_b32_e32 v1, 24, v8
	v_bfrev_b32_e32 v7, 60
	v_and_b32_e32 v0, 0x700000, v0
	v_and_b32_e32 v1, 0x80000000, v1
	v_lshl_add_u32 v6, v6, 23, v7
	v_or3_b32 v0, v1, v6, v0
.LBB4_2378:                             ;   in Loop: Header=BB4_1984 Depth=3
	s_or_b64 exec, exec, s[66:67]
.LBB4_2379:                             ;   in Loop: Header=BB4_1984 Depth=3
	s_or_b64 exec, exec, s[36:37]
.LBB4_2380:                             ;   in Loop: Header=BB4_1984 Depth=3
	s_or_b64 exec, exec, s[28:29]
	v_add_f32_e32 v16, v16, v0
	v_and_b32_sdwa v0, v16, s91 dst_sel:DWORD dst_unused:UNUSED_PAD src0_sel:BYTE_3 src1_sel:DWORD
	v_and_b32_e32 v22, 0x7f800000, v16
	v_mov_b32_e32 v23, v59
	v_and_b32_e32 v58, 0x7fffff, v16
	v_or_b32_e32 v6, 0x7e, v0
	v_cmp_ne_u64_e32 vcc, s[54:55], v[22:23]
	s_and_saveexec_b64 s[28:29], vcc
	s_xor_b64 s[36:37], exec, s[28:29]
	s_cbranch_execz .LBB4_2390
; %bb.2381:                             ;   in Loop: Header=BB4_1984 Depth=3
	v_and_b32_e32 v22, 0x7fffffff, v16
	v_mov_b32_e32 v23, v59
	v_cmp_gt_u64_e32 vcc, s[56:57], v[22:23]
	s_and_saveexec_b64 s[66:67], vcc
	s_cbranch_execz .LBB4_2389
; %bb.2382:                             ;   in Loop: Header=BB4_1984 Depth=3
	v_cmp_ne_u32_e32 vcc, 0, v16
	v_mov_b32_e32 v6, 0
	s_and_saveexec_b64 s[68:69], vcc
	s_cbranch_execz .LBB4_2388
; %bb.2383:                             ;   in Loop: Header=BB4_1984 Depth=3
	v_bfe_u32 v1, v16, 23, 8
	v_sub_u32_e32 v7, 0x79, v1
	v_cmp_gt_u32_e32 vcc, s93, v1
	v_add_u32_e32 v6, 0xffffff81, v1
	v_cndmask_b32_e32 v7, 0, v7, vcc
	v_cmp_eq_u32_e32 vcc, 0, v1
	v_mov_b32_e32 v1, 0xffffff82
	v_cndmask_b32_e32 v1, v6, v1, vcc
	v_mov_b32_e32 v6, 0x78
	v_or_b32_e32 v16, 0x800000, v58
	v_cndmask_b32_e32 v18, v7, v6, vcc
	v_cndmask_b32_e32 v58, v16, v58, vcc
	v_add_u32_e32 v6, 20, v18
	v_lshlrev_b64 v[6:7], v6, -1
	v_lshrrev_b64 v[32:33], v18, v[58:59]
	v_not_b32_e32 v7, v7
	v_not_b32_e32 v6, v6
	v_add_u32_e32 v16, 19, v18
	v_lshrrev_b32_e32 v20, 23, v32
	v_and_b32_e32 v7, 0, v7
	v_and_b32_e32 v6, v58, v6
	v_lshlrev_b64 v[16:17], v16, 1
	v_add3_u32 v23, v18, v1, v20
	v_bfe_u32 v1, v32, 20, 1
	v_add_u32_e32 v1, -1, v1
	v_cmp_eq_u64_e32 vcc, v[6:7], v[16:17]
	v_cndmask_b32_e32 v1, 0, v1, vcc
	v_add_u32_e32 v1, v1, v32
	v_and_b32_e32 v1, 0xfffff, v1
	v_add_co_u32_e32 v16, vcc, v1, v32
	v_add_u32_e32 v22, 6, v23
	v_addc_co_u32_e32 v17, vcc, 0, v33, vcc
	v_cmp_ne_u32_e32 vcc, 0, v22
                                        ; implicit-def: $vgpr18
	s_and_saveexec_b64 s[28:29], vcc
	s_xor_b64 s[28:29], exec, s[28:29]
; %bb.2384:                             ;   in Loop: Header=BB4_1984 Depth=3
	v_add_u32_e32 v1, 7, v23
	v_cmp_lt_u64_e32 vcc, s[58:59], v[16:17]
	v_cndmask_b32_e32 v18, v22, v1, vcc
	v_cndmask_b32_e64 v1, 0, 1, vcc
	v_lshrrev_b64 v[16:17], v1, v[16:17]
; %bb.2385:                             ;   in Loop: Header=BB4_1984 Depth=3
	s_andn2_saveexec_b64 s[28:29], s[28:29]
; %bb.2386:                             ;   in Loop: Header=BB4_1984 Depth=3
	v_bfe_u32 v18, v16, 23, 1
; %bb.2387:                             ;   in Loop: Header=BB4_1984 Depth=3
	s_or_b64 exec, exec, s[28:29]
	v_lshrrev_b64 v[6:7], 20, v[16:17]
	v_cmp_gt_i32_e32 vcc, 16, v18
	v_cndmask_b32_e32 v7, 0, v7, vcc
	v_cndmask_b32_e32 v6, 7, v6, vcc
	v_min_i32_e32 v1, 15, v18
	v_cmp_eq_u32_e32 vcc, 0, v18
	v_cmp_eq_u64_e64 s[28:29], 0, v[6:7]
	v_lshlrev_b32_e32 v1, 3, v1
	v_and_or_b32 v1, v6, 7, v1
	s_and_b64 s[28:29], vcc, s[28:29]
	v_cndmask_b32_e64 v1, v1, 0, s[28:29]
	v_or_b32_e32 v6, v1, v0
.LBB4_2388:                             ;   in Loop: Header=BB4_1984 Depth=3
	s_or_b64 exec, exec, s[68:69]
.LBB4_2389:                             ;   in Loop: Header=BB4_1984 Depth=3
	s_or_b64 exec, exec, s[66:67]
                                        ; implicit-def: $vgpr16
.LBB4_2390:                             ;   in Loop: Header=BB4_1984 Depth=3
	s_andn2_saveexec_b64 s[28:29], s[36:37]
; %bb.2391:                             ;   in Loop: Header=BB4_1984 Depth=3
	v_or_b32_sdwa v0, v16, s92 dst_sel:DWORD dst_unused:UNUSED_PAD src0_sel:BYTE_3 src1_sel:DWORD
	v_cmp_eq_u64_e32 vcc, 0, v[58:59]
	v_cndmask_b32_e32 v6, v0, v6, vcc
; %bb.2392:                             ;   in Loop: Header=BB4_1984 Depth=3
	s_or_b64 exec, exec, s[28:29]
	v_lshrrev_b16_e32 v16, 8, v12
	v_cmp_ne_u16_e32 vcc, 0, v16
	v_mov_b32_e32 v0, 0
	v_mov_b32_e32 v17, 0
	s_and_saveexec_b64 s[28:29], vcc
	s_cbranch_execz .LBB4_2398
; %bb.2393:                             ;   in Loop: Header=BB4_1984 Depth=3
	v_cmp_ne_u16_e32 vcc, s91, v16
	v_bfrev_b32_e32 v17, 1
	s_and_saveexec_b64 s[36:37], vcc
	s_cbranch_execz .LBB4_2397
; %bb.2394:                             ;   in Loop: Header=BB4_1984 Depth=3
	v_and_b32_e32 v1, 0x7f, v16
	v_cmp_ne_u32_e32 vcc, s92, v1
	v_mov_b32_e32 v17, 0x7f800001
	s_and_saveexec_b64 s[66:67], vcc
	s_cbranch_execz .LBB4_2396
; %bb.2395:                             ;   in Loop: Header=BB4_1984 Depth=3
	v_and_b32_e32 v7, 7, v16
	v_ffbh_u32_e32 v17, v7
	v_min_u32_e32 v20, 32, v17
	v_subrev_u32_e32 v17, 28, v20
	v_lshlrev_b64 v[16:17], v17, v[16:17]
	v_lshrrev_b32_e32 v18, 3, v1
	v_sub_u32_e32 v17, 29, v20
	v_and_b32_e32 v16, 7, v16
	v_cmp_gt_u32_e32 vcc, 8, v1
	v_cndmask_b32_e32 v1, v18, v17, vcc
	v_cndmask_b32_e32 v7, v7, v16, vcc
	v_lshlrev_b32_e32 v16, 16, v12
	v_bfrev_b32_e32 v17, 60
	v_lshlrev_b32_e32 v7, 20, v7
	v_and_b32_e32 v16, 0x80000000, v16
	v_lshl_add_u32 v1, v1, 23, v17
	v_or3_b32 v17, v16, v1, v7
.LBB4_2396:                             ;   in Loop: Header=BB4_1984 Depth=3
	s_or_b64 exec, exec, s[66:67]
.LBB4_2397:                             ;   in Loop: Header=BB4_1984 Depth=3
	s_or_b64 exec, exec, s[36:37]
.LBB4_2398:                             ;   in Loop: Header=BB4_1984 Depth=3
	s_or_b64 exec, exec, s[28:29]
	v_lshrrev_b16_e32 v16, 8, v8
	v_cmp_ne_u16_e32 vcc, 0, v16
	s_and_saveexec_b64 s[28:29], vcc
	s_cbranch_execz .LBB4_2404
; %bb.2399:                             ;   in Loop: Header=BB4_1984 Depth=3
	v_cmp_ne_u16_e32 vcc, s91, v16
	v_bfrev_b32_e32 v0, 1
	s_and_saveexec_b64 s[36:37], vcc
	s_cbranch_execz .LBB4_2403
; %bb.2400:                             ;   in Loop: Header=BB4_1984 Depth=3
	v_and_b32_e32 v1, 0x7f, v16
	v_cmp_ne_u32_e32 vcc, s92, v1
	v_mov_b32_e32 v0, 0x7f800001
	s_and_saveexec_b64 s[66:67], vcc
	s_cbranch_execz .LBB4_2402
; %bb.2401:                             ;   in Loop: Header=BB4_1984 Depth=3
	v_and_b32_e32 v0, 7, v16
	v_ffbh_u32_e32 v18, v0
	v_min_u32_e32 v18, 32, v18
	v_subrev_u32_e32 v20, 28, v18
	v_lshlrev_b64 v[22:23], v20, v[16:17]
	v_lshrrev_b32_e32 v7, 3, v1
	v_sub_u32_e32 v16, 29, v18
	v_and_b32_e32 v18, 7, v22
	v_cmp_gt_u32_e32 vcc, 8, v1
	v_cndmask_b32_e32 v1, v7, v16, vcc
	v_cndmask_b32_e32 v0, v0, v18, vcc
	v_lshlrev_b32_e32 v7, 16, v8
	v_bfrev_b32_e32 v16, 60
	v_lshlrev_b32_e32 v0, 20, v0
	v_and_b32_e32 v7, 0x80000000, v7
	v_lshl_add_u32 v1, v1, 23, v16
	v_or3_b32 v0, v7, v1, v0
.LBB4_2402:                             ;   in Loop: Header=BB4_1984 Depth=3
	s_or_b64 exec, exec, s[66:67]
.LBB4_2403:                             ;   in Loop: Header=BB4_1984 Depth=3
	s_or_b64 exec, exec, s[36:37]
.LBB4_2404:                             ;   in Loop: Header=BB4_1984 Depth=3
	s_or_b64 exec, exec, s[28:29]
	v_add_f32_e32 v16, v17, v0
	v_and_b32_sdwa v0, v16, s91 dst_sel:DWORD dst_unused:UNUSED_PAD src0_sel:BYTE_3 src1_sel:DWORD
	v_and_b32_e32 v22, 0x7f800000, v16
	v_mov_b32_e32 v23, v59
	v_and_b32_e32 v58, 0x7fffff, v16
	v_or_b32_e32 v7, 0x7e, v0
	v_cmp_ne_u64_e32 vcc, s[54:55], v[22:23]
	s_and_saveexec_b64 s[28:29], vcc
	s_xor_b64 s[36:37], exec, s[28:29]
	s_cbranch_execz .LBB4_2414
; %bb.2405:                             ;   in Loop: Header=BB4_1984 Depth=3
	v_and_b32_e32 v22, 0x7fffffff, v16
	v_mov_b32_e32 v23, v59
	v_cmp_gt_u64_e32 vcc, s[56:57], v[22:23]
	s_and_saveexec_b64 s[66:67], vcc
	s_cbranch_execz .LBB4_2413
; %bb.2406:                             ;   in Loop: Header=BB4_1984 Depth=3
	v_cmp_ne_u32_e32 vcc, 0, v16
	v_mov_b32_e32 v7, 0
	s_and_saveexec_b64 s[68:69], vcc
	s_cbranch_execz .LBB4_2412
; %bb.2407:                             ;   in Loop: Header=BB4_1984 Depth=3
	v_bfe_u32 v1, v16, 23, 8
	v_sub_u32_e32 v16, 0x79, v1
	v_cmp_gt_u32_e32 vcc, s93, v1
	v_add_u32_e32 v7, 0xffffff81, v1
	v_cndmask_b32_e32 v16, 0, v16, vcc
	v_cmp_eq_u32_e32 vcc, 0, v1
	v_mov_b32_e32 v1, 0xffffff82
	v_cndmask_b32_e32 v1, v7, v1, vcc
	v_mov_b32_e32 v7, 0x78
	v_or_b32_e32 v17, 0x800000, v58
	v_cndmask_b32_e32 v7, v16, v7, vcc
	v_cndmask_b32_e32 v58, v17, v58, vcc
	v_add_u32_e32 v16, 20, v7
	v_lshlrev_b64 v[16:17], v16, -1
	v_add_u32_e32 v18, 19, v7
	v_lshrrev_b64 v[34:35], v7, v[58:59]
	v_not_b32_e32 v17, v17
	v_not_b32_e32 v16, v16
	v_lshlrev_b64 v[32:33], v18, 1
	v_lshrrev_b32_e32 v18, 23, v34
	v_and_b32_e32 v17, 0, v17
	v_and_b32_e32 v16, v58, v16
	v_add3_u32 v31, v7, v1, v18
	v_bfe_u32 v1, v34, 20, 1
	v_add_u32_e32 v1, -1, v1
	v_cmp_eq_u64_e32 vcc, v[16:17], v[32:33]
	v_cndmask_b32_e32 v1, 0, v1, vcc
	v_add_u32_e32 v1, v1, v34
	v_and_b32_e32 v1, 0xfffff, v1
	v_add_co_u32_e32 v16, vcc, v1, v34
	v_add_u32_e32 v23, 6, v31
	v_addc_co_u32_e32 v17, vcc, 0, v35, vcc
	v_cmp_ne_u32_e32 vcc, 0, v23
                                        ; implicit-def: $vgpr18
	s_and_saveexec_b64 s[28:29], vcc
	s_xor_b64 s[28:29], exec, s[28:29]
; %bb.2408:                             ;   in Loop: Header=BB4_1984 Depth=3
	v_add_u32_e32 v1, 7, v31
	v_cmp_lt_u64_e32 vcc, s[58:59], v[16:17]
	v_cndmask_b32_e32 v18, v23, v1, vcc
	v_cndmask_b32_e64 v1, 0, 1, vcc
	v_lshrrev_b64 v[16:17], v1, v[16:17]
; %bb.2409:                             ;   in Loop: Header=BB4_1984 Depth=3
	s_andn2_saveexec_b64 s[28:29], s[28:29]
; %bb.2410:                             ;   in Loop: Header=BB4_1984 Depth=3
	v_bfe_u32 v18, v16, 23, 1
; %bb.2411:                             ;   in Loop: Header=BB4_1984 Depth=3
	s_or_b64 exec, exec, s[28:29]
	v_lshrrev_b64 v[16:17], 20, v[16:17]
	v_cmp_gt_i32_e32 vcc, 16, v18
	v_cndmask_b32_e32 v17, 0, v17, vcc
	v_cndmask_b32_e32 v16, 7, v16, vcc
	v_min_i32_e32 v1, 15, v18
	v_cmp_eq_u32_e32 vcc, 0, v18
	v_cmp_eq_u64_e64 s[28:29], 0, v[16:17]
	v_lshlrev_b32_e32 v1, 3, v1
	v_and_or_b32 v1, v16, 7, v1
	s_and_b64 s[28:29], vcc, s[28:29]
	v_cndmask_b32_e64 v1, v1, 0, s[28:29]
	v_or_b32_e32 v7, v1, v0
.LBB4_2412:                             ;   in Loop: Header=BB4_1984 Depth=3
	s_or_b64 exec, exec, s[68:69]
.LBB4_2413:                             ;   in Loop: Header=BB4_1984 Depth=3
	s_or_b64 exec, exec, s[66:67]
                                        ; implicit-def: $vgpr16
.LBB4_2414:                             ;   in Loop: Header=BB4_1984 Depth=3
	s_andn2_saveexec_b64 s[28:29], s[36:37]
; %bb.2415:                             ;   in Loop: Header=BB4_1984 Depth=3
	v_or_b32_sdwa v0, v16, s92 dst_sel:DWORD dst_unused:UNUSED_PAD src0_sel:BYTE_3 src1_sel:DWORD
	v_cmp_eq_u64_e32 vcc, 0, v[58:59]
	v_cndmask_b32_e32 v7, v0, v7, vcc
; %bb.2416:                             ;   in Loop: Header=BB4_1984 Depth=3
	s_or_b64 exec, exec, s[28:29]
	v_lshrrev_b32_e32 v16, 16, v12
	v_cmp_ne_u16_sdwa vcc, v16, v59 src0_sel:BYTE_0 src1_sel:DWORD
	v_mov_b32_e32 v0, 0
	v_mov_b32_e32 v17, 0
	s_and_saveexec_b64 s[28:29], vcc
	s_cbranch_execz .LBB4_2422
; %bb.2417:                             ;   in Loop: Header=BB4_1984 Depth=3
	v_cmp_ne_u16_sdwa vcc, v16, s91 src0_sel:BYTE_0 src1_sel:DWORD
	v_bfrev_b32_e32 v17, 1
	s_and_saveexec_b64 s[36:37], vcc
	s_cbranch_execz .LBB4_2421
; %bb.2418:                             ;   in Loop: Header=BB4_1984 Depth=3
	v_bfe_u32 v1, v12, 16, 7
	v_cmp_ne_u32_e32 vcc, s92, v1
	v_mov_b32_e32 v17, 0x7f800001
	s_and_saveexec_b64 s[66:67], vcc
	s_cbranch_execz .LBB4_2420
; %bb.2419:                             ;   in Loop: Header=BB4_1984 Depth=3
	v_and_b32_e32 v17, 7, v16
	v_ffbh_u32_e32 v20, v17
	v_min_u32_e32 v20, 32, v20
	v_subrev_u32_e32 v22, 28, v20
	v_lshlrev_b64 v[22:23], v22, v[16:17]
	v_lshrrev_b32_e32 v18, 3, v1
	v_sub_u32_e32 v20, 29, v20
	v_and_b32_e32 v22, 7, v22
	v_cmp_gt_u32_e32 vcc, 8, v1
	v_cndmask_b32_e32 v1, v18, v20, vcc
	v_cndmask_b32_e32 v17, v17, v22, vcc
	v_lshlrev_b32_e32 v16, 24, v16
	v_bfrev_b32_e32 v18, 60
	v_lshlrev_b32_e32 v17, 20, v17
	v_and_b32_e32 v16, 0x80000000, v16
	v_lshl_add_u32 v1, v1, 23, v18
	v_or3_b32 v17, v16, v1, v17
.LBB4_2420:                             ;   in Loop: Header=BB4_1984 Depth=3
	s_or_b64 exec, exec, s[66:67]
.LBB4_2421:                             ;   in Loop: Header=BB4_1984 Depth=3
	s_or_b64 exec, exec, s[36:37]
.LBB4_2422:                             ;   in Loop: Header=BB4_1984 Depth=3
	s_or_b64 exec, exec, s[28:29]
	v_lshrrev_b32_e32 v16, 16, v8
	v_cmp_ne_u16_sdwa vcc, v16, v59 src0_sel:BYTE_0 src1_sel:DWORD
	s_and_saveexec_b64 s[28:29], vcc
	s_cbranch_execz .LBB4_2428
; %bb.2423:                             ;   in Loop: Header=BB4_1984 Depth=3
	v_cmp_ne_u16_sdwa vcc, v16, s91 src0_sel:BYTE_0 src1_sel:DWORD
	v_bfrev_b32_e32 v0, 1
	s_and_saveexec_b64 s[36:37], vcc
	s_cbranch_execz .LBB4_2427
; %bb.2424:                             ;   in Loop: Header=BB4_1984 Depth=3
	v_bfe_u32 v1, v8, 16, 7
	v_cmp_ne_u32_e32 vcc, s92, v1
	v_mov_b32_e32 v0, 0x7f800001
	s_and_saveexec_b64 s[66:67], vcc
	s_cbranch_execz .LBB4_2426
; %bb.2425:                             ;   in Loop: Header=BB4_1984 Depth=3
	v_and_b32_e32 v0, 7, v16
	v_ffbh_u32_e32 v20, v0
	v_min_u32_e32 v20, 32, v20
	v_subrev_u32_e32 v22, 28, v20
	v_lshlrev_b64 v[22:23], v22, v[16:17]
	v_lshrrev_b32_e32 v18, 3, v1
	v_sub_u32_e32 v16, 29, v20
	v_and_b32_e32 v20, 7, v22
	v_cmp_gt_u32_e32 vcc, 8, v1
	v_cndmask_b32_e32 v1, v18, v16, vcc
	v_cndmask_b32_e32 v0, v0, v20, vcc
	v_lshlrev_b32_e32 v16, 8, v8
	v_bfrev_b32_e32 v18, 60
	v_lshlrev_b32_e32 v0, 20, v0
	v_and_b32_e32 v16, 0x80000000, v16
	v_lshl_add_u32 v1, v1, 23, v18
	v_or3_b32 v0, v16, v1, v0
.LBB4_2426:                             ;   in Loop: Header=BB4_1984 Depth=3
	s_or_b64 exec, exec, s[66:67]
.LBB4_2427:                             ;   in Loop: Header=BB4_1984 Depth=3
	s_or_b64 exec, exec, s[36:37]
.LBB4_2428:                             ;   in Loop: Header=BB4_1984 Depth=3
	s_or_b64 exec, exec, s[28:29]
	v_add_f32_e32 v16, v17, v0
	v_and_b32_sdwa v0, v16, s91 dst_sel:DWORD dst_unused:UNUSED_PAD src0_sel:BYTE_3 src1_sel:DWORD
	v_and_b32_e32 v22, 0x7f800000, v16
	v_mov_b32_e32 v23, v59
	v_and_b32_e32 v58, 0x7fffff, v16
	v_or_b32_e32 v56, 0x7e, v0
	v_cmp_ne_u64_e32 vcc, s[54:55], v[22:23]
	s_and_saveexec_b64 s[28:29], vcc
	s_xor_b64 s[36:37], exec, s[28:29]
	s_cbranch_execz .LBB4_2438
; %bb.2429:                             ;   in Loop: Header=BB4_1984 Depth=3
	v_and_b32_e32 v22, 0x7fffffff, v16
	v_mov_b32_e32 v23, v59
	v_cmp_gt_u64_e32 vcc, s[56:57], v[22:23]
	s_and_saveexec_b64 s[66:67], vcc
	s_cbranch_execz .LBB4_2437
; %bb.2430:                             ;   in Loop: Header=BB4_1984 Depth=3
	v_cmp_ne_u32_e32 vcc, 0, v16
	v_mov_b32_e32 v56, 0
	s_and_saveexec_b64 s[68:69], vcc
	s_cbranch_execz .LBB4_2436
; %bb.2431:                             ;   in Loop: Header=BB4_1984 Depth=3
	v_bfe_u32 v1, v16, 23, 8
	v_sub_u32_e32 v17, 0x79, v1
	v_cmp_gt_u32_e32 vcc, s93, v1
	v_add_u32_e32 v16, 0xffffff81, v1
	v_cndmask_b32_e32 v17, 0, v17, vcc
	v_cmp_eq_u32_e32 vcc, 0, v1
	v_mov_b32_e32 v1, 0xffffff82
	v_cndmask_b32_e32 v1, v16, v1, vcc
	v_mov_b32_e32 v16, 0x78
	v_or_b32_e32 v18, 0x800000, v58
	v_cndmask_b32_e32 v20, v17, v16, vcc
	v_cndmask_b32_e32 v58, v18, v58, vcc
	v_add_u32_e32 v16, 20, v20
	v_lshlrev_b64 v[16:17], v16, -1
	v_add_u32_e32 v18, 19, v20
	v_lshrrev_b64 v[32:33], v20, v[58:59]
	v_not_b32_e32 v17, v17
	v_not_b32_e32 v16, v16
	v_lshlrev_b64 v[22:23], v18, 1
	v_lshrrev_b32_e32 v18, 23, v32
	v_and_b32_e32 v17, 0, v17
	v_and_b32_e32 v16, v58, v16
	v_add3_u32 v39, v20, v1, v18
	v_bfe_u32 v1, v32, 20, 1
	v_add_u32_e32 v1, -1, v1
	v_cmp_eq_u64_e32 vcc, v[16:17], v[22:23]
	v_cndmask_b32_e32 v1, 0, v1, vcc
	v_add_u32_e32 v1, v1, v32
	v_and_b32_e32 v1, 0xfffff, v1
	v_add_co_u32_e32 v16, vcc, v1, v32
	v_add_u32_e32 v31, 6, v39
	v_addc_co_u32_e32 v17, vcc, 0, v33, vcc
	v_cmp_ne_u32_e32 vcc, 0, v31
                                        ; implicit-def: $vgpr18
	s_and_saveexec_b64 s[28:29], vcc
	s_xor_b64 s[28:29], exec, s[28:29]
; %bb.2432:                             ;   in Loop: Header=BB4_1984 Depth=3
	v_add_u32_e32 v1, 7, v39
	v_cmp_lt_u64_e32 vcc, s[58:59], v[16:17]
	v_cndmask_b32_e32 v18, v31, v1, vcc
	v_cndmask_b32_e64 v1, 0, 1, vcc
	v_lshrrev_b64 v[16:17], v1, v[16:17]
; %bb.2433:                             ;   in Loop: Header=BB4_1984 Depth=3
	s_andn2_saveexec_b64 s[28:29], s[28:29]
; %bb.2434:                             ;   in Loop: Header=BB4_1984 Depth=3
	v_bfe_u32 v18, v16, 23, 1
; %bb.2435:                             ;   in Loop: Header=BB4_1984 Depth=3
	s_or_b64 exec, exec, s[28:29]
	v_lshrrev_b64 v[16:17], 20, v[16:17]
	v_cmp_gt_i32_e32 vcc, 16, v18
	v_cndmask_b32_e32 v17, 0, v17, vcc
	v_cndmask_b32_e32 v16, 7, v16, vcc
	v_min_i32_e32 v1, 15, v18
	v_cmp_eq_u32_e32 vcc, 0, v18
	v_cmp_eq_u64_e64 s[28:29], 0, v[16:17]
	v_lshlrev_b32_e32 v1, 3, v1
	v_and_or_b32 v1, v16, 7, v1
	s_and_b64 s[28:29], vcc, s[28:29]
	v_cndmask_b32_e64 v1, v1, 0, s[28:29]
	v_or_b32_e32 v56, v1, v0
.LBB4_2436:                             ;   in Loop: Header=BB4_1984 Depth=3
	s_or_b64 exec, exec, s[68:69]
.LBB4_2437:                             ;   in Loop: Header=BB4_1984 Depth=3
	s_or_b64 exec, exec, s[66:67]
                                        ; implicit-def: $vgpr16
.LBB4_2438:                             ;   in Loop: Header=BB4_1984 Depth=3
	s_andn2_saveexec_b64 s[28:29], s[36:37]
; %bb.2439:                             ;   in Loop: Header=BB4_1984 Depth=3
	v_or_b32_sdwa v0, v16, s92 dst_sel:DWORD dst_unused:UNUSED_PAD src0_sel:BYTE_3 src1_sel:DWORD
	v_cmp_eq_u64_e32 vcc, 0, v[58:59]
	v_cndmask_b32_e32 v56, v0, v56, vcc
; %bb.2440:                             ;   in Loop: Header=BB4_1984 Depth=3
	s_or_b64 exec, exec, s[28:29]
	v_cmp_lt_u32_e32 vcc, s45, v12
	v_mov_b32_e32 v0, 0
	v_mov_b32_e32 v17, 0
	s_and_saveexec_b64 s[28:29], vcc
	s_cbranch_execz .LBB4_2446
; %bb.2441:                             ;   in Loop: Header=BB4_1984 Depth=3
	v_lshrrev_b32_e32 v16, 24, v12
	v_cmp_ne_u32_e32 vcc, s91, v16
	v_bfrev_b32_e32 v17, 1
	s_and_saveexec_b64 s[36:37], vcc
	s_cbranch_execz .LBB4_2445
; %bb.2442:                             ;   in Loop: Header=BB4_1984 Depth=3
	v_bfe_u32 v1, v12, 24, 7
	v_cmp_ne_u32_e32 vcc, s92, v1
	v_mov_b32_e32 v17, 0x7f800001
	s_and_saveexec_b64 s[66:67], vcc
	s_cbranch_execz .LBB4_2444
; %bb.2443:                             ;   in Loop: Header=BB4_1984 Depth=3
	v_and_b32_e32 v17, 7, v16
	v_ffbh_u32_e32 v20, v17
	v_min_u32_e32 v20, 32, v20
	v_subrev_u32_e32 v22, 28, v20
	v_lshlrev_b64 v[22:23], v22, v[16:17]
	v_lshrrev_b32_e32 v18, 3, v1
	v_sub_u32_e32 v20, 29, v20
	v_and_b32_e32 v22, 7, v22
	v_cmp_gt_u32_e32 vcc, 8, v1
	v_cndmask_b32_e32 v1, v18, v20, vcc
	v_cndmask_b32_e32 v17, v17, v22, vcc
	v_lshlrev_b32_e32 v16, 24, v16
	v_bfrev_b32_e32 v18, 60
	v_lshlrev_b32_e32 v17, 20, v17
	v_and_b32_e32 v16, 0x80000000, v16
	v_lshl_add_u32 v1, v1, 23, v18
	v_or3_b32 v17, v16, v1, v17
.LBB4_2444:                             ;   in Loop: Header=BB4_1984 Depth=3
	s_or_b64 exec, exec, s[66:67]
.LBB4_2445:                             ;   in Loop: Header=BB4_1984 Depth=3
	s_or_b64 exec, exec, s[36:37]
.LBB4_2446:                             ;   in Loop: Header=BB4_1984 Depth=3
	s_or_b64 exec, exec, s[28:29]
	v_cmp_lt_u32_e32 vcc, s45, v8
	s_and_saveexec_b64 s[28:29], vcc
	s_cbranch_execz .LBB4_2452
; %bb.2447:                             ;   in Loop: Header=BB4_1984 Depth=3
	v_lshrrev_b32_e32 v16, 24, v8
	v_cmp_ne_u32_e32 vcc, s91, v16
	v_bfrev_b32_e32 v0, 1
	s_and_saveexec_b64 s[36:37], vcc
	s_cbranch_execz .LBB4_2451
; %bb.2448:                             ;   in Loop: Header=BB4_1984 Depth=3
	v_bfe_u32 v1, v8, 24, 7
	v_cmp_ne_u32_e32 vcc, s92, v1
	v_mov_b32_e32 v0, 0x7f800001
	s_and_saveexec_b64 s[66:67], vcc
	s_cbranch_execz .LBB4_2450
; %bb.2449:                             ;   in Loop: Header=BB4_1984 Depth=3
	v_and_b32_e32 v0, 7, v16
	v_ffbh_u32_e32 v20, v0
	v_min_u32_e32 v20, 32, v20
	v_subrev_u32_e32 v22, 28, v20
	v_lshlrev_b64 v[22:23], v22, v[16:17]
	v_lshrrev_b32_e32 v18, 3, v1
	v_sub_u32_e32 v20, 29, v20
	v_and_b32_e32 v22, 7, v22
	v_cmp_gt_u32_e32 vcc, 8, v1
	v_cndmask_b32_e32 v1, v18, v20, vcc
	v_cndmask_b32_e32 v0, v0, v22, vcc
	v_lshlrev_b32_e32 v16, 24, v16
	v_bfrev_b32_e32 v18, 60
	v_lshlrev_b32_e32 v0, 20, v0
	v_and_b32_e32 v16, 0x80000000, v16
	v_lshl_add_u32 v1, v1, 23, v18
	v_or3_b32 v0, v16, v1, v0
.LBB4_2450:                             ;   in Loop: Header=BB4_1984 Depth=3
	s_or_b64 exec, exec, s[66:67]
.LBB4_2451:                             ;   in Loop: Header=BB4_1984 Depth=3
	s_or_b64 exec, exec, s[36:37]
.LBB4_2452:                             ;   in Loop: Header=BB4_1984 Depth=3
	s_or_b64 exec, exec, s[28:29]
	v_add_f32_e32 v16, v17, v0
	v_and_b32_sdwa v0, v16, s91 dst_sel:DWORD dst_unused:UNUSED_PAD src0_sel:BYTE_3 src1_sel:DWORD
	v_and_b32_e32 v22, 0x7f800000, v16
	v_mov_b32_e32 v23, v59
	v_and_b32_e32 v58, 0x7fffff, v16
	v_or_b32_e32 v57, 0x7e, v0
	v_cmp_ne_u64_e32 vcc, s[54:55], v[22:23]
	s_and_saveexec_b64 s[28:29], vcc
	s_xor_b64 s[36:37], exec, s[28:29]
	s_cbranch_execz .LBB4_2462
; %bb.2453:                             ;   in Loop: Header=BB4_1984 Depth=3
	v_and_b32_e32 v22, 0x7fffffff, v16
	v_mov_b32_e32 v23, v59
	v_cmp_gt_u64_e32 vcc, s[56:57], v[22:23]
	s_and_saveexec_b64 s[66:67], vcc
	s_cbranch_execz .LBB4_2461
; %bb.2454:                             ;   in Loop: Header=BB4_1984 Depth=3
	v_cmp_ne_u32_e32 vcc, 0, v16
	v_mov_b32_e32 v57, 0
	s_and_saveexec_b64 s[68:69], vcc
	s_cbranch_execz .LBB4_2460
; %bb.2455:                             ;   in Loop: Header=BB4_1984 Depth=3
	v_bfe_u32 v1, v16, 23, 8
	v_sub_u32_e32 v17, 0x79, v1
	v_cmp_gt_u32_e32 vcc, s93, v1
	v_add_u32_e32 v16, 0xffffff81, v1
	v_cndmask_b32_e32 v17, 0, v17, vcc
	v_cmp_eq_u32_e32 vcc, 0, v1
	v_mov_b32_e32 v1, 0xffffff82
	v_cndmask_b32_e32 v1, v16, v1, vcc
	v_mov_b32_e32 v16, 0x78
	v_or_b32_e32 v18, 0x800000, v58
	v_cndmask_b32_e32 v20, v17, v16, vcc
	v_cndmask_b32_e32 v58, v18, v58, vcc
	v_add_u32_e32 v16, 20, v20
	v_lshlrev_b64 v[16:17], v16, -1
	v_add_u32_e32 v18, 19, v20
	v_lshrrev_b64 v[32:33], v20, v[58:59]
	v_not_b32_e32 v17, v17
	v_not_b32_e32 v16, v16
	v_lshlrev_b64 v[22:23], v18, 1
	v_lshrrev_b32_e32 v18, 23, v32
	v_and_b32_e32 v17, 0, v17
	v_and_b32_e32 v16, v58, v16
	v_add3_u32 v39, v20, v1, v18
	v_bfe_u32 v1, v32, 20, 1
	v_add_u32_e32 v1, -1, v1
	v_cmp_eq_u64_e32 vcc, v[16:17], v[22:23]
	v_cndmask_b32_e32 v1, 0, v1, vcc
	v_add_u32_e32 v1, v1, v32
	v_and_b32_e32 v1, 0xfffff, v1
	v_add_co_u32_e32 v16, vcc, v1, v32
	v_add_u32_e32 v31, 6, v39
	v_addc_co_u32_e32 v17, vcc, 0, v33, vcc
	v_cmp_ne_u32_e32 vcc, 0, v31
                                        ; implicit-def: $vgpr18
	s_and_saveexec_b64 s[28:29], vcc
	s_xor_b64 s[28:29], exec, s[28:29]
; %bb.2456:                             ;   in Loop: Header=BB4_1984 Depth=3
	v_add_u32_e32 v1, 7, v39
	v_cmp_lt_u64_e32 vcc, s[58:59], v[16:17]
	v_cndmask_b32_e32 v18, v31, v1, vcc
	v_cndmask_b32_e64 v1, 0, 1, vcc
	v_lshrrev_b64 v[16:17], v1, v[16:17]
; %bb.2457:                             ;   in Loop: Header=BB4_1984 Depth=3
	s_andn2_saveexec_b64 s[28:29], s[28:29]
; %bb.2458:                             ;   in Loop: Header=BB4_1984 Depth=3
	v_bfe_u32 v18, v16, 23, 1
; %bb.2459:                             ;   in Loop: Header=BB4_1984 Depth=3
	s_or_b64 exec, exec, s[28:29]
	v_lshrrev_b64 v[16:17], 20, v[16:17]
	v_cmp_gt_i32_e32 vcc, 16, v18
	v_cndmask_b32_e32 v17, 0, v17, vcc
	v_cndmask_b32_e32 v16, 7, v16, vcc
	v_min_i32_e32 v1, 15, v18
	v_cmp_eq_u32_e32 vcc, 0, v18
	v_cmp_eq_u64_e64 s[28:29], 0, v[16:17]
	v_lshlrev_b32_e32 v1, 3, v1
	v_and_or_b32 v1, v16, 7, v1
	s_and_b64 s[28:29], vcc, s[28:29]
	v_cndmask_b32_e64 v1, v1, 0, s[28:29]
	v_or_b32_e32 v57, v1, v0
.LBB4_2460:                             ;   in Loop: Header=BB4_1984 Depth=3
	s_or_b64 exec, exec, s[68:69]
.LBB4_2461:                             ;   in Loop: Header=BB4_1984 Depth=3
	s_or_b64 exec, exec, s[66:67]
                                        ; implicit-def: $vgpr16
.LBB4_2462:                             ;   in Loop: Header=BB4_1984 Depth=3
	s_andn2_saveexec_b64 s[28:29], s[36:37]
; %bb.2463:                             ;   in Loop: Header=BB4_1984 Depth=3
	v_or_b32_sdwa v0, v16, s92 dst_sel:DWORD dst_unused:UNUSED_PAD src0_sel:BYTE_3 src1_sel:DWORD
	v_cmp_eq_u64_e32 vcc, 0, v[58:59]
	v_cndmask_b32_e32 v57, v0, v57, vcc
; %bb.2464:                             ;   in Loop: Header=BB4_1984 Depth=3
	s_or_b64 exec, exec, s[28:29]
	v_mov_b32_e32 v58, v13
	v_cmp_ne_u16_sdwa vcc, v13, v59 src0_sel:BYTE_0 src1_sel:DWORD
	v_mov_b32_e32 v16, 0
	v_mov_b32_e32 v0, 0
	s_and_saveexec_b64 s[28:29], vcc
	s_cbranch_execz .LBB4_2470
; %bb.2465:                             ;   in Loop: Header=BB4_1984 Depth=3
	v_cmp_ne_u16_sdwa vcc, v13, s91 src0_sel:BYTE_0 src1_sel:DWORD
	v_bfrev_b32_e32 v0, 1
	s_and_saveexec_b64 s[36:37], vcc
	s_cbranch_execz .LBB4_2469
; %bb.2466:                             ;   in Loop: Header=BB4_1984 Depth=3
	v_and_b32_e32 v1, 0x7f, v13
	v_cmp_ne_u32_e32 vcc, s92, v1
	v_mov_b32_e32 v0, 0x7f800001
	s_and_saveexec_b64 s[66:67], vcc
	s_cbranch_execz .LBB4_2468
; %bb.2467:                             ;   in Loop: Header=BB4_1984 Depth=3
	v_and_b32_e32 v0, 7, v13
	v_ffbh_u32_e32 v0, v0
	v_min_u32_e32 v0, 32, v0
	v_lshrrev_b32_e32 v17, 3, v1
	v_subrev_u32_e32 v18, 28, v0
	v_sub_u32_e32 v0, 29, v0
	v_cmp_gt_u32_e32 vcc, 8, v1
	v_cndmask_b32_e32 v17, v17, v0, vcc
	v_cndmask_b32_e32 v0, 0, v18, vcc
	v_lshlrev_b64 v[0:1], v0, v[58:59]
	v_lshlrev_b32_e32 v0, 20, v0
	v_lshlrev_b32_e32 v1, 24, v58
	v_bfrev_b32_e32 v18, 60
	v_and_b32_e32 v0, 0x700000, v0
	v_and_b32_e32 v1, 0x80000000, v1
	v_lshl_add_u32 v17, v17, 23, v18
	v_or3_b32 v0, v1, v17, v0
.LBB4_2468:                             ;   in Loop: Header=BB4_1984 Depth=3
	s_or_b64 exec, exec, s[66:67]
.LBB4_2469:                             ;   in Loop: Header=BB4_1984 Depth=3
	s_or_b64 exec, exec, s[36:37]
.LBB4_2470:                             ;   in Loop: Header=BB4_1984 Depth=3
	s_or_b64 exec, exec, s[28:29]
	v_cmp_ne_u16_sdwa vcc, v9, v59 src0_sel:BYTE_0 src1_sel:DWORD
	s_and_saveexec_b64 s[28:29], vcc
	s_cbranch_execz .LBB4_2476
; %bb.2471:                             ;   in Loop: Header=BB4_1984 Depth=3
	v_cmp_ne_u16_sdwa vcc, v9, s91 src0_sel:BYTE_0 src1_sel:DWORD
	v_bfrev_b32_e32 v16, 1
	s_and_saveexec_b64 s[36:37], vcc
	s_cbranch_execz .LBB4_2475
; %bb.2472:                             ;   in Loop: Header=BB4_1984 Depth=3
	v_and_b32_e32 v1, 0x7f, v9
	v_cmp_ne_u32_e32 vcc, s92, v1
	v_mov_b32_e32 v16, 0x7f800001
	s_and_saveexec_b64 s[66:67], vcc
	s_cbranch_execz .LBB4_2474
; %bb.2473:                             ;   in Loop: Header=BB4_1984 Depth=3
	v_and_b32_e32 v18, 7, v9
	v_ffbh_u32_e32 v18, v18
	v_min_u32_e32 v18, 32, v18
	v_lshrrev_b32_e32 v20, 3, v1
	v_subrev_u32_e32 v22, 28, v18
	v_sub_u32_e32 v18, 29, v18
	v_cmp_gt_u32_e32 vcc, 8, v1
	v_mov_b32_e32 v16, v9
	v_mov_b32_e32 v17, v59
	v_cndmask_b32_e32 v1, v20, v18, vcc
	v_cndmask_b32_e32 v18, 0, v22, vcc
	v_lshlrev_b64 v[22:23], v18, v[16:17]
	v_lshlrev_b32_e32 v17, 20, v22
	v_lshlrev_b32_e32 v16, 24, v16
	v_bfrev_b32_e32 v18, 60
	v_and_b32_e32 v17, 0x700000, v17
	v_and_b32_e32 v16, 0x80000000, v16
	v_lshl_add_u32 v1, v1, 23, v18
	v_or3_b32 v16, v16, v1, v17
.LBB4_2474:                             ;   in Loop: Header=BB4_1984 Depth=3
	s_or_b64 exec, exec, s[66:67]
.LBB4_2475:                             ;   in Loop: Header=BB4_1984 Depth=3
	s_or_b64 exec, exec, s[36:37]
.LBB4_2476:                             ;   in Loop: Header=BB4_1984 Depth=3
	s_or_b64 exec, exec, s[28:29]
	v_add_f32_e32 v31, v0, v16
	v_and_b32_sdwa v18, v31, s91 dst_sel:DWORD dst_unused:UNUSED_PAD src0_sel:BYTE_3 src1_sel:DWORD
	v_and_b32_e32 v22, 0x7f800000, v31
	v_mov_b32_e32 v23, v59
	v_and_b32_e32 v16, 0x7fffff, v31
	v_mov_b32_e32 v17, v59
	v_or_b32_e32 v0, 0x7e, v18
	v_cmp_ne_u64_e32 vcc, s[54:55], v[22:23]
	s_and_saveexec_b64 s[28:29], vcc
	s_xor_b64 s[36:37], exec, s[28:29]
	s_cbranch_execz .LBB4_2486
; %bb.2477:                             ;   in Loop: Header=BB4_1984 Depth=3
	v_and_b32_e32 v22, 0x7fffffff, v31
	v_mov_b32_e32 v23, v59
	v_cmp_gt_u64_e32 vcc, s[56:57], v[22:23]
	s_and_saveexec_b64 s[66:67], vcc
	s_cbranch_execz .LBB4_2485
; %bb.2478:                             ;   in Loop: Header=BB4_1984 Depth=3
	v_cmp_ne_u32_e32 vcc, 0, v31
	v_mov_b32_e32 v0, 0
	s_and_saveexec_b64 s[68:69], vcc
	s_cbranch_execz .LBB4_2484
; %bb.2479:                             ;   in Loop: Header=BB4_1984 Depth=3
	v_bfe_u32 v0, v31, 23, 8
	v_sub_u32_e32 v20, 0x79, v0
	v_cmp_gt_u32_e32 vcc, s93, v0
	v_add_u32_e32 v1, 0xffffff81, v0
	v_cndmask_b32_e32 v20, 0, v20, vcc
	v_cmp_eq_u32_e32 vcc, 0, v0
	v_mov_b32_e32 v0, 0xffffff82
	v_cndmask_b32_e32 v31, v1, v0, vcc
	v_mov_b32_e32 v0, 0x78
	v_cndmask_b32_e32 v20, v20, v0, vcc
	v_add_u32_e32 v0, 20, v20
	v_or_b32_e32 v22, 0x800000, v16
	v_lshlrev_b64 v[0:1], v0, -1
	v_cndmask_b32_e32 v16, v22, v16, vcc
	v_not_b32_e32 v0, v0
	v_and_b32_e32 v0, v16, v0
	v_lshrrev_b64 v[16:17], v20, v[16:17]
	v_not_b32_e32 v1, v1
	v_add_u32_e32 v22, 19, v20
	v_lshrrev_b32_e32 v32, 23, v16
	v_and_b32_e32 v1, 0, v1
	v_lshlrev_b64 v[22:23], v22, 1
	v_add3_u32 v39, v20, v31, v32
	v_bfe_u32 v20, v16, 20, 1
	v_add_u32_e32 v20, -1, v20
	v_cmp_eq_u64_e32 vcc, v[0:1], v[22:23]
	v_cndmask_b32_e32 v0, 0, v20, vcc
	v_add_u32_e32 v0, v0, v16
	v_and_b32_e32 v0, 0xfffff, v0
	v_add_co_u32_e32 v16, vcc, v0, v16
	v_add_u32_e32 v31, 6, v39
	v_addc_co_u32_e32 v17, vcc, 0, v17, vcc
	v_cmp_ne_u32_e32 vcc, 0, v31
                                        ; implicit-def: $vgpr0
	s_and_saveexec_b64 s[28:29], vcc
	s_xor_b64 s[28:29], exec, s[28:29]
; %bb.2480:                             ;   in Loop: Header=BB4_1984 Depth=3
	v_cmp_lt_u64_e32 vcc, s[58:59], v[16:17]
	v_add_u32_e32 v0, 7, v39
	v_cndmask_b32_e64 v1, 0, 1, vcc
	v_cndmask_b32_e32 v0, v31, v0, vcc
	v_lshrrev_b64 v[16:17], v1, v[16:17]
; %bb.2481:                             ;   in Loop: Header=BB4_1984 Depth=3
	s_andn2_saveexec_b64 s[28:29], s[28:29]
; %bb.2482:                             ;   in Loop: Header=BB4_1984 Depth=3
	v_bfe_u32 v0, v16, 23, 1
; %bb.2483:                             ;   in Loop: Header=BB4_1984 Depth=3
	s_or_b64 exec, exec, s[28:29]
	v_lshrrev_b64 v[16:17], 20, v[16:17]
	v_cmp_gt_i32_e32 vcc, 16, v0
	v_cndmask_b32_e32 v17, 0, v17, vcc
	v_cndmask_b32_e32 v16, 7, v16, vcc
	v_cmp_eq_u32_e32 vcc, 0, v0
	v_min_i32_e32 v0, 15, v0
	v_cmp_eq_u64_e64 s[28:29], 0, v[16:17]
	v_lshlrev_b32_e32 v0, 3, v0
	v_and_or_b32 v0, v16, 7, v0
	s_and_b64 s[28:29], vcc, s[28:29]
	v_cndmask_b32_e64 v0, v0, 0, s[28:29]
	v_or_b32_e32 v0, v0, v18
.LBB4_2484:                             ;   in Loop: Header=BB4_1984 Depth=3
	s_or_b64 exec, exec, s[68:69]
.LBB4_2485:                             ;   in Loop: Header=BB4_1984 Depth=3
	s_or_b64 exec, exec, s[66:67]
                                        ; implicit-def: $vgpr31
                                        ; implicit-def: $vgpr16_vgpr17
.LBB4_2486:                             ;   in Loop: Header=BB4_1984 Depth=3
	s_andn2_saveexec_b64 s[28:29], s[36:37]
; %bb.2487:                             ;   in Loop: Header=BB4_1984 Depth=3
	v_or_b32_sdwa v1, v31, s92 dst_sel:DWORD dst_unused:UNUSED_PAD src0_sel:BYTE_3 src1_sel:DWORD
	v_cmp_eq_u64_e32 vcc, 0, v[16:17]
	v_cndmask_b32_e32 v0, v1, v0, vcc
; %bb.2488:                             ;   in Loop: Header=BB4_1984 Depth=3
	s_or_b64 exec, exec, s[28:29]
	v_lshrrev_b16_e32 v16, 8, v58
	v_cmp_ne_u16_e32 vcc, 0, v16
	v_mov_b32_e32 v17, 0
	v_mov_b32_e32 v31, 0
	s_and_saveexec_b64 s[28:29], vcc
	s_cbranch_execz .LBB4_2494
; %bb.2489:                             ;   in Loop: Header=BB4_1984 Depth=3
	v_cmp_ne_u16_e32 vcc, s91, v16
	v_bfrev_b32_e32 v31, 1
	s_and_saveexec_b64 s[36:37], vcc
	s_cbranch_execz .LBB4_2493
; %bb.2490:                             ;   in Loop: Header=BB4_1984 Depth=3
	v_and_b32_e32 v1, 0x7f, v16
	v_cmp_ne_u32_e32 vcc, s92, v1
	v_mov_b32_e32 v31, 0x7f800001
	s_and_saveexec_b64 s[66:67], vcc
	s_cbranch_execz .LBB4_2492
; %bb.2491:                             ;   in Loop: Header=BB4_1984 Depth=3
	v_and_b32_e32 v18, 7, v16
	v_ffbh_u32_e32 v22, v18
	v_min_u32_e32 v31, 32, v22
	v_subrev_u32_e32 v22, 28, v31
	v_lshlrev_b64 v[22:23], v22, v[16:17]
	v_lshrrev_b32_e32 v20, 3, v1
	v_sub_u32_e32 v16, 29, v31
	v_and_b32_e32 v22, 7, v22
	v_cmp_gt_u32_e32 vcc, 8, v1
	v_cndmask_b32_e32 v1, v20, v16, vcc
	v_cndmask_b32_e32 v16, v18, v22, vcc
	v_lshlrev_b32_e32 v18, 16, v58
	v_bfrev_b32_e32 v20, 60
	v_lshlrev_b32_e32 v16, 20, v16
	v_and_b32_e32 v18, 0x80000000, v18
	v_lshl_add_u32 v1, v1, 23, v20
	v_or3_b32 v31, v18, v1, v16
.LBB4_2492:                             ;   in Loop: Header=BB4_1984 Depth=3
	s_or_b64 exec, exec, s[66:67]
.LBB4_2493:                             ;   in Loop: Header=BB4_1984 Depth=3
	s_or_b64 exec, exec, s[36:37]
.LBB4_2494:                             ;   in Loop: Header=BB4_1984 Depth=3
	s_or_b64 exec, exec, s[28:29]
	v_mov_b32_e32 v16, v9
	v_lshrrev_b16_e32 v18, 8, v16
	v_cmp_ne_u16_e32 vcc, 0, v18
	s_and_saveexec_b64 s[28:29], vcc
	s_cbranch_execz .LBB4_2500
; %bb.2495:                             ;   in Loop: Header=BB4_1984 Depth=3
	v_cmp_ne_u16_e32 vcc, s91, v18
	v_bfrev_b32_e32 v17, 1
	s_and_saveexec_b64 s[36:37], vcc
	s_cbranch_execz .LBB4_2499
; %bb.2496:                             ;   in Loop: Header=BB4_1984 Depth=3
	v_and_b32_e32 v1, 0x7f, v18
	v_cmp_ne_u32_e32 vcc, s92, v1
	v_mov_b32_e32 v17, 0x7f800001
	s_and_saveexec_b64 s[66:67], vcc
	s_cbranch_execz .LBB4_2498
; %bb.2497:                             ;   in Loop: Header=BB4_1984 Depth=3
	v_and_b32_e32 v17, 7, v18
	v_ffbh_u32_e32 v22, v17
	v_min_u32_e32 v32, 32, v22
	v_subrev_u32_e32 v22, 28, v32
	v_lshlrev_b64 v[22:23], v22, v[18:19]
	v_lshrrev_b32_e32 v20, 3, v1
	v_sub_u32_e32 v18, 29, v32
	v_and_b32_e32 v22, 7, v22
	v_cmp_gt_u32_e32 vcc, 8, v1
	v_cndmask_b32_e32 v1, v20, v18, vcc
	v_cndmask_b32_e32 v17, v17, v22, vcc
	v_lshlrev_b32_e32 v16, 16, v16
	v_bfrev_b32_e32 v18, 60
	v_lshlrev_b32_e32 v17, 20, v17
	v_and_b32_e32 v16, 0x80000000, v16
	v_lshl_add_u32 v1, v1, 23, v18
	v_or3_b32 v17, v16, v1, v17
.LBB4_2498:                             ;   in Loop: Header=BB4_1984 Depth=3
	s_or_b64 exec, exec, s[66:67]
.LBB4_2499:                             ;   in Loop: Header=BB4_1984 Depth=3
	s_or_b64 exec, exec, s[36:37]
.LBB4_2500:                             ;   in Loop: Header=BB4_1984 Depth=3
	s_or_b64 exec, exec, s[28:29]
	v_add_f32_e32 v16, v31, v17
	v_and_b32_sdwa v31, v16, s91 dst_sel:DWORD dst_unused:UNUSED_PAD src0_sel:BYTE_3 src1_sel:DWORD
	v_and_b32_e32 v22, 0x7f800000, v16
	v_mov_b32_e32 v23, v59
	v_and_b32_e32 v58, 0x7fffff, v16
	v_or_b32_e32 v18, 0x7e, v31
	v_cmp_ne_u64_e32 vcc, s[54:55], v[22:23]
	s_and_saveexec_b64 s[28:29], vcc
	s_xor_b64 s[36:37], exec, s[28:29]
	s_cbranch_execz .LBB4_2510
; %bb.2501:                             ;   in Loop: Header=BB4_1984 Depth=3
	v_and_b32_e32 v22, 0x7fffffff, v16
	v_mov_b32_e32 v23, v59
	v_cmp_gt_u64_e32 vcc, s[56:57], v[22:23]
	s_and_saveexec_b64 s[66:67], vcc
	s_cbranch_execz .LBB4_2509
; %bb.2502:                             ;   in Loop: Header=BB4_1984 Depth=3
	v_cmp_ne_u32_e32 vcc, 0, v16
	v_mov_b32_e32 v18, 0
	s_and_saveexec_b64 s[68:69], vcc
	s_cbranch_execz .LBB4_2508
; %bb.2503:                             ;   in Loop: Header=BB4_1984 Depth=3
	v_bfe_u32 v1, v16, 23, 8
	v_sub_u32_e32 v17, 0x79, v1
	v_cmp_gt_u32_e32 vcc, s93, v1
	v_add_u32_e32 v16, 0xffffff81, v1
	v_cndmask_b32_e32 v17, 0, v17, vcc
	v_cmp_eq_u32_e32 vcc, 0, v1
	v_mov_b32_e32 v1, 0xffffff82
	v_cndmask_b32_e32 v1, v16, v1, vcc
	v_mov_b32_e32 v16, 0x78
	v_or_b32_e32 v18, 0x800000, v58
	v_cndmask_b32_e32 v20, v17, v16, vcc
	v_cndmask_b32_e32 v58, v18, v58, vcc
	v_add_u32_e32 v16, 20, v20
	v_lshlrev_b64 v[16:17], v16, -1
	v_add_u32_e32 v18, 19, v20
	v_lshrrev_b64 v[32:33], v20, v[58:59]
	v_not_b32_e32 v17, v17
	v_not_b32_e32 v16, v16
	v_lshlrev_b64 v[22:23], v18, 1
	v_lshrrev_b32_e32 v18, 23, v32
	v_and_b32_e32 v17, 0, v17
	v_and_b32_e32 v16, v58, v16
	v_add3_u32 v54, v20, v1, v18
	v_bfe_u32 v1, v32, 20, 1
	v_add_u32_e32 v1, -1, v1
	v_cmp_eq_u64_e32 vcc, v[16:17], v[22:23]
	v_cndmask_b32_e32 v1, 0, v1, vcc
	v_add_u32_e32 v1, v1, v32
	v_and_b32_e32 v1, 0xfffff, v1
	v_add_co_u32_e32 v16, vcc, v1, v32
	v_add_u32_e32 v39, 6, v54
	v_addc_co_u32_e32 v17, vcc, 0, v33, vcc
	v_cmp_ne_u32_e32 vcc, 0, v39
                                        ; implicit-def: $vgpr18
	s_and_saveexec_b64 s[28:29], vcc
	s_xor_b64 s[28:29], exec, s[28:29]
; %bb.2504:                             ;   in Loop: Header=BB4_1984 Depth=3
	v_add_u32_e32 v1, 7, v54
	v_cmp_lt_u64_e32 vcc, s[58:59], v[16:17]
	v_cndmask_b32_e32 v18, v39, v1, vcc
	v_cndmask_b32_e64 v1, 0, 1, vcc
	v_lshrrev_b64 v[16:17], v1, v[16:17]
; %bb.2505:                             ;   in Loop: Header=BB4_1984 Depth=3
	s_andn2_saveexec_b64 s[28:29], s[28:29]
; %bb.2506:                             ;   in Loop: Header=BB4_1984 Depth=3
	v_bfe_u32 v18, v16, 23, 1
; %bb.2507:                             ;   in Loop: Header=BB4_1984 Depth=3
	s_or_b64 exec, exec, s[28:29]
	v_lshrrev_b64 v[16:17], 20, v[16:17]
	v_cmp_gt_i32_e32 vcc, 16, v18
	v_cndmask_b32_e32 v17, 0, v17, vcc
	v_cndmask_b32_e32 v16, 7, v16, vcc
	v_min_i32_e32 v1, 15, v18
	v_cmp_eq_u32_e32 vcc, 0, v18
	v_cmp_eq_u64_e64 s[28:29], 0, v[16:17]
	v_lshlrev_b32_e32 v1, 3, v1
	v_and_or_b32 v1, v16, 7, v1
	s_and_b64 s[28:29], vcc, s[28:29]
	v_cndmask_b32_e64 v1, v1, 0, s[28:29]
	v_or_b32_e32 v18, v1, v31
.LBB4_2508:                             ;   in Loop: Header=BB4_1984 Depth=3
	s_or_b64 exec, exec, s[68:69]
.LBB4_2509:                             ;   in Loop: Header=BB4_1984 Depth=3
	s_or_b64 exec, exec, s[66:67]
                                        ; implicit-def: $vgpr16
.LBB4_2510:                             ;   in Loop: Header=BB4_1984 Depth=3
	s_andn2_saveexec_b64 s[28:29], s[36:37]
; %bb.2511:                             ;   in Loop: Header=BB4_1984 Depth=3
	v_or_b32_sdwa v1, v16, s92 dst_sel:DWORD dst_unused:UNUSED_PAD src0_sel:BYTE_3 src1_sel:DWORD
	v_cmp_eq_u64_e32 vcc, 0, v[58:59]
	v_cndmask_b32_e32 v18, v1, v18, vcc
; %bb.2512:                             ;   in Loop: Header=BB4_1984 Depth=3
	s_or_b64 exec, exec, s[28:29]
	v_lshrrev_b32_e32 v16, 16, v13
	v_cmp_ne_u16_sdwa vcc, v16, v59 src0_sel:BYTE_0 src1_sel:DWORD
	v_mov_b32_e32 v17, 0
	v_mov_b32_e32 v31, 0
	s_and_saveexec_b64 s[28:29], vcc
	s_cbranch_execz .LBB4_2518
; %bb.2513:                             ;   in Loop: Header=BB4_1984 Depth=3
	v_cmp_ne_u16_sdwa vcc, v16, s91 src0_sel:BYTE_0 src1_sel:DWORD
	v_bfrev_b32_e32 v31, 1
	s_and_saveexec_b64 s[36:37], vcc
	s_cbranch_execz .LBB4_2517
; %bb.2514:                             ;   in Loop: Header=BB4_1984 Depth=3
	v_bfe_u32 v1, v13, 16, 7
	v_cmp_ne_u32_e32 vcc, s92, v1
	v_mov_b32_e32 v31, 0x7f800001
	s_and_saveexec_b64 s[66:67], vcc
	s_cbranch_execz .LBB4_2516
; %bb.2515:                             ;   in Loop: Header=BB4_1984 Depth=3
	v_and_b32_e32 v20, 7, v16
	v_ffbh_u32_e32 v22, v20
	v_min_u32_e32 v32, 32, v22
	v_subrev_u32_e32 v22, 28, v32
	v_lshlrev_b64 v[22:23], v22, v[16:17]
	v_lshrrev_b32_e32 v31, 3, v1
	v_sub_u32_e32 v23, 29, v32
	v_and_b32_e32 v22, 7, v22
	v_cmp_gt_u32_e32 vcc, 8, v1
	v_cndmask_b32_e32 v1, v31, v23, vcc
	v_cndmask_b32_e32 v20, v20, v22, vcc
	v_lshlrev_b32_e32 v16, 24, v16
	v_bfrev_b32_e32 v22, 60
	v_lshlrev_b32_e32 v20, 20, v20
	v_and_b32_e32 v16, 0x80000000, v16
	v_lshl_add_u32 v1, v1, 23, v22
	v_or3_b32 v31, v16, v1, v20
.LBB4_2516:                             ;   in Loop: Header=BB4_1984 Depth=3
	s_or_b64 exec, exec, s[66:67]
.LBB4_2517:                             ;   in Loop: Header=BB4_1984 Depth=3
	s_or_b64 exec, exec, s[36:37]
.LBB4_2518:                             ;   in Loop: Header=BB4_1984 Depth=3
	s_or_b64 exec, exec, s[28:29]
	v_lshrrev_b32_e32 v16, 16, v9
	v_cmp_ne_u16_sdwa vcc, v16, v59 src0_sel:BYTE_0 src1_sel:DWORD
	s_and_saveexec_b64 s[28:29], vcc
	s_cbranch_execz .LBB4_2524
; %bb.2519:                             ;   in Loop: Header=BB4_1984 Depth=3
	v_cmp_ne_u16_sdwa vcc, v16, s91 src0_sel:BYTE_0 src1_sel:DWORD
	v_bfrev_b32_e32 v17, 1
	s_and_saveexec_b64 s[36:37], vcc
	s_cbranch_execz .LBB4_2523
; %bb.2520:                             ;   in Loop: Header=BB4_1984 Depth=3
	v_bfe_u32 v1, v9, 16, 7
	v_cmp_ne_u32_e32 vcc, s92, v1
	v_mov_b32_e32 v17, 0x7f800001
	s_and_saveexec_b64 s[66:67], vcc
	s_cbranch_execz .LBB4_2522
; %bb.2521:                             ;   in Loop: Header=BB4_1984 Depth=3
	v_and_b32_e32 v20, 7, v16
	v_ffbh_u32_e32 v17, v20
	v_min_u32_e32 v23, 32, v17
	v_subrev_u32_e32 v17, 28, v23
	v_lshlrev_b64 v[16:17], v17, v[16:17]
	v_lshrrev_b32_e32 v22, 3, v1
	v_sub_u32_e32 v17, 29, v23
	v_and_b32_e32 v16, 7, v16
	v_cmp_gt_u32_e32 vcc, 8, v1
	v_cndmask_b32_e32 v1, v22, v17, vcc
	v_cndmask_b32_e32 v16, v20, v16, vcc
	v_lshlrev_b32_e32 v17, 8, v9
	v_bfrev_b32_e32 v20, 60
	v_lshlrev_b32_e32 v16, 20, v16
	v_and_b32_e32 v17, 0x80000000, v17
	v_lshl_add_u32 v1, v1, 23, v20
	v_or3_b32 v17, v17, v1, v16
.LBB4_2522:                             ;   in Loop: Header=BB4_1984 Depth=3
	s_or_b64 exec, exec, s[66:67]
.LBB4_2523:                             ;   in Loop: Header=BB4_1984 Depth=3
	s_or_b64 exec, exec, s[36:37]
.LBB4_2524:                             ;   in Loop: Header=BB4_1984 Depth=3
	s_or_b64 exec, exec, s[28:29]
	v_add_f32_e32 v17, v31, v17
	v_and_b32_sdwa v31, v17, s91 dst_sel:DWORD dst_unused:UNUSED_PAD src0_sel:BYTE_3 src1_sel:DWORD
	v_and_b32_e32 v22, 0x7f800000, v17
	v_mov_b32_e32 v23, v59
	v_and_b32_e32 v58, 0x7fffff, v17
	v_or_b32_e32 v16, 0x7e, v31
	v_cmp_ne_u64_e32 vcc, s[54:55], v[22:23]
	s_and_saveexec_b64 s[28:29], vcc
	s_xor_b64 s[36:37], exec, s[28:29]
	s_cbranch_execz .LBB4_2534
; %bb.2525:                             ;   in Loop: Header=BB4_1984 Depth=3
	v_and_b32_e32 v22, 0x7fffffff, v17
	v_mov_b32_e32 v23, v59
	v_cmp_gt_u64_e32 vcc, s[56:57], v[22:23]
	s_and_saveexec_b64 s[66:67], vcc
	s_cbranch_execz .LBB4_2533
; %bb.2526:                             ;   in Loop: Header=BB4_1984 Depth=3
	v_cmp_ne_u32_e32 vcc, 0, v17
	v_mov_b32_e32 v16, 0
	s_and_saveexec_b64 s[68:69], vcc
	s_cbranch_execz .LBB4_2532
; %bb.2527:                             ;   in Loop: Header=BB4_1984 Depth=3
	v_bfe_u32 v1, v17, 23, 8
	v_sub_u32_e32 v17, 0x79, v1
	v_cmp_gt_u32_e32 vcc, s93, v1
	v_add_u32_e32 v16, 0xffffff81, v1
	v_cndmask_b32_e32 v17, 0, v17, vcc
	v_cmp_eq_u32_e32 vcc, 0, v1
	v_mov_b32_e32 v1, 0xffffff82
	v_cndmask_b32_e32 v1, v16, v1, vcc
	v_mov_b32_e32 v16, 0x78
	v_or_b32_e32 v20, 0x800000, v58
	v_cndmask_b32_e32 v34, v17, v16, vcc
	v_cndmask_b32_e32 v58, v20, v58, vcc
	v_add_u32_e32 v16, 20, v34
	v_lshlrev_b64 v[16:17], v16, -1
	v_add_u32_e32 v20, 19, v34
	v_lshrrev_b64 v[32:33], v34, v[58:59]
	v_not_b32_e32 v17, v17
	v_not_b32_e32 v16, v16
	v_lshlrev_b64 v[22:23], v20, 1
	v_lshrrev_b32_e32 v20, 23, v32
	v_mov_b32_e32 v35, v55
	v_and_b32_e32 v17, 0, v17
	v_and_b32_e32 v16, v58, v16
	v_add3_u32 v55, v34, v1, v20
	v_bfe_u32 v1, v32, 20, 1
	v_add_u32_e32 v1, -1, v1
	v_cmp_eq_u64_e32 vcc, v[16:17], v[22:23]
	v_cndmask_b32_e32 v1, 0, v1, vcc
	v_add_u32_e32 v1, v1, v32
	v_and_b32_e32 v1, 0xfffff, v1
	v_add_co_u32_e32 v16, vcc, v1, v32
	v_add_u32_e32 v54, 6, v55
	v_addc_co_u32_e32 v17, vcc, 0, v33, vcc
	v_cmp_ne_u32_e32 vcc, 0, v54
                                        ; implicit-def: $vgpr39
	s_and_saveexec_b64 s[28:29], vcc
	s_xor_b64 s[28:29], exec, s[28:29]
; %bb.2528:                             ;   in Loop: Header=BB4_1984 Depth=3
	v_add_u32_e32 v1, 7, v55
	v_cmp_lt_u64_e32 vcc, s[58:59], v[16:17]
	v_cndmask_b32_e32 v39, v54, v1, vcc
	v_cndmask_b32_e64 v1, 0, 1, vcc
	v_lshrrev_b64 v[16:17], v1, v[16:17]
; %bb.2529:                             ;   in Loop: Header=BB4_1984 Depth=3
	s_andn2_saveexec_b64 s[28:29], s[28:29]
; %bb.2530:                             ;   in Loop: Header=BB4_1984 Depth=3
	v_bfe_u32 v39, v16, 23, 1
; %bb.2531:                             ;   in Loop: Header=BB4_1984 Depth=3
	s_or_b64 exec, exec, s[28:29]
	v_lshrrev_b64 v[16:17], 20, v[16:17]
	v_cmp_gt_i32_e32 vcc, 16, v39
	v_min_i32_e32 v1, 15, v39
	v_cndmask_b32_e32 v17, 0, v17, vcc
	v_cndmask_b32_e32 v16, 7, v16, vcc
	v_lshlrev_b32_e32 v1, 3, v1
	v_cmp_eq_u32_e32 vcc, 0, v39
	v_cmp_eq_u64_e64 s[28:29], 0, v[16:17]
	v_and_b32_e32 v1, 0xf8, v1
	v_and_or_b32 v1, v16, 7, v1
	s_and_b64 s[28:29], vcc, s[28:29]
	v_cndmask_b32_e64 v1, v1, 0, s[28:29]
	v_or_b32_e32 v16, v1, v31
	v_mov_b32_e32 v55, v35
.LBB4_2532:                             ;   in Loop: Header=BB4_1984 Depth=3
	s_or_b64 exec, exec, s[68:69]
.LBB4_2533:                             ;   in Loop: Header=BB4_1984 Depth=3
	s_or_b64 exec, exec, s[66:67]
                                        ; implicit-def: $vgpr17
.LBB4_2534:                             ;   in Loop: Header=BB4_1984 Depth=3
	s_andn2_saveexec_b64 s[28:29], s[36:37]
; %bb.2535:                             ;   in Loop: Header=BB4_1984 Depth=3
	v_or_b32_sdwa v1, v17, s92 dst_sel:DWORD dst_unused:UNUSED_PAD src0_sel:BYTE_3 src1_sel:DWORD
	v_cmp_eq_u64_e32 vcc, 0, v[58:59]
	v_cndmask_b32_e32 v16, v1, v16, vcc
; %bb.2536:                             ;   in Loop: Header=BB4_1984 Depth=3
	s_or_b64 exec, exec, s[28:29]
	v_cmp_lt_u64_e32 vcc, s[44:45], v[12:13]
	v_mov_b32_e32 v17, 0
	v_mov_b32_e32 v31, 0
	s_and_saveexec_b64 s[28:29], vcc
	s_cbranch_execz .LBB4_2542
; %bb.2537:                             ;   in Loop: Header=BB4_1984 Depth=3
	v_lshrrev_b32_e32 v12, 24, v13
	v_cmp_ne_u32_e32 vcc, s91, v12
	v_bfrev_b32_e32 v31, 1
	s_and_saveexec_b64 s[36:37], vcc
	s_cbranch_execz .LBB4_2541
; %bb.2538:                             ;   in Loop: Header=BB4_1984 Depth=3
	v_bfe_u32 v1, v13, 24, 7
	v_cmp_ne_u32_e32 vcc, s92, v1
	v_mov_b32_e32 v31, 0x7f800001
	s_and_saveexec_b64 s[66:67], vcc
	s_cbranch_execz .LBB4_2540
; %bb.2539:                             ;   in Loop: Header=BB4_1984 Depth=3
	v_and_b32_e32 v13, 7, v12
	v_ffbh_u32_e32 v22, v13
	v_min_u32_e32 v31, 32, v22
	v_subrev_u32_e32 v22, 28, v31
	v_lshlrev_b64 v[22:23], v22, v[12:13]
	v_lshrrev_b32_e32 v20, 3, v1
	v_sub_u32_e32 v23, 29, v31
	v_and_b32_e32 v22, 7, v22
	v_cmp_gt_u32_e32 vcc, 8, v1
	v_cndmask_b32_e32 v1, v20, v23, vcc
	v_cndmask_b32_e32 v13, v13, v22, vcc
	v_lshlrev_b32_e32 v12, 24, v12
	v_bfrev_b32_e32 v20, 60
	v_lshlrev_b32_e32 v13, 20, v13
	v_and_b32_e32 v12, 0x80000000, v12
	v_lshl_add_u32 v1, v1, 23, v20
	v_or3_b32 v31, v12, v1, v13
.LBB4_2540:                             ;   in Loop: Header=BB4_1984 Depth=3
	s_or_b64 exec, exec, s[66:67]
.LBB4_2541:                             ;   in Loop: Header=BB4_1984 Depth=3
	s_or_b64 exec, exec, s[36:37]
.LBB4_2542:                             ;   in Loop: Header=BB4_1984 Depth=3
	s_or_b64 exec, exec, s[28:29]
	v_cmp_lt_u64_e32 vcc, s[44:45], v[8:9]
	s_and_saveexec_b64 s[28:29], vcc
	s_cbranch_execz .LBB4_2548
; %bb.2543:                             ;   in Loop: Header=BB4_1984 Depth=3
	v_lshrrev_b32_e32 v8, 24, v9
	v_cmp_ne_u32_e32 vcc, s91, v8
	v_bfrev_b32_e32 v17, 1
	s_and_saveexec_b64 s[36:37], vcc
	s_cbranch_execz .LBB4_2547
; %bb.2544:                             ;   in Loop: Header=BB4_1984 Depth=3
	v_bfe_u32 v1, v9, 24, 7
	v_cmp_ne_u32_e32 vcc, s92, v1
	v_mov_b32_e32 v17, 0x7f800001
	s_and_saveexec_b64 s[66:67], vcc
	s_cbranch_execz .LBB4_2546
; %bb.2545:                             ;   in Loop: Header=BB4_1984 Depth=3
	v_and_b32_e32 v9, 7, v8
	v_ffbh_u32_e32 v12, v9
	v_min_u32_e32 v20, 32, v12
	v_subrev_u32_e32 v12, 28, v20
	v_lshlrev_b64 v[12:13], v12, v[8:9]
	v_lshrrev_b32_e32 v17, 3, v1
	v_sub_u32_e32 v13, 29, v20
	v_and_b32_e32 v12, 7, v12
	v_cmp_gt_u32_e32 vcc, 8, v1
	v_cndmask_b32_e32 v1, v17, v13, vcc
	v_cndmask_b32_e32 v9, v9, v12, vcc
	v_lshlrev_b32_e32 v8, 24, v8
	v_bfrev_b32_e32 v12, 60
	v_lshlrev_b32_e32 v9, 20, v9
	v_and_b32_e32 v8, 0x80000000, v8
	v_lshl_add_u32 v1, v1, 23, v12
	v_or3_b32 v17, v8, v1, v9
.LBB4_2546:                             ;   in Loop: Header=BB4_1984 Depth=3
	s_or_b64 exec, exec, s[66:67]
.LBB4_2547:                             ;   in Loop: Header=BB4_1984 Depth=3
	s_or_b64 exec, exec, s[36:37]
.LBB4_2548:                             ;   in Loop: Header=BB4_1984 Depth=3
	s_or_b64 exec, exec, s[28:29]
	v_add_f32_e32 v8, v31, v17
	v_and_b32_sdwa v12, v8, s91 dst_sel:DWORD dst_unused:UNUSED_PAD src0_sel:BYTE_3 src1_sel:DWORD
	v_and_b32_e32 v22, 0x7f800000, v8
	v_mov_b32_e32 v23, v59
	v_and_b32_e32 v58, 0x7fffff, v8
	v_or_b32_e32 v13, 0x7e, v12
	v_cmp_ne_u64_e32 vcc, s[54:55], v[22:23]
	s_and_saveexec_b64 s[28:29], vcc
	s_xor_b64 s[36:37], exec, s[28:29]
	s_cbranch_execz .LBB4_2558
; %bb.2549:                             ;   in Loop: Header=BB4_1984 Depth=3
	v_and_b32_e32 v22, 0x7fffffff, v8
	v_mov_b32_e32 v23, v59
	v_cmp_gt_u64_e32 vcc, s[56:57], v[22:23]
	s_and_saveexec_b64 s[66:67], vcc
	s_cbranch_execz .LBB4_2557
; %bb.2550:                             ;   in Loop: Header=BB4_1984 Depth=3
	v_cmp_ne_u32_e32 vcc, 0, v8
	v_mov_b32_e32 v13, 0
	s_and_saveexec_b64 s[68:69], vcc
	s_cbranch_execz .LBB4_2556
; %bb.2551:                             ;   in Loop: Header=BB4_1984 Depth=3
	v_bfe_u32 v1, v8, 23, 8
	v_sub_u32_e32 v9, 0x79, v1
	v_cmp_gt_u32_e32 vcc, s93, v1
	v_add_u32_e32 v8, 0xffffff81, v1
	v_cndmask_b32_e32 v9, 0, v9, vcc
	v_cmp_eq_u32_e32 vcc, 0, v1
	v_mov_b32_e32 v1, 0xffffff82
	v_cndmask_b32_e32 v1, v8, v1, vcc
	v_mov_b32_e32 v8, 0x78
	v_or_b32_e32 v13, 0x800000, v58
	v_cndmask_b32_e32 v17, v9, v8, vcc
	v_cndmask_b32_e32 v58, v13, v58, vcc
	v_add_u32_e32 v8, 20, v17
	v_lshlrev_b64 v[8:9], v8, -1
	v_add_u32_e32 v13, 19, v17
	v_lshrrev_b64 v[32:33], v17, v[58:59]
	v_not_b32_e32 v9, v9
	v_not_b32_e32 v8, v8
	v_lshlrev_b64 v[22:23], v13, 1
	v_lshrrev_b32_e32 v13, 23, v32
	v_and_b32_e32 v9, 0, v9
	v_and_b32_e32 v8, v58, v8
	v_add3_u32 v31, v17, v1, v13
	v_bfe_u32 v1, v32, 20, 1
	v_add_u32_e32 v1, -1, v1
	v_cmp_eq_u64_e32 vcc, v[8:9], v[22:23]
	v_cndmask_b32_e32 v1, 0, v1, vcc
	v_add_u32_e32 v1, v1, v32
	v_and_b32_e32 v1, 0xfffff, v1
	v_add_co_u32_e32 v8, vcc, v1, v32
	v_add_u32_e32 v17, 6, v31
	v_addc_co_u32_e32 v9, vcc, 0, v33, vcc
	v_cmp_ne_u32_e32 vcc, 0, v17
                                        ; implicit-def: $vgpr13
	s_and_saveexec_b64 s[28:29], vcc
	s_xor_b64 s[28:29], exec, s[28:29]
; %bb.2552:                             ;   in Loop: Header=BB4_1984 Depth=3
	v_add_u32_e32 v1, 7, v31
	v_cmp_lt_u64_e32 vcc, s[58:59], v[8:9]
	v_cndmask_b32_e32 v13, v17, v1, vcc
	v_cndmask_b32_e64 v1, 0, 1, vcc
	v_lshrrev_b64 v[8:9], v1, v[8:9]
; %bb.2553:                             ;   in Loop: Header=BB4_1984 Depth=3
	s_andn2_saveexec_b64 s[28:29], s[28:29]
; %bb.2554:                             ;   in Loop: Header=BB4_1984 Depth=3
	v_bfe_u32 v13, v8, 23, 1
; %bb.2555:                             ;   in Loop: Header=BB4_1984 Depth=3
	s_or_b64 exec, exec, s[28:29]
	v_lshrrev_b64 v[8:9], 20, v[8:9]
	v_cmp_gt_i32_e32 vcc, 16, v13
	v_min_i32_e32 v1, 15, v13
	v_cndmask_b32_e32 v9, 0, v9, vcc
	v_cndmask_b32_e32 v8, 7, v8, vcc
	v_lshlrev_b32_e32 v1, 3, v1
	v_cmp_eq_u32_e32 vcc, 0, v13
	v_cmp_eq_u64_e64 s[28:29], 0, v[8:9]
	v_and_b32_e32 v1, 0xf8, v1
	v_and_or_b32 v1, v8, 7, v1
	s_and_b64 s[28:29], vcc, s[28:29]
	v_cndmask_b32_e64 v1, v1, 0, s[28:29]
	v_or_b32_e32 v13, v1, v12
.LBB4_2556:                             ;   in Loop: Header=BB4_1984 Depth=3
	s_or_b64 exec, exec, s[68:69]
.LBB4_2557:                             ;   in Loop: Header=BB4_1984 Depth=3
	s_or_b64 exec, exec, s[66:67]
                                        ; implicit-def: $vgpr8
.LBB4_2558:                             ;   in Loop: Header=BB4_1984 Depth=3
	s_andn2_saveexec_b64 s[28:29], s[36:37]
; %bb.2559:                             ;   in Loop: Header=BB4_1984 Depth=3
	v_or_b32_sdwa v1, v8, s92 dst_sel:DWORD dst_unused:UNUSED_PAD src0_sel:BYTE_3 src1_sel:DWORD
	v_cmp_eq_u64_e32 vcc, 0, v[58:59]
	v_cndmask_b32_e32 v13, v1, v13, vcc
; %bb.2560:                             ;   in Loop: Header=BB4_1984 Depth=3
	s_or_b64 exec, exec, s[28:29]
	v_cmp_ne_u16_sdwa vcc, v14, v59 src0_sel:BYTE_0 src1_sel:DWORD
	v_mov_b32_e32 v8, 0
	v_mov_b32_e32 v9, 0
	s_and_saveexec_b64 s[28:29], vcc
	s_cbranch_execz .LBB4_2566
; %bb.2561:                             ;   in Loop: Header=BB4_1984 Depth=3
	v_cmp_ne_u16_sdwa vcc, v14, s91 src0_sel:BYTE_0 src1_sel:DWORD
	v_bfrev_b32_e32 v9, 1
	s_and_saveexec_b64 s[36:37], vcc
	s_cbranch_execz .LBB4_2565
; %bb.2562:                             ;   in Loop: Header=BB4_1984 Depth=3
	v_and_b32_e32 v1, 0x7f, v14
	v_cmp_ne_u32_e32 vcc, s92, v1
	v_mov_b32_e32 v9, 0x7f800001
	s_and_saveexec_b64 s[66:67], vcc
	s_cbranch_execz .LBB4_2564
; %bb.2563:                             ;   in Loop: Header=BB4_1984 Depth=3
	v_and_b32_e32 v9, 7, v14
	v_ffbh_u32_e32 v9, v9
	v_min_u32_e32 v9, 32, v9
	v_lshrrev_b32_e32 v12, 3, v1
	v_subrev_u32_e32 v17, 28, v9
	v_sub_u32_e32 v9, 29, v9
	v_cmp_gt_u32_e32 vcc, 8, v1
	v_cndmask_b32_e32 v1, v12, v9, vcc
	v_cndmask_b32_e32 v9, 0, v17, vcc
	v_lshlrev_b64 v[22:23], v9, v[14:15]
	v_lshlrev_b32_e32 v9, 20, v22
	v_lshlrev_b32_e32 v12, 24, v14
	v_bfrev_b32_e32 v17, 60
	v_and_b32_e32 v9, 0x700000, v9
	v_and_b32_e32 v12, 0x80000000, v12
	v_lshl_add_u32 v1, v1, 23, v17
	v_or3_b32 v9, v12, v1, v9
.LBB4_2564:                             ;   in Loop: Header=BB4_1984 Depth=3
	s_or_b64 exec, exec, s[66:67]
.LBB4_2565:                             ;   in Loop: Header=BB4_1984 Depth=3
	s_or_b64 exec, exec, s[36:37]
.LBB4_2566:                             ;   in Loop: Header=BB4_1984 Depth=3
	s_or_b64 exec, exec, s[28:29]
	v_cmp_ne_u16_sdwa vcc, v10, v59 src0_sel:BYTE_0 src1_sel:DWORD
	s_and_saveexec_b64 s[28:29], vcc
	s_cbranch_execz .LBB4_2572
; %bb.2567:                             ;   in Loop: Header=BB4_1984 Depth=3
	v_cmp_ne_u16_sdwa vcc, v10, s91 src0_sel:BYTE_0 src1_sel:DWORD
	v_bfrev_b32_e32 v8, 1
	s_and_saveexec_b64 s[36:37], vcc
	s_cbranch_execz .LBB4_2571
; %bb.2568:                             ;   in Loop: Header=BB4_1984 Depth=3
	v_and_b32_e32 v1, 0x7f, v10
	v_cmp_ne_u32_e32 vcc, s92, v1
	v_mov_b32_e32 v8, 0x7f800001
	s_and_saveexec_b64 s[66:67], vcc
	s_cbranch_execz .LBB4_2570
; %bb.2569:                             ;   in Loop: Header=BB4_1984 Depth=3
	v_and_b32_e32 v8, 7, v10
	v_ffbh_u32_e32 v8, v8
	v_min_u32_e32 v8, 32, v8
	v_lshrrev_b32_e32 v12, 3, v1
	v_subrev_u32_e32 v17, 28, v8
	v_sub_u32_e32 v8, 29, v8
	v_cmp_gt_u32_e32 vcc, 8, v1
	v_cndmask_b32_e32 v1, v12, v8, vcc
	v_cndmask_b32_e32 v8, 0, v17, vcc
	v_lshlrev_b64 v[22:23], v8, v[10:11]
	v_lshlrev_b32_e32 v8, 20, v22
	v_lshlrev_b32_e32 v12, 24, v10
	v_bfrev_b32_e32 v17, 60
	v_and_b32_e32 v8, 0x700000, v8
	v_and_b32_e32 v12, 0x80000000, v12
	v_lshl_add_u32 v1, v1, 23, v17
	v_or3_b32 v8, v12, v1, v8
.LBB4_2570:                             ;   in Loop: Header=BB4_1984 Depth=3
	s_or_b64 exec, exec, s[66:67]
.LBB4_2571:                             ;   in Loop: Header=BB4_1984 Depth=3
	s_or_b64 exec, exec, s[36:37]
.LBB4_2572:                             ;   in Loop: Header=BB4_1984 Depth=3
	s_or_b64 exec, exec, s[28:29]
	v_add_f32_e32 v8, v9, v8
	v_and_b32_sdwa v12, v8, s91 dst_sel:DWORD dst_unused:UNUSED_PAD src0_sel:BYTE_3 src1_sel:DWORD
	v_and_b32_e32 v22, 0x7f800000, v8
	v_mov_b32_e32 v23, v59
	v_and_b32_e32 v58, 0x7fffff, v8
	v_or_b32_e32 v17, 0x7e, v12
	v_cmp_ne_u64_e32 vcc, s[54:55], v[22:23]
	s_and_saveexec_b64 s[28:29], vcc
	s_xor_b64 s[36:37], exec, s[28:29]
	s_cbranch_execz .LBB4_2582
; %bb.2573:                             ;   in Loop: Header=BB4_1984 Depth=3
	v_and_b32_e32 v22, 0x7fffffff, v8
	v_mov_b32_e32 v23, v59
	v_cmp_gt_u64_e32 vcc, s[56:57], v[22:23]
	s_and_saveexec_b64 s[66:67], vcc
	s_cbranch_execz .LBB4_2581
; %bb.2574:                             ;   in Loop: Header=BB4_1984 Depth=3
	v_cmp_ne_u32_e32 vcc, 0, v8
	v_mov_b32_e32 v17, 0
	s_and_saveexec_b64 s[68:69], vcc
	s_cbranch_execz .LBB4_2580
; %bb.2575:                             ;   in Loop: Header=BB4_1984 Depth=3
	v_bfe_u32 v1, v8, 23, 8
	v_sub_u32_e32 v9, 0x79, v1
	v_cmp_gt_u32_e32 vcc, s93, v1
	v_add_u32_e32 v8, 0xffffff81, v1
	v_cndmask_b32_e32 v9, 0, v9, vcc
	v_cmp_eq_u32_e32 vcc, 0, v1
	v_mov_b32_e32 v1, 0xffffff82
	v_cndmask_b32_e32 v1, v8, v1, vcc
	v_mov_b32_e32 v8, 0x78
	v_or_b32_e32 v17, 0x800000, v58
	v_cndmask_b32_e32 v20, v9, v8, vcc
	v_cndmask_b32_e32 v58, v17, v58, vcc
	v_add_u32_e32 v8, 20, v20
	v_lshlrev_b64 v[8:9], v8, -1
	v_add_u32_e32 v17, 19, v20
	v_lshrrev_b64 v[32:33], v20, v[58:59]
	v_not_b32_e32 v9, v9
	v_not_b32_e32 v8, v8
	v_lshlrev_b64 v[22:23], v17, 1
	v_lshrrev_b32_e32 v17, 23, v32
	v_and_b32_e32 v9, 0, v9
	v_and_b32_e32 v8, v58, v8
	v_add3_u32 v39, v20, v1, v17
	v_bfe_u32 v1, v32, 20, 1
	v_add_u32_e32 v1, -1, v1
	v_cmp_eq_u64_e32 vcc, v[8:9], v[22:23]
	v_cndmask_b32_e32 v1, 0, v1, vcc
	v_add_u32_e32 v1, v1, v32
	v_and_b32_e32 v1, 0xfffff, v1
	v_add_co_u32_e32 v8, vcc, v1, v32
	v_add_u32_e32 v31, 6, v39
	v_addc_co_u32_e32 v9, vcc, 0, v33, vcc
	v_cmp_ne_u32_e32 vcc, 0, v31
                                        ; implicit-def: $vgpr17
	s_and_saveexec_b64 s[28:29], vcc
	s_xor_b64 s[28:29], exec, s[28:29]
; %bb.2576:                             ;   in Loop: Header=BB4_1984 Depth=3
	v_add_u32_e32 v1, 7, v39
	v_cmp_lt_u64_e32 vcc, s[58:59], v[8:9]
	v_cndmask_b32_e32 v17, v31, v1, vcc
	v_cndmask_b32_e64 v1, 0, 1, vcc
	v_lshrrev_b64 v[8:9], v1, v[8:9]
; %bb.2577:                             ;   in Loop: Header=BB4_1984 Depth=3
	s_andn2_saveexec_b64 s[28:29], s[28:29]
; %bb.2578:                             ;   in Loop: Header=BB4_1984 Depth=3
	v_bfe_u32 v17, v8, 23, 1
; %bb.2579:                             ;   in Loop: Header=BB4_1984 Depth=3
	s_or_b64 exec, exec, s[28:29]
	v_lshrrev_b64 v[8:9], 20, v[8:9]
	v_cmp_gt_i32_e32 vcc, 16, v17
	v_cndmask_b32_e32 v9, 0, v9, vcc
	v_cndmask_b32_e32 v8, 7, v8, vcc
	v_min_i32_e32 v1, 15, v17
	v_cmp_eq_u32_e32 vcc, 0, v17
	v_cmp_eq_u64_e64 s[28:29], 0, v[8:9]
	v_lshlrev_b32_e32 v1, 3, v1
	v_and_or_b32 v1, v8, 7, v1
	s_and_b64 s[28:29], vcc, s[28:29]
	v_cndmask_b32_e64 v1, v1, 0, s[28:29]
	v_or_b32_e32 v17, v1, v12
.LBB4_2580:                             ;   in Loop: Header=BB4_1984 Depth=3
	s_or_b64 exec, exec, s[68:69]
.LBB4_2581:                             ;   in Loop: Header=BB4_1984 Depth=3
	s_or_b64 exec, exec, s[66:67]
                                        ; implicit-def: $vgpr8
.LBB4_2582:                             ;   in Loop: Header=BB4_1984 Depth=3
	s_andn2_saveexec_b64 s[28:29], s[36:37]
; %bb.2583:                             ;   in Loop: Header=BB4_1984 Depth=3
	v_or_b32_sdwa v1, v8, s92 dst_sel:DWORD dst_unused:UNUSED_PAD src0_sel:BYTE_3 src1_sel:DWORD
	v_cmp_eq_u64_e32 vcc, 0, v[58:59]
	v_cndmask_b32_e32 v17, v1, v17, vcc
; %bb.2584:                             ;   in Loop: Header=BB4_1984 Depth=3
	s_or_b64 exec, exec, s[28:29]
	v_lshrrev_b16_e32 v8, 8, v14
	v_cmp_ne_u16_e32 vcc, 0, v8
	v_mov_b32_e32 v9, 0
	v_mov_b32_e32 v12, 0
	s_and_saveexec_b64 s[28:29], vcc
	s_cbranch_execz .LBB4_2590
; %bb.2585:                             ;   in Loop: Header=BB4_1984 Depth=3
	v_cmp_ne_u16_e32 vcc, s91, v8
	v_bfrev_b32_e32 v12, 1
	s_and_saveexec_b64 s[36:37], vcc
	s_cbranch_execz .LBB4_2589
; %bb.2586:                             ;   in Loop: Header=BB4_1984 Depth=3
	v_and_b32_e32 v1, 0x7f, v8
	v_cmp_ne_u32_e32 vcc, s92, v1
	v_mov_b32_e32 v12, 0x7f800001
	s_and_saveexec_b64 s[66:67], vcc
	s_cbranch_execz .LBB4_2588
; %bb.2587:                             ;   in Loop: Header=BB4_1984 Depth=3
	v_and_b32_e32 v12, 7, v8
	v_ffbh_u32_e32 v22, v12
	v_min_u32_e32 v31, 32, v22
	v_subrev_u32_e32 v22, 28, v31
	v_lshlrev_b64 v[22:23], v22, v[8:9]
	v_lshrrev_b32_e32 v20, 3, v1
	v_sub_u32_e32 v8, 29, v31
	v_and_b32_e32 v22, 7, v22
	v_cmp_gt_u32_e32 vcc, 8, v1
	v_cndmask_b32_e32 v1, v20, v8, vcc
	v_cndmask_b32_e32 v8, v12, v22, vcc
	v_lshlrev_b32_e32 v12, 16, v14
	v_bfrev_b32_e32 v20, 60
	v_lshlrev_b32_e32 v8, 20, v8
	v_and_b32_e32 v12, 0x80000000, v12
	v_lshl_add_u32 v1, v1, 23, v20
	v_or3_b32 v12, v12, v1, v8
.LBB4_2588:                             ;   in Loop: Header=BB4_1984 Depth=3
	s_or_b64 exec, exec, s[66:67]
.LBB4_2589:                             ;   in Loop: Header=BB4_1984 Depth=3
	s_or_b64 exec, exec, s[36:37]
.LBB4_2590:                             ;   in Loop: Header=BB4_1984 Depth=3
	s_or_b64 exec, exec, s[28:29]
	v_lshrrev_b16_e32 v8, 8, v10
	v_cmp_ne_u16_e32 vcc, 0, v8
	s_and_saveexec_b64 s[28:29], vcc
	s_cbranch_execz .LBB4_2596
; %bb.2591:                             ;   in Loop: Header=BB4_1984 Depth=3
	v_cmp_ne_u16_e32 vcc, s91, v8
	v_bfrev_b32_e32 v9, 1
	s_and_saveexec_b64 s[36:37], vcc
	s_cbranch_execz .LBB4_2595
; %bb.2592:                             ;   in Loop: Header=BB4_1984 Depth=3
	v_and_b32_e32 v1, 0x7f, v8
	v_cmp_ne_u32_e32 vcc, s92, v1
	v_mov_b32_e32 v9, 0x7f800001
	s_and_saveexec_b64 s[66:67], vcc
	s_cbranch_execz .LBB4_2594
; %bb.2593:                             ;   in Loop: Header=BB4_1984 Depth=3
	v_and_b32_e32 v20, 7, v8
	v_ffbh_u32_e32 v9, v20
	v_min_u32_e32 v23, 32, v9
	v_subrev_u32_e32 v9, 28, v23
	v_lshlrev_b64 v[8:9], v9, v[8:9]
	v_lshrrev_b32_e32 v22, 3, v1
	v_sub_u32_e32 v9, 29, v23
	v_and_b32_e32 v8, 7, v8
	v_cmp_gt_u32_e32 vcc, 8, v1
	v_cndmask_b32_e32 v1, v22, v9, vcc
	v_cndmask_b32_e32 v8, v20, v8, vcc
	v_lshlrev_b32_e32 v9, 16, v10
	v_bfrev_b32_e32 v20, 60
	v_lshlrev_b32_e32 v8, 20, v8
	v_and_b32_e32 v9, 0x80000000, v9
	v_lshl_add_u32 v1, v1, 23, v20
	v_or3_b32 v9, v9, v1, v8
.LBB4_2594:                             ;   in Loop: Header=BB4_1984 Depth=3
	s_or_b64 exec, exec, s[66:67]
.LBB4_2595:                             ;   in Loop: Header=BB4_1984 Depth=3
	s_or_b64 exec, exec, s[36:37]
.LBB4_2596:                             ;   in Loop: Header=BB4_1984 Depth=3
	s_or_b64 exec, exec, s[28:29]
	v_add_f32_e32 v8, v12, v9
	v_and_b32_sdwa v12, v8, s91 dst_sel:DWORD dst_unused:UNUSED_PAD src0_sel:BYTE_3 src1_sel:DWORD
	v_and_b32_e32 v22, 0x7f800000, v8
	v_mov_b32_e32 v23, v59
	v_and_b32_e32 v58, 0x7fffff, v8
	v_or_b32_e32 v42, 0x7e, v12
	v_cmp_ne_u64_e32 vcc, s[54:55], v[22:23]
	s_and_saveexec_b64 s[28:29], vcc
	s_xor_b64 s[36:37], exec, s[28:29]
	s_cbranch_execz .LBB4_2606
; %bb.2597:                             ;   in Loop: Header=BB4_1984 Depth=3
	v_and_b32_e32 v22, 0x7fffffff, v8
	v_mov_b32_e32 v23, v59
	v_cmp_gt_u64_e32 vcc, s[56:57], v[22:23]
	s_and_saveexec_b64 s[66:67], vcc
	s_cbranch_execz .LBB4_2605
; %bb.2598:                             ;   in Loop: Header=BB4_1984 Depth=3
	v_cmp_ne_u32_e32 vcc, 0, v8
	v_mov_b32_e32 v42, 0
	s_and_saveexec_b64 s[68:69], vcc
	s_cbranch_execz .LBB4_2604
; %bb.2599:                             ;   in Loop: Header=BB4_1984 Depth=3
	v_bfe_u32 v1, v8, 23, 8
	v_sub_u32_e32 v9, 0x79, v1
	v_cmp_gt_u32_e32 vcc, s93, v1
	v_add_u32_e32 v8, 0xffffff81, v1
	v_cndmask_b32_e32 v9, 0, v9, vcc
	v_cmp_eq_u32_e32 vcc, 0, v1
	v_mov_b32_e32 v1, 0xffffff82
	v_cndmask_b32_e32 v1, v8, v1, vcc
	v_mov_b32_e32 v8, 0x78
	v_or_b32_e32 v20, 0x800000, v58
	v_cndmask_b32_e32 v31, v9, v8, vcc
	v_cndmask_b32_e32 v58, v20, v58, vcc
	v_add_u32_e32 v8, 20, v31
	v_lshlrev_b64 v[8:9], v8, -1
	v_add_u32_e32 v20, 19, v31
	v_lshrrev_b64 v[32:33], v31, v[58:59]
	v_not_b32_e32 v9, v9
	v_not_b32_e32 v8, v8
	v_lshlrev_b64 v[22:23], v20, 1
	v_lshrrev_b32_e32 v20, 23, v32
	v_and_b32_e32 v9, 0, v9
	v_and_b32_e32 v8, v58, v8
	v_add3_u32 v54, v31, v1, v20
	v_bfe_u32 v1, v32, 20, 1
	v_add_u32_e32 v1, -1, v1
	v_cmp_eq_u64_e32 vcc, v[8:9], v[22:23]
	v_cndmask_b32_e32 v1, 0, v1, vcc
	v_add_u32_e32 v1, v1, v32
	v_and_b32_e32 v1, 0xfffff, v1
	v_add_co_u32_e32 v8, vcc, v1, v32
	v_add_u32_e32 v39, 6, v54
	v_addc_co_u32_e32 v9, vcc, 0, v33, vcc
	v_cmp_ne_u32_e32 vcc, 0, v39
                                        ; implicit-def: $vgpr31
	s_and_saveexec_b64 s[28:29], vcc
	s_xor_b64 s[28:29], exec, s[28:29]
; %bb.2600:                             ;   in Loop: Header=BB4_1984 Depth=3
	v_add_u32_e32 v1, 7, v54
	v_cmp_lt_u64_e32 vcc, s[58:59], v[8:9]
	v_cndmask_b32_e32 v31, v39, v1, vcc
	v_cndmask_b32_e64 v1, 0, 1, vcc
	v_lshrrev_b64 v[8:9], v1, v[8:9]
; %bb.2601:                             ;   in Loop: Header=BB4_1984 Depth=3
	s_andn2_saveexec_b64 s[28:29], s[28:29]
; %bb.2602:                             ;   in Loop: Header=BB4_1984 Depth=3
	v_bfe_u32 v31, v8, 23, 1
; %bb.2603:                             ;   in Loop: Header=BB4_1984 Depth=3
	s_or_b64 exec, exec, s[28:29]
	v_lshrrev_b64 v[8:9], 20, v[8:9]
	v_cmp_gt_i32_e32 vcc, 16, v31
	v_cndmask_b32_e32 v9, 0, v9, vcc
	v_cndmask_b32_e32 v8, 7, v8, vcc
	v_min_i32_e32 v1, 15, v31
	v_cmp_eq_u32_e32 vcc, 0, v31
	v_cmp_eq_u64_e64 s[28:29], 0, v[8:9]
	v_lshlrev_b32_e32 v1, 3, v1
	v_and_or_b32 v1, v8, 7, v1
	s_and_b64 s[28:29], vcc, s[28:29]
	v_cndmask_b32_e64 v1, v1, 0, s[28:29]
	v_or_b32_e32 v42, v1, v12
.LBB4_2604:                             ;   in Loop: Header=BB4_1984 Depth=3
	s_or_b64 exec, exec, s[68:69]
.LBB4_2605:                             ;   in Loop: Header=BB4_1984 Depth=3
	s_or_b64 exec, exec, s[66:67]
                                        ; implicit-def: $vgpr8
.LBB4_2606:                             ;   in Loop: Header=BB4_1984 Depth=3
	s_andn2_saveexec_b64 s[28:29], s[36:37]
; %bb.2607:                             ;   in Loop: Header=BB4_1984 Depth=3
	v_or_b32_sdwa v1, v8, s92 dst_sel:DWORD dst_unused:UNUSED_PAD src0_sel:BYTE_3 src1_sel:DWORD
	v_cmp_eq_u64_e32 vcc, 0, v[58:59]
	v_cndmask_b32_e32 v42, v1, v42, vcc
; %bb.2608:                             ;   in Loop: Header=BB4_1984 Depth=3
	s_or_b64 exec, exec, s[28:29]
	v_lshrrev_b32_e32 v8, 16, v14
	v_cmp_ne_u16_sdwa vcc, v8, v59 src0_sel:BYTE_0 src1_sel:DWORD
	v_mov_b32_e32 v9, 0
	v_mov_b32_e32 v12, 0
	s_and_saveexec_b64 s[28:29], vcc
	s_cbranch_execz .LBB4_2614
; %bb.2609:                             ;   in Loop: Header=BB4_1984 Depth=3
	v_cmp_ne_u16_sdwa vcc, v8, s91 src0_sel:BYTE_0 src1_sel:DWORD
	v_bfrev_b32_e32 v12, 1
	s_and_saveexec_b64 s[36:37], vcc
	s_cbranch_execz .LBB4_2613
; %bb.2610:                             ;   in Loop: Header=BB4_1984 Depth=3
	v_bfe_u32 v1, v14, 16, 7
	v_cmp_ne_u32_e32 vcc, s92, v1
	v_mov_b32_e32 v12, 0x7f800001
	s_and_saveexec_b64 s[66:67], vcc
	s_cbranch_execz .LBB4_2612
; %bb.2611:                             ;   in Loop: Header=BB4_1984 Depth=3
	v_and_b32_e32 v12, 7, v8
	v_ffbh_u32_e32 v22, v12
	v_min_u32_e32 v31, 32, v22
	v_subrev_u32_e32 v22, 28, v31
	v_lshlrev_b64 v[22:23], v22, v[8:9]
	v_lshrrev_b32_e32 v20, 3, v1
	v_sub_u32_e32 v23, 29, v31
	v_and_b32_e32 v22, 7, v22
	v_cmp_gt_u32_e32 vcc, 8, v1
	v_cndmask_b32_e32 v1, v20, v23, vcc
	v_cndmask_b32_e32 v12, v12, v22, vcc
	v_lshlrev_b32_e32 v8, 24, v8
	v_bfrev_b32_e32 v20, 60
	v_lshlrev_b32_e32 v12, 20, v12
	v_and_b32_e32 v8, 0x80000000, v8
	v_lshl_add_u32 v1, v1, 23, v20
	v_or3_b32 v12, v8, v1, v12
.LBB4_2612:                             ;   in Loop: Header=BB4_1984 Depth=3
	s_or_b64 exec, exec, s[66:67]
.LBB4_2613:                             ;   in Loop: Header=BB4_1984 Depth=3
	s_or_b64 exec, exec, s[36:37]
.LBB4_2614:                             ;   in Loop: Header=BB4_1984 Depth=3
	s_or_b64 exec, exec, s[28:29]
	v_lshrrev_b32_e32 v8, 16, v10
	v_cmp_ne_u16_sdwa vcc, v8, v59 src0_sel:BYTE_0 src1_sel:DWORD
	s_and_saveexec_b64 s[28:29], vcc
	s_cbranch_execz .LBB4_2620
; %bb.2615:                             ;   in Loop: Header=BB4_1984 Depth=3
	v_cmp_ne_u16_sdwa vcc, v8, s91 src0_sel:BYTE_0 src1_sel:DWORD
	v_bfrev_b32_e32 v9, 1
	s_and_saveexec_b64 s[36:37], vcc
	s_cbranch_execz .LBB4_2619
; %bb.2616:                             ;   in Loop: Header=BB4_1984 Depth=3
	v_bfe_u32 v1, v10, 16, 7
	v_cmp_ne_u32_e32 vcc, s92, v1
	v_mov_b32_e32 v9, 0x7f800001
	s_and_saveexec_b64 s[66:67], vcc
	s_cbranch_execz .LBB4_2618
; %bb.2617:                             ;   in Loop: Header=BB4_1984 Depth=3
	v_and_b32_e32 v20, 7, v8
	v_ffbh_u32_e32 v9, v20
	v_min_u32_e32 v23, 32, v9
	v_subrev_u32_e32 v9, 28, v23
	v_lshlrev_b64 v[8:9], v9, v[8:9]
	v_lshrrev_b32_e32 v22, 3, v1
	v_sub_u32_e32 v9, 29, v23
	v_and_b32_e32 v8, 7, v8
	v_cmp_gt_u32_e32 vcc, 8, v1
	v_cndmask_b32_e32 v1, v22, v9, vcc
	v_cndmask_b32_e32 v8, v20, v8, vcc
	v_lshlrev_b32_e32 v9, 8, v10
	v_bfrev_b32_e32 v20, 60
	v_lshlrev_b32_e32 v8, 20, v8
	v_and_b32_e32 v9, 0x80000000, v9
	v_lshl_add_u32 v1, v1, 23, v20
	v_or3_b32 v9, v9, v1, v8
.LBB4_2618:                             ;   in Loop: Header=BB4_1984 Depth=3
	s_or_b64 exec, exec, s[66:67]
.LBB4_2619:                             ;   in Loop: Header=BB4_1984 Depth=3
	s_or_b64 exec, exec, s[36:37]
.LBB4_2620:                             ;   in Loop: Header=BB4_1984 Depth=3
	s_or_b64 exec, exec, s[28:29]
	v_add_f32_e32 v8, v12, v9
	v_and_b32_sdwa v12, v8, s91 dst_sel:DWORD dst_unused:UNUSED_PAD src0_sel:BYTE_3 src1_sel:DWORD
	v_and_b32_e32 v22, 0x7f800000, v8
	v_mov_b32_e32 v23, v59
	v_and_b32_e32 v58, 0x7fffff, v8
	v_or_b32_e32 v54, 0x7e, v12
	v_cmp_ne_u64_e32 vcc, s[54:55], v[22:23]
	s_and_saveexec_b64 s[28:29], vcc
	s_xor_b64 s[36:37], exec, s[28:29]
	s_cbranch_execz .LBB4_2630
; %bb.2621:                             ;   in Loop: Header=BB4_1984 Depth=3
	v_and_b32_e32 v22, 0x7fffffff, v8
	v_mov_b32_e32 v23, v59
	v_cmp_gt_u64_e32 vcc, s[56:57], v[22:23]
	s_and_saveexec_b64 s[66:67], vcc
	s_cbranch_execz .LBB4_2629
; %bb.2622:                             ;   in Loop: Header=BB4_1984 Depth=3
	v_cmp_ne_u32_e32 vcc, 0, v8
	v_mov_b32_e32 v54, 0
	s_and_saveexec_b64 s[68:69], vcc
	s_cbranch_execz .LBB4_2628
; %bb.2623:                             ;   in Loop: Header=BB4_1984 Depth=3
	v_bfe_u32 v1, v8, 23, 8
	v_sub_u32_e32 v9, 0x79, v1
	v_cmp_gt_u32_e32 vcc, s93, v1
	v_add_u32_e32 v8, 0xffffff81, v1
	v_cndmask_b32_e32 v9, 0, v9, vcc
	v_cmp_eq_u32_e32 vcc, 0, v1
	v_mov_b32_e32 v1, 0xffffff82
	v_cndmask_b32_e32 v1, v8, v1, vcc
	v_mov_b32_e32 v8, 0x78
	v_or_b32_e32 v20, 0x800000, v58
	v_cndmask_b32_e32 v31, v9, v8, vcc
	v_cndmask_b32_e32 v58, v20, v58, vcc
	v_add_u32_e32 v8, 20, v31
	v_lshlrev_b64 v[8:9], v8, -1
	v_add_u32_e32 v20, 19, v31
	v_lshrrev_b64 v[32:33], v31, v[58:59]
	v_not_b32_e32 v9, v9
	v_not_b32_e32 v8, v8
	v_lshlrev_b64 v[22:23], v20, 1
	v_lshrrev_b32_e32 v20, 23, v32
	v_and_b32_e32 v9, 0, v9
	v_and_b32_e32 v8, v58, v8
	v_add3_u32 v54, v31, v1, v20
	v_bfe_u32 v1, v32, 20, 1
	v_add_u32_e32 v1, -1, v1
	v_cmp_eq_u64_e32 vcc, v[8:9], v[22:23]
	v_cndmask_b32_e32 v1, 0, v1, vcc
	v_add_u32_e32 v1, v1, v32
	v_and_b32_e32 v1, 0xfffff, v1
	v_add_co_u32_e32 v8, vcc, v1, v32
	v_add_u32_e32 v39, 6, v54
	v_addc_co_u32_e32 v9, vcc, 0, v33, vcc
	v_cmp_ne_u32_e32 vcc, 0, v39
                                        ; implicit-def: $vgpr31
	s_and_saveexec_b64 s[28:29], vcc
	s_xor_b64 s[28:29], exec, s[28:29]
; %bb.2624:                             ;   in Loop: Header=BB4_1984 Depth=3
	v_add_u32_e32 v1, 7, v54
	v_cmp_lt_u64_e32 vcc, s[58:59], v[8:9]
	v_cndmask_b32_e32 v31, v39, v1, vcc
	v_cndmask_b32_e64 v1, 0, 1, vcc
	v_lshrrev_b64 v[8:9], v1, v[8:9]
; %bb.2625:                             ;   in Loop: Header=BB4_1984 Depth=3
	s_andn2_saveexec_b64 s[28:29], s[28:29]
; %bb.2626:                             ;   in Loop: Header=BB4_1984 Depth=3
	v_bfe_u32 v31, v8, 23, 1
; %bb.2627:                             ;   in Loop: Header=BB4_1984 Depth=3
	s_or_b64 exec, exec, s[28:29]
	v_lshrrev_b64 v[8:9], 20, v[8:9]
	v_cmp_gt_i32_e32 vcc, 16, v31
	v_cndmask_b32_e32 v9, 0, v9, vcc
	v_cndmask_b32_e32 v8, 7, v8, vcc
	v_min_i32_e32 v1, 15, v31
	v_cmp_eq_u32_e32 vcc, 0, v31
	v_cmp_eq_u64_e64 s[28:29], 0, v[8:9]
	v_lshlrev_b32_e32 v1, 3, v1
	v_and_or_b32 v1, v8, 7, v1
	s_and_b64 s[28:29], vcc, s[28:29]
	v_cndmask_b32_e64 v1, v1, 0, s[28:29]
	v_or_b32_e32 v54, v1, v12
.LBB4_2628:                             ;   in Loop: Header=BB4_1984 Depth=3
	s_or_b64 exec, exec, s[68:69]
.LBB4_2629:                             ;   in Loop: Header=BB4_1984 Depth=3
	s_or_b64 exec, exec, s[66:67]
                                        ; implicit-def: $vgpr8
.LBB4_2630:                             ;   in Loop: Header=BB4_1984 Depth=3
	s_andn2_saveexec_b64 s[28:29], s[36:37]
; %bb.2631:                             ;   in Loop: Header=BB4_1984 Depth=3
	v_or_b32_sdwa v1, v8, s92 dst_sel:DWORD dst_unused:UNUSED_PAD src0_sel:BYTE_3 src1_sel:DWORD
	v_cmp_eq_u64_e32 vcc, 0, v[58:59]
	v_cndmask_b32_e32 v54, v1, v54, vcc
; %bb.2632:                             ;   in Loop: Header=BB4_1984 Depth=3
	s_or_b64 exec, exec, s[28:29]
	v_cmp_lt_u32_e32 vcc, s45, v14
	v_mov_b32_e32 v9, 0
	v_mov_b32_e32 v12, 0
	s_and_saveexec_b64 s[28:29], vcc
	s_cbranch_execz .LBB4_2638
; %bb.2633:                             ;   in Loop: Header=BB4_1984 Depth=3
	v_lshrrev_b32_e32 v8, 24, v14
	v_cmp_ne_u32_e32 vcc, s91, v8
	v_bfrev_b32_e32 v12, 1
	s_and_saveexec_b64 s[36:37], vcc
	s_cbranch_execz .LBB4_2637
; %bb.2634:                             ;   in Loop: Header=BB4_1984 Depth=3
	v_bfe_u32 v1, v14, 24, 7
	v_cmp_ne_u32_e32 vcc, s92, v1
	v_mov_b32_e32 v12, 0x7f800001
	s_and_saveexec_b64 s[66:67], vcc
	s_cbranch_execz .LBB4_2636
; %bb.2635:                             ;   in Loop: Header=BB4_1984 Depth=3
	v_and_b32_e32 v12, 7, v8
	v_ffbh_u32_e32 v22, v12
	v_min_u32_e32 v31, 32, v22
	v_subrev_u32_e32 v22, 28, v31
	v_lshlrev_b64 v[22:23], v22, v[8:9]
	v_lshrrev_b32_e32 v20, 3, v1
	v_sub_u32_e32 v23, 29, v31
	v_and_b32_e32 v22, 7, v22
	v_cmp_gt_u32_e32 vcc, 8, v1
	v_cndmask_b32_e32 v1, v20, v23, vcc
	v_cndmask_b32_e32 v12, v12, v22, vcc
	v_lshlrev_b32_e32 v8, 24, v8
	v_bfrev_b32_e32 v20, 60
	v_lshlrev_b32_e32 v12, 20, v12
	v_and_b32_e32 v8, 0x80000000, v8
	v_lshl_add_u32 v1, v1, 23, v20
	v_or3_b32 v12, v8, v1, v12
.LBB4_2636:                             ;   in Loop: Header=BB4_1984 Depth=3
	s_or_b64 exec, exec, s[66:67]
.LBB4_2637:                             ;   in Loop: Header=BB4_1984 Depth=3
	s_or_b64 exec, exec, s[36:37]
.LBB4_2638:                             ;   in Loop: Header=BB4_1984 Depth=3
	s_or_b64 exec, exec, s[28:29]
	v_cmp_lt_u32_e32 vcc, s45, v10
	s_and_saveexec_b64 s[28:29], vcc
	s_cbranch_execz .LBB4_2644
; %bb.2639:                             ;   in Loop: Header=BB4_1984 Depth=3
	v_lshrrev_b32_e32 v8, 24, v10
	v_cmp_ne_u32_e32 vcc, s91, v8
	v_bfrev_b32_e32 v9, 1
	s_and_saveexec_b64 s[36:37], vcc
	s_cbranch_execz .LBB4_2643
; %bb.2640:                             ;   in Loop: Header=BB4_1984 Depth=3
	v_bfe_u32 v1, v10, 24, 7
	v_cmp_ne_u32_e32 vcc, s92, v1
	v_mov_b32_e32 v9, 0x7f800001
	s_and_saveexec_b64 s[66:67], vcc
	s_cbranch_execz .LBB4_2642
; %bb.2641:                             ;   in Loop: Header=BB4_1984 Depth=3
	v_and_b32_e32 v9, 7, v8
	v_ffbh_u32_e32 v22, v9
	v_min_u32_e32 v31, 32, v22
	v_subrev_u32_e32 v22, 28, v31
	v_lshlrev_b64 v[22:23], v22, v[8:9]
	v_lshrrev_b32_e32 v20, 3, v1
	v_sub_u32_e32 v23, 29, v31
	v_and_b32_e32 v22, 7, v22
	v_cmp_gt_u32_e32 vcc, 8, v1
	v_cndmask_b32_e32 v1, v20, v23, vcc
	v_cndmask_b32_e32 v9, v9, v22, vcc
	v_lshlrev_b32_e32 v8, 24, v8
	v_bfrev_b32_e32 v20, 60
	v_lshlrev_b32_e32 v9, 20, v9
	v_and_b32_e32 v8, 0x80000000, v8
	v_lshl_add_u32 v1, v1, 23, v20
	v_or3_b32 v9, v8, v1, v9
.LBB4_2642:                             ;   in Loop: Header=BB4_1984 Depth=3
	s_or_b64 exec, exec, s[66:67]
.LBB4_2643:                             ;   in Loop: Header=BB4_1984 Depth=3
	s_or_b64 exec, exec, s[36:37]
.LBB4_2644:                             ;   in Loop: Header=BB4_1984 Depth=3
	s_or_b64 exec, exec, s[28:29]
	v_add_f32_e32 v8, v12, v9
	v_and_b32_sdwa v12, v8, s91 dst_sel:DWORD dst_unused:UNUSED_PAD src0_sel:BYTE_3 src1_sel:DWORD
	v_and_b32_e32 v22, 0x7f800000, v8
	v_mov_b32_e32 v23, v59
	v_and_b32_e32 v58, 0x7fffff, v8
	v_or_b32_e32 v39, 0x7e, v12
	v_cmp_ne_u64_e32 vcc, s[54:55], v[22:23]
	s_and_saveexec_b64 s[28:29], vcc
	s_xor_b64 s[36:37], exec, s[28:29]
	s_cbranch_execz .LBB4_2654
; %bb.2645:                             ;   in Loop: Header=BB4_1984 Depth=3
	v_and_b32_e32 v22, 0x7fffffff, v8
	v_mov_b32_e32 v23, v59
	v_cmp_gt_u64_e32 vcc, s[56:57], v[22:23]
	s_and_saveexec_b64 s[66:67], vcc
	s_cbranch_execz .LBB4_2653
; %bb.2646:                             ;   in Loop: Header=BB4_1984 Depth=3
	v_cmp_ne_u32_e32 vcc, 0, v8
	v_mov_b32_e32 v39, 0
	s_and_saveexec_b64 s[68:69], vcc
	s_cbranch_execz .LBB4_2652
; %bb.2647:                             ;   in Loop: Header=BB4_1984 Depth=3
	v_bfe_u32 v1, v8, 23, 8
	v_sub_u32_e32 v9, 0x79, v1
	v_cmp_gt_u32_e32 vcc, s93, v1
	v_add_u32_e32 v8, 0xffffff81, v1
	v_cndmask_b32_e32 v9, 0, v9, vcc
	v_cmp_eq_u32_e32 vcc, 0, v1
	v_mov_b32_e32 v1, 0xffffff82
	v_cndmask_b32_e32 v1, v8, v1, vcc
	v_mov_b32_e32 v8, 0x78
	v_or_b32_e32 v20, 0x800000, v58
	v_cndmask_b32_e32 v31, v9, v8, vcc
	v_cndmask_b32_e32 v58, v20, v58, vcc
	v_add_u32_e32 v8, 20, v31
	v_lshlrev_b64 v[8:9], v8, -1
	v_add_u32_e32 v20, 19, v31
	v_lshrrev_b64 v[32:33], v31, v[58:59]
	v_not_b32_e32 v9, v9
	v_not_b32_e32 v8, v8
	v_lshlrev_b64 v[22:23], v20, 1
	v_lshrrev_b32_e32 v20, 23, v32
	v_mov_b32_e32 v34, v55
	v_and_b32_e32 v9, 0, v9
	v_and_b32_e32 v8, v58, v8
	v_add3_u32 v55, v31, v1, v20
	v_bfe_u32 v1, v32, 20, 1
	v_add_u32_e32 v1, -1, v1
	v_cmp_eq_u64_e32 vcc, v[8:9], v[22:23]
	v_cndmask_b32_e32 v1, 0, v1, vcc
	v_add_u32_e32 v1, v1, v32
	v_and_b32_e32 v1, 0xfffff, v1
	v_add_co_u32_e32 v8, vcc, v1, v32
	v_add_u32_e32 v39, 6, v55
	v_addc_co_u32_e32 v9, vcc, 0, v33, vcc
	v_cmp_ne_u32_e32 vcc, 0, v39
                                        ; implicit-def: $vgpr31
	s_and_saveexec_b64 s[28:29], vcc
	s_xor_b64 s[28:29], exec, s[28:29]
; %bb.2648:                             ;   in Loop: Header=BB4_1984 Depth=3
	v_add_u32_e32 v1, 7, v55
	v_cmp_lt_u64_e32 vcc, s[58:59], v[8:9]
	v_cndmask_b32_e32 v31, v39, v1, vcc
	v_cndmask_b32_e64 v1, 0, 1, vcc
	v_lshrrev_b64 v[8:9], v1, v[8:9]
; %bb.2649:                             ;   in Loop: Header=BB4_1984 Depth=3
	s_andn2_saveexec_b64 s[28:29], s[28:29]
; %bb.2650:                             ;   in Loop: Header=BB4_1984 Depth=3
	v_bfe_u32 v31, v8, 23, 1
; %bb.2651:                             ;   in Loop: Header=BB4_1984 Depth=3
	s_or_b64 exec, exec, s[28:29]
	v_lshrrev_b64 v[8:9], 20, v[8:9]
	v_cmp_gt_i32_e32 vcc, 16, v31
	v_cndmask_b32_e32 v9, 0, v9, vcc
	v_cndmask_b32_e32 v8, 7, v8, vcc
	v_min_i32_e32 v1, 15, v31
	v_cmp_eq_u32_e32 vcc, 0, v31
	v_cmp_eq_u64_e64 s[28:29], 0, v[8:9]
	v_lshlrev_b32_e32 v1, 3, v1
	v_and_or_b32 v1, v8, 7, v1
	s_and_b64 s[28:29], vcc, s[28:29]
	v_cndmask_b32_e64 v1, v1, 0, s[28:29]
	v_or_b32_e32 v39, v1, v12
	v_mov_b32_e32 v55, v34
.LBB4_2652:                             ;   in Loop: Header=BB4_1984 Depth=3
	s_or_b64 exec, exec, s[68:69]
.LBB4_2653:                             ;   in Loop: Header=BB4_1984 Depth=3
	s_or_b64 exec, exec, s[66:67]
                                        ; implicit-def: $vgpr8
.LBB4_2654:                             ;   in Loop: Header=BB4_1984 Depth=3
	s_andn2_saveexec_b64 s[28:29], s[36:37]
; %bb.2655:                             ;   in Loop: Header=BB4_1984 Depth=3
	v_or_b32_sdwa v1, v8, s92 dst_sel:DWORD dst_unused:UNUSED_PAD src0_sel:BYTE_3 src1_sel:DWORD
	v_cmp_eq_u64_e32 vcc, 0, v[58:59]
	v_cndmask_b32_e32 v39, v1, v39, vcc
; %bb.2656:                             ;   in Loop: Header=BB4_1984 Depth=3
	s_or_b64 exec, exec, s[28:29]
	v_mov_b32_e32 v58, v15
	v_cmp_ne_u16_sdwa vcc, v15, v59 src0_sel:BYTE_0 src1_sel:DWORD
	v_mov_b32_e32 v9, 0
	v_mov_b32_e32 v8, 0
	s_and_saveexec_b64 s[28:29], vcc
	s_cbranch_execz .LBB4_2662
; %bb.2657:                             ;   in Loop: Header=BB4_1984 Depth=3
	v_cmp_ne_u16_sdwa vcc, v15, s91 src0_sel:BYTE_0 src1_sel:DWORD
	v_bfrev_b32_e32 v8, 1
	s_and_saveexec_b64 s[36:37], vcc
	s_cbranch_execz .LBB4_2661
; %bb.2658:                             ;   in Loop: Header=BB4_1984 Depth=3
	v_and_b32_e32 v1, 0x7f, v15
	v_cmp_ne_u32_e32 vcc, s92, v1
	v_mov_b32_e32 v8, 0x7f800001
	s_and_saveexec_b64 s[66:67], vcc
	s_cbranch_execz .LBB4_2660
; %bb.2659:                             ;   in Loop: Header=BB4_1984 Depth=3
	v_and_b32_e32 v8, 7, v15
	v_ffbh_u32_e32 v8, v8
	v_min_u32_e32 v8, 32, v8
	v_lshrrev_b32_e32 v12, 3, v1
	v_subrev_u32_e32 v20, 28, v8
	v_sub_u32_e32 v8, 29, v8
	v_cmp_gt_u32_e32 vcc, 8, v1
	v_cndmask_b32_e32 v1, v12, v8, vcc
	v_cndmask_b32_e32 v8, 0, v20, vcc
	v_lshlrev_b64 v[22:23], v8, v[58:59]
	v_lshlrev_b32_e32 v8, 20, v22
	v_lshlrev_b32_e32 v12, 24, v58
	v_bfrev_b32_e32 v20, 60
	v_and_b32_e32 v8, 0x700000, v8
	v_and_b32_e32 v12, 0x80000000, v12
	v_lshl_add_u32 v1, v1, 23, v20
	v_or3_b32 v8, v12, v1, v8
.LBB4_2660:                             ;   in Loop: Header=BB4_1984 Depth=3
	s_or_b64 exec, exec, s[66:67]
.LBB4_2661:                             ;   in Loop: Header=BB4_1984 Depth=3
	s_or_b64 exec, exec, s[36:37]
.LBB4_2662:                             ;   in Loop: Header=BB4_1984 Depth=3
	s_or_b64 exec, exec, s[28:29]
	v_cmp_ne_u16_sdwa vcc, v11, v59 src0_sel:BYTE_0 src1_sel:DWORD
	s_and_saveexec_b64 s[28:29], vcc
	s_cbranch_execz .LBB4_2668
; %bb.2663:                             ;   in Loop: Header=BB4_1984 Depth=3
	v_cmp_ne_u16_sdwa vcc, v11, s91 src0_sel:BYTE_0 src1_sel:DWORD
	v_bfrev_b32_e32 v9, 1
	s_and_saveexec_b64 s[36:37], vcc
	s_cbranch_execz .LBB4_2667
; %bb.2664:                             ;   in Loop: Header=BB4_1984 Depth=3
	v_and_b32_e32 v1, 0x7f, v11
	v_cmp_ne_u32_e32 vcc, s92, v1
	v_mov_b32_e32 v9, 0x7f800001
	s_and_saveexec_b64 s[66:67], vcc
	s_cbranch_execz .LBB4_2666
; %bb.2665:                             ;   in Loop: Header=BB4_1984 Depth=3
	v_and_b32_e32 v9, 7, v11
	v_ffbh_u32_e32 v9, v9
	v_min_u32_e32 v9, 32, v9
	v_lshrrev_b32_e32 v12, 3, v1
	v_subrev_u32_e32 v20, 28, v9
	v_sub_u32_e32 v9, 29, v9
	v_cmp_gt_u32_e32 vcc, 8, v1
	v_mov_b32_e32 v22, v11
	v_mov_b32_e32 v23, v59
	v_cndmask_b32_e32 v1, v12, v9, vcc
	v_cndmask_b32_e32 v9, 0, v20, vcc
	v_lshlrev_b64 v[32:33], v9, v[22:23]
	v_lshlrev_b32_e32 v9, 20, v32
	v_lshlrev_b32_e32 v12, 24, v22
	v_bfrev_b32_e32 v20, 60
	v_and_b32_e32 v9, 0x700000, v9
	v_and_b32_e32 v12, 0x80000000, v12
	v_lshl_add_u32 v1, v1, 23, v20
	v_or3_b32 v9, v12, v1, v9
.LBB4_2666:                             ;   in Loop: Header=BB4_1984 Depth=3
	s_or_b64 exec, exec, s[66:67]
.LBB4_2667:                             ;   in Loop: Header=BB4_1984 Depth=3
	s_or_b64 exec, exec, s[36:37]
.LBB4_2668:                             ;   in Loop: Header=BB4_1984 Depth=3
	s_or_b64 exec, exec, s[28:29]
	v_add_f32_e32 v31, v8, v9
	v_and_b32_sdwa v12, v31, s91 dst_sel:DWORD dst_unused:UNUSED_PAD src0_sel:BYTE_3 src1_sel:DWORD
	v_and_b32_e32 v22, 0x7f800000, v31
	v_mov_b32_e32 v23, v59
	v_and_b32_e32 v8, 0x7fffff, v31
	v_mov_b32_e32 v9, v59
	v_or_b32_e32 v46, 0x7e, v12
	v_cmp_ne_u64_e32 vcc, s[54:55], v[22:23]
	s_and_saveexec_b64 s[28:29], vcc
	s_xor_b64 s[36:37], exec, s[28:29]
	s_cbranch_execz .LBB4_2678
; %bb.2669:                             ;   in Loop: Header=BB4_1984 Depth=3
	v_and_b32_e32 v22, 0x7fffffff, v31
	v_mov_b32_e32 v23, v59
	v_cmp_gt_u64_e32 vcc, s[56:57], v[22:23]
	s_and_saveexec_b64 s[66:67], vcc
	s_cbranch_execz .LBB4_2677
; %bb.2670:                             ;   in Loop: Header=BB4_1984 Depth=3
	v_cmp_ne_u32_e32 vcc, 0, v31
	v_mov_b32_e32 v46, 0
	s_and_saveexec_b64 s[68:69], vcc
	s_cbranch_execz .LBB4_2676
; %bb.2671:                             ;   in Loop: Header=BB4_1984 Depth=3
	v_bfe_u32 v1, v31, 23, 8
	v_sub_u32_e32 v22, 0x79, v1
	v_cmp_gt_u32_e32 vcc, s93, v1
	v_add_u32_e32 v20, 0xffffff81, v1
	v_cndmask_b32_e32 v22, 0, v22, vcc
	v_cmp_eq_u32_e32 vcc, 0, v1
	v_mov_b32_e32 v1, 0xffffff82
	v_cndmask_b32_e32 v1, v20, v1, vcc
	v_mov_b32_e32 v20, 0x78
	v_cndmask_b32_e32 v20, v22, v20, vcc
	v_or_b32_e32 v23, 0x800000, v8
	v_add_u32_e32 v22, 20, v20
	v_cndmask_b32_e32 v8, v23, v8, vcc
	v_lshlrev_b64 v[22:23], v22, -1
	v_not_b32_e32 v22, v22
	v_and_b32_e32 v22, v8, v22
	v_add_u32_e32 v31, 19, v20
	v_lshrrev_b64 v[8:9], v20, v[8:9]
	v_not_b32_e32 v23, v23
	v_lshlrev_b64 v[32:33], v31, 1
	v_lshrrev_b32_e32 v31, 23, v8
	v_and_b32_e32 v23, 0, v23
	v_add3_u32 v46, v20, v1, v31
	v_bfe_u32 v1, v8, 20, 1
	v_add_u32_e32 v1, -1, v1
	v_cmp_eq_u64_e32 vcc, v[22:23], v[32:33]
	v_cndmask_b32_e32 v1, 0, v1, vcc
	v_add_u32_e32 v1, v1, v8
	v_and_b32_e32 v1, 0xfffff, v1
	v_add_co_u32_e32 v8, vcc, v1, v8
	v_mov_b32_e32 v34, v55
	v_add_u32_e32 v55, 6, v46
	v_addc_co_u32_e32 v9, vcc, 0, v9, vcc
	v_cmp_ne_u32_e32 vcc, 0, v55
                                        ; implicit-def: $vgpr31
	s_and_saveexec_b64 s[28:29], vcc
	s_xor_b64 s[28:29], exec, s[28:29]
; %bb.2672:                             ;   in Loop: Header=BB4_1984 Depth=3
	v_add_u32_e32 v1, 7, v46
	v_cmp_lt_u64_e32 vcc, s[58:59], v[8:9]
	v_cndmask_b32_e32 v31, v55, v1, vcc
	v_cndmask_b32_e64 v1, 0, 1, vcc
	v_lshrrev_b64 v[8:9], v1, v[8:9]
; %bb.2673:                             ;   in Loop: Header=BB4_1984 Depth=3
	s_andn2_saveexec_b64 s[28:29], s[28:29]
; %bb.2674:                             ;   in Loop: Header=BB4_1984 Depth=3
	v_bfe_u32 v31, v8, 23, 1
; %bb.2675:                             ;   in Loop: Header=BB4_1984 Depth=3
	s_or_b64 exec, exec, s[28:29]
	v_lshrrev_b64 v[8:9], 20, v[8:9]
	v_cmp_gt_i32_e32 vcc, 16, v31
	v_cndmask_b32_e32 v9, 0, v9, vcc
	v_cndmask_b32_e32 v8, 7, v8, vcc
	v_min_i32_e32 v1, 15, v31
	v_cmp_eq_u32_e32 vcc, 0, v31
	v_cmp_eq_u64_e64 s[28:29], 0, v[8:9]
	v_lshlrev_b32_e32 v1, 3, v1
	v_and_or_b32 v1, v8, 7, v1
	s_and_b64 s[28:29], vcc, s[28:29]
	v_cndmask_b32_e64 v1, v1, 0, s[28:29]
	v_or_b32_e32 v46, v1, v12
	v_mov_b32_e32 v55, v34
.LBB4_2676:                             ;   in Loop: Header=BB4_1984 Depth=3
	s_or_b64 exec, exec, s[68:69]
.LBB4_2677:                             ;   in Loop: Header=BB4_1984 Depth=3
	s_or_b64 exec, exec, s[66:67]
                                        ; implicit-def: $vgpr31
                                        ; implicit-def: $vgpr8_vgpr9
.LBB4_2678:                             ;   in Loop: Header=BB4_1984 Depth=3
	s_andn2_saveexec_b64 s[28:29], s[36:37]
; %bb.2679:                             ;   in Loop: Header=BB4_1984 Depth=3
	v_or_b32_sdwa v1, v31, s92 dst_sel:DWORD dst_unused:UNUSED_PAD src0_sel:BYTE_3 src1_sel:DWORD
	v_cmp_eq_u64_e32 vcc, 0, v[8:9]
	v_cndmask_b32_e32 v46, v1, v46, vcc
; %bb.2680:                             ;   in Loop: Header=BB4_1984 Depth=3
	s_or_b64 exec, exec, s[28:29]
	v_lshrrev_b16_e32 v8, 8, v58
	v_cmp_ne_u16_e32 vcc, 0, v8
	v_mov_b32_e32 v9, 0
	v_mov_b32_e32 v31, 0
	s_and_saveexec_b64 s[28:29], vcc
	s_cbranch_execz .LBB4_2686
; %bb.2681:                             ;   in Loop: Header=BB4_1984 Depth=3
	v_cmp_ne_u16_e32 vcc, s91, v8
	v_bfrev_b32_e32 v31, 1
	s_and_saveexec_b64 s[36:37], vcc
	s_cbranch_execz .LBB4_2685
; %bb.2682:                             ;   in Loop: Header=BB4_1984 Depth=3
	v_and_b32_e32 v1, 0x7f, v8
	v_cmp_ne_u32_e32 vcc, s92, v1
	v_mov_b32_e32 v31, 0x7f800001
	s_and_saveexec_b64 s[66:67], vcc
	s_cbranch_execz .LBB4_2684
; %bb.2683:                             ;   in Loop: Header=BB4_1984 Depth=3
	v_and_b32_e32 v12, 7, v8
	v_ffbh_u32_e32 v22, v12
	v_min_u32_e32 v31, 32, v22
	v_subrev_u32_e32 v22, 28, v31
	v_lshlrev_b64 v[22:23], v22, v[8:9]
	v_lshrrev_b32_e32 v20, 3, v1
	v_sub_u32_e32 v8, 29, v31
	v_and_b32_e32 v22, 7, v22
	v_cmp_gt_u32_e32 vcc, 8, v1
	v_cndmask_b32_e32 v1, v20, v8, vcc
	v_cndmask_b32_e32 v8, v12, v22, vcc
	v_lshlrev_b32_e32 v12, 16, v58
	v_bfrev_b32_e32 v20, 60
	v_lshlrev_b32_e32 v8, 20, v8
	v_and_b32_e32 v12, 0x80000000, v12
	v_lshl_add_u32 v1, v1, 23, v20
	v_or3_b32 v31, v12, v1, v8
.LBB4_2684:                             ;   in Loop: Header=BB4_1984 Depth=3
	s_or_b64 exec, exec, s[66:67]
.LBB4_2685:                             ;   in Loop: Header=BB4_1984 Depth=3
	s_or_b64 exec, exec, s[36:37]
.LBB4_2686:                             ;   in Loop: Header=BB4_1984 Depth=3
	s_or_b64 exec, exec, s[28:29]
	v_mov_b32_e32 v8, v11
	v_lshrrev_b16_e32 v12, 8, v8
	v_cmp_ne_u16_e32 vcc, 0, v12
	s_and_saveexec_b64 s[28:29], vcc
	s_cbranch_execz .LBB4_2692
; %bb.2687:                             ;   in Loop: Header=BB4_1984 Depth=3
	v_cmp_ne_u16_e32 vcc, s91, v12
	v_bfrev_b32_e32 v9, 1
	s_and_saveexec_b64 s[36:37], vcc
	s_cbranch_execz .LBB4_2691
; %bb.2688:                             ;   in Loop: Header=BB4_1984 Depth=3
	v_and_b32_e32 v1, 0x7f, v12
	v_cmp_ne_u32_e32 vcc, s92, v1
	v_mov_b32_e32 v9, 0x7f800001
	s_and_saveexec_b64 s[66:67], vcc
	s_cbranch_execz .LBB4_2690
; %bb.2689:                             ;   in Loop: Header=BB4_1984 Depth=3
	v_and_b32_e32 v9, 7, v12
	v_ffbh_u32_e32 v22, v9
	v_min_u32_e32 v32, 32, v22
	v_subrev_u32_e32 v22, 28, v32
	v_lshlrev_b64 v[22:23], v22, v[12:13]
	v_lshrrev_b32_e32 v20, 3, v1
	v_sub_u32_e32 v12, 29, v32
	v_and_b32_e32 v22, 7, v22
	v_cmp_gt_u32_e32 vcc, 8, v1
	v_cndmask_b32_e32 v1, v20, v12, vcc
	v_cndmask_b32_e32 v9, v9, v22, vcc
	v_lshlrev_b32_e32 v8, 16, v8
	v_bfrev_b32_e32 v12, 60
	v_lshlrev_b32_e32 v9, 20, v9
	v_and_b32_e32 v8, 0x80000000, v8
	v_lshl_add_u32 v1, v1, 23, v12
	v_or3_b32 v9, v8, v1, v9
.LBB4_2690:                             ;   in Loop: Header=BB4_1984 Depth=3
	s_or_b64 exec, exec, s[66:67]
.LBB4_2691:                             ;   in Loop: Header=BB4_1984 Depth=3
	s_or_b64 exec, exec, s[36:37]
.LBB4_2692:                             ;   in Loop: Header=BB4_1984 Depth=3
	s_or_b64 exec, exec, s[28:29]
	v_add_f32_e32 v8, v31, v9
	v_and_b32_sdwa v31, v8, s91 dst_sel:DWORD dst_unused:UNUSED_PAD src0_sel:BYTE_3 src1_sel:DWORD
	v_and_b32_e32 v22, 0x7f800000, v8
	v_mov_b32_e32 v23, v59
	v_and_b32_e32 v58, 0x7fffff, v8
	v_or_b32_e32 v12, 0x7e, v31
	v_cmp_ne_u64_e32 vcc, s[54:55], v[22:23]
	s_and_saveexec_b64 s[28:29], vcc
	s_xor_b64 s[36:37], exec, s[28:29]
	s_cbranch_execz .LBB4_2702
; %bb.2693:                             ;   in Loop: Header=BB4_1984 Depth=3
	v_and_b32_e32 v22, 0x7fffffff, v8
	v_mov_b32_e32 v23, v59
	v_cmp_gt_u64_e32 vcc, s[56:57], v[22:23]
	s_and_saveexec_b64 s[66:67], vcc
	s_cbranch_execz .LBB4_2701
; %bb.2694:                             ;   in Loop: Header=BB4_1984 Depth=3
	v_cmp_ne_u32_e32 vcc, 0, v8
	v_mov_b32_e32 v12, 0
	s_and_saveexec_b64 s[68:69], vcc
	s_cbranch_execz .LBB4_2700
; %bb.2695:                             ;   in Loop: Header=BB4_1984 Depth=3
	v_bfe_u32 v1, v8, 23, 8
	v_sub_u32_e32 v9, 0x79, v1
	v_cmp_gt_u32_e32 vcc, s93, v1
	v_add_u32_e32 v8, 0xffffff81, v1
	v_cndmask_b32_e32 v9, 0, v9, vcc
	v_cmp_eq_u32_e32 vcc, 0, v1
	v_mov_b32_e32 v1, 0xffffff82
	v_cndmask_b32_e32 v1, v8, v1, vcc
	v_mov_b32_e32 v8, 0x78
	v_or_b32_e32 v12, 0x800000, v58
	v_cndmask_b32_e32 v20, v9, v8, vcc
	v_cndmask_b32_e32 v58, v12, v58, vcc
	v_add_u32_e32 v8, 20, v20
	v_lshlrev_b64 v[8:9], v8, -1
	v_add_u32_e32 v12, 19, v20
	v_lshrrev_b64 v[32:33], v20, v[58:59]
	v_not_b32_e32 v9, v9
	v_not_b32_e32 v8, v8
	v_lshlrev_b64 v[22:23], v12, 1
	v_lshrrev_b32_e32 v12, 23, v32
	v_and_b32_e32 v9, 0, v9
	v_and_b32_e32 v8, v58, v8
	v_add3_u32 v47, v20, v1, v12
	v_bfe_u32 v1, v32, 20, 1
	v_add_u32_e32 v1, -1, v1
	v_cmp_eq_u64_e32 vcc, v[8:9], v[22:23]
	v_cndmask_b32_e32 v1, 0, v1, vcc
	v_add_u32_e32 v1, v1, v32
	v_and_b32_e32 v1, 0xfffff, v1
	v_add_co_u32_e32 v8, vcc, v1, v32
	v_mov_b32_e32 v34, v55
	v_add_u32_e32 v55, 6, v47
	v_addc_co_u32_e32 v9, vcc, 0, v33, vcc
	v_cmp_ne_u32_e32 vcc, 0, v55
                                        ; implicit-def: $vgpr12
	s_and_saveexec_b64 s[28:29], vcc
	s_xor_b64 s[28:29], exec, s[28:29]
; %bb.2696:                             ;   in Loop: Header=BB4_1984 Depth=3
	v_add_u32_e32 v1, 7, v47
	v_cmp_lt_u64_e32 vcc, s[58:59], v[8:9]
	v_cndmask_b32_e32 v12, v55, v1, vcc
	v_cndmask_b32_e64 v1, 0, 1, vcc
	v_lshrrev_b64 v[8:9], v1, v[8:9]
; %bb.2697:                             ;   in Loop: Header=BB4_1984 Depth=3
	s_andn2_saveexec_b64 s[28:29], s[28:29]
; %bb.2698:                             ;   in Loop: Header=BB4_1984 Depth=3
	v_bfe_u32 v12, v8, 23, 1
; %bb.2699:                             ;   in Loop: Header=BB4_1984 Depth=3
	s_or_b64 exec, exec, s[28:29]
	v_lshrrev_b64 v[8:9], 20, v[8:9]
	v_cmp_gt_i32_e32 vcc, 16, v12
	v_cndmask_b32_e32 v9, 0, v9, vcc
	v_cndmask_b32_e32 v8, 7, v8, vcc
	v_min_i32_e32 v1, 15, v12
	v_cmp_eq_u32_e32 vcc, 0, v12
	v_cmp_eq_u64_e64 s[28:29], 0, v[8:9]
	v_lshlrev_b32_e32 v1, 3, v1
	v_and_or_b32 v1, v8, 7, v1
	s_and_b64 s[28:29], vcc, s[28:29]
	v_cndmask_b32_e64 v1, v1, 0, s[28:29]
	v_or_b32_e32 v12, v1, v31
	v_mov_b32_e32 v55, v34
.LBB4_2700:                             ;   in Loop: Header=BB4_1984 Depth=3
	s_or_b64 exec, exec, s[68:69]
.LBB4_2701:                             ;   in Loop: Header=BB4_1984 Depth=3
	s_or_b64 exec, exec, s[66:67]
                                        ; implicit-def: $vgpr8
.LBB4_2702:                             ;   in Loop: Header=BB4_1984 Depth=3
	s_andn2_saveexec_b64 s[28:29], s[36:37]
; %bb.2703:                             ;   in Loop: Header=BB4_1984 Depth=3
	v_or_b32_sdwa v1, v8, s92 dst_sel:DWORD dst_unused:UNUSED_PAD src0_sel:BYTE_3 src1_sel:DWORD
	v_cmp_eq_u64_e32 vcc, 0, v[58:59]
	v_cndmask_b32_e32 v12, v1, v12, vcc
; %bb.2704:                             ;   in Loop: Header=BB4_1984 Depth=3
	s_or_b64 exec, exec, s[28:29]
	v_lshrrev_b32_e32 v8, 16, v15
	v_cmp_ne_u16_sdwa vcc, v8, v59 src0_sel:BYTE_0 src1_sel:DWORD
	v_mov_b32_e32 v9, 0
	v_mov_b32_e32 v31, 0
	s_and_saveexec_b64 s[28:29], vcc
	s_cbranch_execz .LBB4_2710
; %bb.2705:                             ;   in Loop: Header=BB4_1984 Depth=3
	v_cmp_ne_u16_sdwa vcc, v8, s91 src0_sel:BYTE_0 src1_sel:DWORD
	v_bfrev_b32_e32 v31, 1
	s_and_saveexec_b64 s[36:37], vcc
	s_cbranch_execz .LBB4_2709
; %bb.2706:                             ;   in Loop: Header=BB4_1984 Depth=3
	v_bfe_u32 v1, v15, 16, 7
	v_cmp_ne_u32_e32 vcc, s92, v1
	v_mov_b32_e32 v31, 0x7f800001
	s_and_saveexec_b64 s[66:67], vcc
	s_cbranch_execz .LBB4_2708
; %bb.2707:                             ;   in Loop: Header=BB4_1984 Depth=3
	v_and_b32_e32 v20, 7, v8
	v_ffbh_u32_e32 v22, v20
	v_min_u32_e32 v32, 32, v22
	v_subrev_u32_e32 v22, 28, v32
	v_lshlrev_b64 v[22:23], v22, v[8:9]
	v_lshrrev_b32_e32 v31, 3, v1
	v_sub_u32_e32 v23, 29, v32
	v_and_b32_e32 v22, 7, v22
	v_cmp_gt_u32_e32 vcc, 8, v1
	v_cndmask_b32_e32 v1, v31, v23, vcc
	v_cndmask_b32_e32 v20, v20, v22, vcc
	v_lshlrev_b32_e32 v8, 24, v8
	v_bfrev_b32_e32 v22, 60
	v_lshlrev_b32_e32 v20, 20, v20
	v_and_b32_e32 v8, 0x80000000, v8
	v_lshl_add_u32 v1, v1, 23, v22
	v_or3_b32 v31, v8, v1, v20
.LBB4_2708:                             ;   in Loop: Header=BB4_1984 Depth=3
	s_or_b64 exec, exec, s[66:67]
.LBB4_2709:                             ;   in Loop: Header=BB4_1984 Depth=3
	s_or_b64 exec, exec, s[36:37]
.LBB4_2710:                             ;   in Loop: Header=BB4_1984 Depth=3
	s_or_b64 exec, exec, s[28:29]
	v_lshrrev_b32_e32 v8, 16, v11
	v_cmp_ne_u16_sdwa vcc, v8, v59 src0_sel:BYTE_0 src1_sel:DWORD
	s_and_saveexec_b64 s[28:29], vcc
	s_cbranch_execz .LBB4_2716
; %bb.2711:                             ;   in Loop: Header=BB4_1984 Depth=3
	v_cmp_ne_u16_sdwa vcc, v8, s91 src0_sel:BYTE_0 src1_sel:DWORD
	v_bfrev_b32_e32 v9, 1
	s_and_saveexec_b64 s[36:37], vcc
	s_cbranch_execz .LBB4_2715
; %bb.2712:                             ;   in Loop: Header=BB4_1984 Depth=3
	v_bfe_u32 v1, v11, 16, 7
	v_cmp_ne_u32_e32 vcc, s92, v1
	v_mov_b32_e32 v9, 0x7f800001
	s_and_saveexec_b64 s[66:67], vcc
	s_cbranch_execz .LBB4_2714
; %bb.2713:                             ;   in Loop: Header=BB4_1984 Depth=3
	v_and_b32_e32 v20, 7, v8
	v_ffbh_u32_e32 v9, v20
	v_min_u32_e32 v23, 32, v9
	v_subrev_u32_e32 v9, 28, v23
	v_lshlrev_b64 v[8:9], v9, v[8:9]
	v_lshrrev_b32_e32 v22, 3, v1
	v_sub_u32_e32 v9, 29, v23
	v_and_b32_e32 v8, 7, v8
	v_cmp_gt_u32_e32 vcc, 8, v1
	v_cndmask_b32_e32 v1, v22, v9, vcc
	v_cndmask_b32_e32 v8, v20, v8, vcc
	v_lshlrev_b32_e32 v9, 8, v11
	v_bfrev_b32_e32 v20, 60
	v_lshlrev_b32_e32 v8, 20, v8
	v_and_b32_e32 v9, 0x80000000, v9
	v_lshl_add_u32 v1, v1, 23, v20
	v_or3_b32 v9, v9, v1, v8
.LBB4_2714:                             ;   in Loop: Header=BB4_1984 Depth=3
	s_or_b64 exec, exec, s[66:67]
.LBB4_2715:                             ;   in Loop: Header=BB4_1984 Depth=3
	s_or_b64 exec, exec, s[36:37]
.LBB4_2716:                             ;   in Loop: Header=BB4_1984 Depth=3
	s_or_b64 exec, exec, s[28:29]
	v_add_f32_e32 v8, v31, v9
	v_and_b32_sdwa v47, v8, s91 dst_sel:DWORD dst_unused:UNUSED_PAD src0_sel:BYTE_3 src1_sel:DWORD
	v_and_b32_e32 v22, 0x7f800000, v8
	v_mov_b32_e32 v23, v59
	v_and_b32_e32 v58, 0x7fffff, v8
	v_or_b32_e32 v31, 0x7e, v47
	v_cmp_ne_u64_e32 vcc, s[54:55], v[22:23]
	s_and_saveexec_b64 s[28:29], vcc
	s_xor_b64 s[36:37], exec, s[28:29]
	s_cbranch_execz .LBB4_2726
; %bb.2717:                             ;   in Loop: Header=BB4_1984 Depth=3
	v_and_b32_e32 v22, 0x7fffffff, v8
	v_mov_b32_e32 v23, v59
	v_cmp_gt_u64_e32 vcc, s[56:57], v[22:23]
	s_and_saveexec_b64 s[66:67], vcc
	s_cbranch_execz .LBB4_2725
; %bb.2718:                             ;   in Loop: Header=BB4_1984 Depth=3
	v_cmp_ne_u32_e32 vcc, 0, v8
	v_mov_b32_e32 v31, 0
	s_and_saveexec_b64 s[68:69], vcc
	s_cbranch_execz .LBB4_2724
; %bb.2719:                             ;   in Loop: Header=BB4_1984 Depth=3
	v_bfe_u32 v1, v8, 23, 8
	v_sub_u32_e32 v9, 0x79, v1
	v_cmp_gt_u32_e32 vcc, s93, v1
	v_add_u32_e32 v8, 0xffffff81, v1
	v_cndmask_b32_e32 v9, 0, v9, vcc
	v_cmp_eq_u32_e32 vcc, 0, v1
	v_mov_b32_e32 v1, 0xffffff82
	v_cndmask_b32_e32 v1, v8, v1, vcc
	v_mov_b32_e32 v8, 0x78
	v_or_b32_e32 v20, 0x800000, v58
	v_cndmask_b32_e32 v31, v9, v8, vcc
	v_cndmask_b32_e32 v58, v20, v58, vcc
	v_add_u32_e32 v8, 20, v31
	v_lshlrev_b64 v[8:9], v8, -1
	v_add_u32_e32 v20, 19, v31
	v_lshrrev_b64 v[32:33], v31, v[58:59]
	v_not_b32_e32 v9, v9
	v_not_b32_e32 v8, v8
	v_lshlrev_b64 v[22:23], v20, 1
	v_lshrrev_b32_e32 v20, 23, v32
	v_and_b32_e32 v9, 0, v9
	v_and_b32_e32 v8, v58, v8
	v_add3_u32 v58, v31, v1, v20
	v_bfe_u32 v1, v32, 20, 1
	v_add_u32_e32 v1, -1, v1
	v_cmp_eq_u64_e32 vcc, v[8:9], v[22:23]
	v_cndmask_b32_e32 v1, 0, v1, vcc
	v_add_u32_e32 v1, v1, v32
	v_and_b32_e32 v1, 0xfffff, v1
	v_add_co_u32_e32 v8, vcc, v1, v32
	v_mov_b32_e32 v34, v55
	v_add_u32_e32 v55, 6, v58
	v_addc_co_u32_e32 v9, vcc, 0, v33, vcc
	v_cmp_ne_u32_e32 vcc, 0, v55
                                        ; implicit-def: $vgpr31
	s_and_saveexec_b64 s[28:29], vcc
	s_xor_b64 s[28:29], exec, s[28:29]
; %bb.2720:                             ;   in Loop: Header=BB4_1984 Depth=3
	v_add_u32_e32 v1, 7, v58
	v_cmp_lt_u64_e32 vcc, s[58:59], v[8:9]
	v_cndmask_b32_e32 v31, v55, v1, vcc
	v_cndmask_b32_e64 v1, 0, 1, vcc
	v_lshrrev_b64 v[8:9], v1, v[8:9]
; %bb.2721:                             ;   in Loop: Header=BB4_1984 Depth=3
	s_andn2_saveexec_b64 s[28:29], s[28:29]
; %bb.2722:                             ;   in Loop: Header=BB4_1984 Depth=3
	v_bfe_u32 v31, v8, 23, 1
; %bb.2723:                             ;   in Loop: Header=BB4_1984 Depth=3
	s_or_b64 exec, exec, s[28:29]
	v_lshrrev_b64 v[8:9], 20, v[8:9]
	v_cmp_gt_i32_e32 vcc, 16, v31
	v_min_i32_e32 v1, 15, v31
	v_cndmask_b32_e32 v9, 0, v9, vcc
	v_cndmask_b32_e32 v8, 7, v8, vcc
	v_lshlrev_b32_e32 v1, 3, v1
	v_cmp_eq_u32_e32 vcc, 0, v31
	v_cmp_eq_u64_e64 s[28:29], 0, v[8:9]
	v_and_b32_e32 v1, 0xf8, v1
	v_and_or_b32 v1, v8, 7, v1
	s_and_b64 s[28:29], vcc, s[28:29]
	v_cndmask_b32_e64 v1, v1, 0, s[28:29]
	v_or_b32_e32 v31, v1, v47
	v_mov_b32_e32 v55, v34
.LBB4_2724:                             ;   in Loop: Header=BB4_1984 Depth=3
	s_or_b64 exec, exec, s[68:69]
.LBB4_2725:                             ;   in Loop: Header=BB4_1984 Depth=3
	s_or_b64 exec, exec, s[66:67]
                                        ; implicit-def: $vgpr8
.LBB4_2726:                             ;   in Loop: Header=BB4_1984 Depth=3
	s_andn2_saveexec_b64 s[28:29], s[36:37]
; %bb.2727:                             ;   in Loop: Header=BB4_1984 Depth=3
	v_or_b32_sdwa v1, v8, s92 dst_sel:DWORD dst_unused:UNUSED_PAD src0_sel:BYTE_3 src1_sel:DWORD
	v_cmp_eq_u64_e32 vcc, 0, v[58:59]
	v_cndmask_b32_e32 v31, v1, v31, vcc
; %bb.2728:                             ;   in Loop: Header=BB4_1984 Depth=3
	s_or_b64 exec, exec, s[28:29]
	v_cmp_lt_u64_e32 vcc, s[44:45], v[14:15]
	v_mov_b32_e32 v9, 0
	v_mov_b32_e32 v14, 0
	s_and_saveexec_b64 s[28:29], vcc
	s_cbranch_execz .LBB4_2734
; %bb.2729:                             ;   in Loop: Header=BB4_1984 Depth=3
	v_lshrrev_b32_e32 v8, 24, v15
	v_cmp_ne_u32_e32 vcc, s91, v8
	v_bfrev_b32_e32 v14, 1
	s_and_saveexec_b64 s[36:37], vcc
	s_cbranch_execz .LBB4_2733
; %bb.2730:                             ;   in Loop: Header=BB4_1984 Depth=3
	v_bfe_u32 v1, v15, 24, 7
	v_cmp_ne_u32_e32 vcc, s92, v1
	v_mov_b32_e32 v14, 0x7f800001
	s_and_saveexec_b64 s[66:67], vcc
	s_cbranch_execz .LBB4_2732
; %bb.2731:                             ;   in Loop: Header=BB4_1984 Depth=3
	v_and_b32_e32 v20, 7, v8
	v_ffbh_u32_e32 v14, v20
	v_min_u32_e32 v23, 32, v14
	v_subrev_u32_e32 v14, 28, v23
	v_lshlrev_b64 v[14:15], v14, v[8:9]
	v_lshrrev_b32_e32 v22, 3, v1
	v_sub_u32_e32 v15, 29, v23
	v_and_b32_e32 v14, 7, v14
	v_cmp_gt_u32_e32 vcc, 8, v1
	v_cndmask_b32_e32 v1, v22, v15, vcc
	v_cndmask_b32_e32 v14, v20, v14, vcc
	v_lshlrev_b32_e32 v8, 24, v8
	v_bfrev_b32_e32 v15, 60
	v_lshlrev_b32_e32 v14, 20, v14
	v_and_b32_e32 v8, 0x80000000, v8
	v_lshl_add_u32 v1, v1, 23, v15
	v_or3_b32 v14, v8, v1, v14
.LBB4_2732:                             ;   in Loop: Header=BB4_1984 Depth=3
	s_or_b64 exec, exec, s[66:67]
.LBB4_2733:                             ;   in Loop: Header=BB4_1984 Depth=3
	s_or_b64 exec, exec, s[36:37]
.LBB4_2734:                             ;   in Loop: Header=BB4_1984 Depth=3
	s_or_b64 exec, exec, s[28:29]
	v_cmp_lt_u64_e32 vcc, s[44:45], v[10:11]
	s_and_saveexec_b64 s[28:29], vcc
	s_cbranch_execz .LBB4_2740
; %bb.2735:                             ;   in Loop: Header=BB4_1984 Depth=3
	v_lshrrev_b32_e32 v8, 24, v11
	v_cmp_ne_u32_e32 vcc, s91, v8
	v_bfrev_b32_e32 v9, 1
	s_and_saveexec_b64 s[36:37], vcc
	s_cbranch_execz .LBB4_2739
; %bb.2736:                             ;   in Loop: Header=BB4_1984 Depth=3
	v_bfe_u32 v1, v11, 24, 7
	v_cmp_ne_u32_e32 vcc, s92, v1
	v_mov_b32_e32 v9, 0x7f800001
	s_and_saveexec_b64 s[66:67], vcc
	s_cbranch_execz .LBB4_2738
; %bb.2737:                             ;   in Loop: Header=BB4_1984 Depth=3
	v_and_b32_e32 v9, 7, v8
	v_ffbh_u32_e32 v10, v9
	v_min_u32_e32 v20, 32, v10
	v_subrev_u32_e32 v10, 28, v20
	v_lshlrev_b64 v[10:11], v10, v[8:9]
	v_lshrrev_b32_e32 v15, 3, v1
	v_sub_u32_e32 v11, 29, v20
	v_and_b32_e32 v10, 7, v10
	v_cmp_gt_u32_e32 vcc, 8, v1
	v_cndmask_b32_e32 v1, v15, v11, vcc
	v_cndmask_b32_e32 v9, v9, v10, vcc
	v_lshlrev_b32_e32 v8, 24, v8
	v_bfrev_b32_e32 v10, 60
	v_lshlrev_b32_e32 v9, 20, v9
	v_and_b32_e32 v8, 0x80000000, v8
	v_lshl_add_u32 v1, v1, 23, v10
	v_or3_b32 v9, v8, v1, v9
.LBB4_2738:                             ;   in Loop: Header=BB4_1984 Depth=3
	s_or_b64 exec, exec, s[66:67]
.LBB4_2739:                             ;   in Loop: Header=BB4_1984 Depth=3
	s_or_b64 exec, exec, s[36:37]
.LBB4_2740:                             ;   in Loop: Header=BB4_1984 Depth=3
	s_or_b64 exec, exec, s[28:29]
	v_add_f32_e32 v9, v14, v9
	v_and_b32_sdwa v10, v9, s91 dst_sel:DWORD dst_unused:UNUSED_PAD src0_sel:BYTE_3 src1_sel:DWORD
	v_and_b32_e32 v14, 0x7f800000, v9
	v_mov_b32_e32 v15, v59
	v_and_b32_e32 v58, 0x7fffff, v9
	v_or_b32_e32 v8, 0x7e, v10
	v_cmp_ne_u64_e32 vcc, s[54:55], v[14:15]
	s_and_saveexec_b64 s[28:29], vcc
	s_xor_b64 s[36:37], exec, s[28:29]
	s_cbranch_execz .LBB4_2750
; %bb.2741:                             ;   in Loop: Header=BB4_1984 Depth=3
	v_and_b32_e32 v14, 0x7fffffff, v9
	v_mov_b32_e32 v15, v59
	v_cmp_gt_u64_e32 vcc, s[56:57], v[14:15]
	s_and_saveexec_b64 s[66:67], vcc
	s_cbranch_execz .LBB4_2749
; %bb.2742:                             ;   in Loop: Header=BB4_1984 Depth=3
	v_cmp_ne_u32_e32 vcc, 0, v9
	v_mov_b32_e32 v8, 0
	s_and_saveexec_b64 s[68:69], vcc
	s_cbranch_execz .LBB4_2748
; %bb.2743:                             ;   in Loop: Header=BB4_1984 Depth=3
	v_bfe_u32 v1, v9, 23, 8
	v_sub_u32_e32 v9, 0x79, v1
	v_cmp_gt_u32_e32 vcc, s93, v1
	v_add_u32_e32 v8, 0xffffff81, v1
	v_cndmask_b32_e32 v9, 0, v9, vcc
	v_cmp_eq_u32_e32 vcc, 0, v1
	v_mov_b32_e32 v1, 0xffffff82
	v_cndmask_b32_e32 v1, v8, v1, vcc
	v_mov_b32_e32 v8, 0x78
	v_or_b32_e32 v11, 0x800000, v58
	v_cndmask_b32_e32 v14, v9, v8, vcc
	v_cndmask_b32_e32 v58, v11, v58, vcc
	v_add_u32_e32 v8, 20, v14
	v_lshlrev_b64 v[8:9], v8, -1
	v_add_u32_e32 v11, 19, v14
	v_lshrrev_b64 v[32:33], v14, v[58:59]
	v_not_b32_e32 v9, v9
	v_not_b32_e32 v8, v8
	v_lshlrev_b64 v[22:23], v11, 1
	v_lshrrev_b32_e32 v11, 23, v32
	v_and_b32_e32 v9, 0, v9
	v_and_b32_e32 v8, v58, v8
	v_add3_u32 v15, v14, v1, v11
	v_bfe_u32 v1, v32, 20, 1
	v_add_u32_e32 v1, -1, v1
	v_cmp_eq_u64_e32 vcc, v[8:9], v[22:23]
	v_cndmask_b32_e32 v1, 0, v1, vcc
	v_add_u32_e32 v1, v1, v32
	v_and_b32_e32 v1, 0xfffff, v1
	v_add_co_u32_e32 v8, vcc, v1, v32
	v_add_u32_e32 v14, 6, v15
	v_addc_co_u32_e32 v9, vcc, 0, v33, vcc
	v_cmp_ne_u32_e32 vcc, 0, v14
                                        ; implicit-def: $vgpr11
	s_and_saveexec_b64 s[28:29], vcc
	s_xor_b64 s[28:29], exec, s[28:29]
; %bb.2744:                             ;   in Loop: Header=BB4_1984 Depth=3
	v_add_u32_e32 v1, 7, v15
	v_cmp_lt_u64_e32 vcc, s[58:59], v[8:9]
	v_cndmask_b32_e32 v11, v14, v1, vcc
	v_cndmask_b32_e64 v1, 0, 1, vcc
	v_lshrrev_b64 v[8:9], v1, v[8:9]
; %bb.2745:                             ;   in Loop: Header=BB4_1984 Depth=3
	s_andn2_saveexec_b64 s[28:29], s[28:29]
; %bb.2746:                             ;   in Loop: Header=BB4_1984 Depth=3
	v_bfe_u32 v11, v8, 23, 1
; %bb.2747:                             ;   in Loop: Header=BB4_1984 Depth=3
	s_or_b64 exec, exec, s[28:29]
	v_lshrrev_b64 v[8:9], 20, v[8:9]
	v_cmp_gt_i32_e32 vcc, 16, v11
	v_min_i32_e32 v1, 15, v11
	v_cndmask_b32_e32 v9, 0, v9, vcc
	v_cndmask_b32_e32 v8, 7, v8, vcc
	v_lshlrev_b32_e32 v1, 3, v1
	v_cmp_eq_u32_e32 vcc, 0, v11
	v_cmp_eq_u64_e64 s[28:29], 0, v[8:9]
	v_and_b32_e32 v1, 0xf8, v1
	v_and_or_b32 v1, v8, 7, v1
	s_and_b64 s[28:29], vcc, s[28:29]
	v_cndmask_b32_e64 v1, v1, 0, s[28:29]
	v_or_b32_e32 v8, v1, v10
.LBB4_2748:                             ;   in Loop: Header=BB4_1984 Depth=3
	s_or_b64 exec, exec, s[68:69]
.LBB4_2749:                             ;   in Loop: Header=BB4_1984 Depth=3
	s_or_b64 exec, exec, s[66:67]
                                        ; implicit-def: $vgpr9
.LBB4_2750:                             ;   in Loop: Header=BB4_1984 Depth=3
	s_andn2_saveexec_b64 s[28:29], s[36:37]
	s_cbranch_execz .LBB4_1983
; %bb.2751:                             ;   in Loop: Header=BB4_1984 Depth=3
	v_or_b32_sdwa v1, v9, s92 dst_sel:DWORD dst_unused:UNUSED_PAD src0_sel:BYTE_3 src1_sel:DWORD
	v_cmp_eq_u64_e32 vcc, 0, v[58:59]
	v_cndmask_b32_e32 v8, v1, v8, vcc
	s_branch .LBB4_1983
.LBB4_2752:                             ;   in Loop: Header=BB4_1895 Depth=2
	s_or_b64 exec, exec, s[66:67]
	s_and_saveexec_b64 vcc, s[68:69]
	s_xor_b64 vcc, exec, vcc
	s_cbranch_execz .LBB4_2754
; %bb.2753:                             ;   in Loop: Header=BB4_1895 Depth=2
	v_mov_b32_e32 v0, 1
	ds_write_b32 v0, v0
	s_trap 2
.LBB4_2754:                             ;   in Loop: Header=BB4_1895 Depth=2
	s_or_b64 exec, exec, s[36:37]
	;;#ASMSTART
	s_wakeup
	;;#ASMEND
.LBB4_2755:                             ;   in Loop: Header=BB4_1895 Depth=2
	s_or_b64 exec, exec, s[34:35]
.LBB4_2756:                             ;   in Loop: Header=BB4_1895 Depth=2
	s_andn2_saveexec_b64 vcc, s[30:31]
	s_cbranch_execz .LBB4_2758
; %bb.2757:                             ;   in Loop: Header=BB4_1895 Depth=2
	s_waitcnt vmcnt(0) lgkmcnt(0)
	buffer_wbinvl1_vol
	s_barrier
.LBB4_2758:                             ;   in Loop: Header=BB4_1895 Depth=2
	s_or_b64 exec, exec, vcc
.LBB4_2759:                             ;   in Loop: Header=BB4_1895 Depth=2
	s_or_b64 exec, exec, s[28:29]
                                        ; implicit-def: $vgpr0
	s_and_saveexec_b64 s[28:29], s[24:25]
	s_xor_b64 s[30:31], exec, s[28:29]
	s_cbranch_execz .LBB4_2763
; %bb.2760:                             ;   in Loop: Header=BB4_1895 Depth=2
	buffer_load_dword v0, off, s[0:3], s33 offset:168 ; 4-byte Folded Reload
	v_and_b32_e32 v1, 16, v60
	v_cmp_ne_u32_e64 s[28:29], 0, v1
	s_waitcnt vmcnt(0)
	v_cmp_lt_i32_e32 vcc, 0, v0
	v_and_b32_e32 v0, 16, v60
	s_and_b64 vcc, s[28:29], vcc
	s_and_saveexec_b64 s[28:29], vcc
	s_cbranch_execz .LBB4_2762
; %bb.2761:                             ;   in Loop: Header=BB4_1895 Depth=2
	v_mov_b32_e32 v0, 1
	s_waitcnt lgkmcnt(0)
	buffer_wbinvl1_vol
.LBB4_2762:                             ;   in Loop: Header=BB4_1895 Depth=2
	s_or_b64 exec, exec, s[28:29]
	s_andn2_saveexec_b64 s[28:29], s[30:31]
	s_cbranch_execz .LBB4_2782
	s_branch .LBB4_2764
.LBB4_2763:                             ;   in Loop: Header=BB4_1895 Depth=2
	s_andn2_saveexec_b64 s[28:29], s[30:31]
	s_cbranch_execz .LBB4_2782
.LBB4_2764:                             ;   in Loop: Header=BB4_1895 Depth=2
	s_and_saveexec_b64 vcc, s[46:47]
	s_xor_b64 s[30:31], exec, vcc
	s_cbranch_execz .LBB4_2779
; %bb.2765:                             ;   in Loop: Header=BB4_1895 Depth=2
	s_and_saveexec_b64 s[34:35], s[16:17]
	s_cbranch_execz .LBB4_2778
; %bb.2766:                             ;   in Loop: Header=BB4_1895 Depth=2
	s_mov_b64 s[66:67], exec
	v_mbcnt_lo_u32_b32 v0, s66, 0
	v_mbcnt_hi_u32_b32 v0, s67, v0
	v_cmp_eq_u32_e32 vcc, 0, v0
	;;#ASMSTART
	s_waitcnt lgkmcnt(0) vmcnt(0)
	;;#ASMEND
	s_and_saveexec_b64 s[36:37], vcc
	s_cbranch_execz .LBB4_2768
; %bb.2767:                             ;   in Loop: Header=BB4_1895 Depth=2
	s_bcnt1_i32_b64 s9, s[66:67]
	v_mov_b32_e32 v58, s9
	ds_add_u64 v0, v[58:59]
	s_trap 2
.LBB4_2768:                             ;   in Loop: Header=BB4_1895 Depth=2
	s_or_b64 exec, exec, s[36:37]
	s_trap 2
	ds_read_b64 v[0:1], v0
	v_accvgpr_read_b32 v2, a14
	v_accvgpr_read_b32 v3, a15
	v_add_co_u32_e32 v2, vcc, v2, v24
	v_addc_co_u32_e32 v3, vcc, 0, v3, vcc
	v_accvgpr_write_b32 a15, v3
	v_accvgpr_write_b32 a14, v2
	s_waitcnt lgkmcnt(0)
	v_cmp_lt_u64_e32 vcc, v[0:1], v[2:3]
	s_and_saveexec_b64 s[36:37], vcc
	s_cbranch_execz .LBB4_2777
; %bb.2769:                             ;   in Loop: Header=BB4_1895 Depth=2
	s_mov_b32 s9, 0
	s_mov_b64 s[66:67], 0
                                        ; implicit-def: $sgpr68_sgpr69
                                        ; implicit-def: $sgpr70_sgpr71
	s_branch .LBB4_2771
.LBB4_2770:                             ;   in Loop: Header=BB4_2771 Depth=3
	s_or_b64 exec, exec, s[74:75]
	s_and_b64 vcc, exec, vcc
	s_or_b64 s[66:67], vcc, s[66:67]
	s_andn2_b64 vcc, s[68:69], exec
	s_and_b64 s[68:69], s[70:71], exec
	s_or_b64 s[68:69], vcc, s[68:69]
	s_andn2_b64 exec, exec, s[66:67]
	s_cbranch_execz .LBB4_2775
.LBB4_2771:                             ;   Parent Loop BB4_47 Depth=1
                                        ;     Parent Loop BB4_1895 Depth=2
                                        ; =>    This Inner Loop Header: Depth=3
	s_add_i32 s9, s9, 1
	s_cmpk_lg_i32 s9, 0x2710
	s_cselect_b64 s[72:73], -1, 0
	s_and_b64 vcc, exec, s[72:73]
                                        ; implicit-def: $sgpr74_sgpr75
	s_cbranch_vccnz .LBB4_2773
; %bb.2772:                             ;   in Loop: Header=BB4_2771 Depth=3
	s_trap 2
	ds_read_b64 v[0:1], v0
	s_andn2_b64 s[72:73], s[72:73], exec
	s_mov_b32 s9, 0
	s_mov_b64 s[74:75], -1
	s_waitcnt vmcnt(0) lgkmcnt(0)
	flat_load_dword v0, v[0:1] glc
	s_waitcnt vmcnt(0) lgkmcnt(0)
	buffer_invl2
	buffer_wbinvl1_vol
	v_cmp_eq_u32_e32 vcc, 0, v0
	s_and_b64 vcc, vcc, exec
	s_or_b64 s[72:73], s[72:73], vcc
.LBB4_2773:                             ;   in Loop: Header=BB4_2771 Depth=3
	s_andn2_b64 s[70:71], s[70:71], exec
	s_and_b64 s[74:75], s[74:75], exec
	s_mov_b64 vcc, -1
	s_or_b64 s[70:71], s[70:71], s[74:75]
	s_and_saveexec_b64 s[74:75], s[72:73]
	s_cbranch_execz .LBB4_2770
; %bb.2774:                             ;   in Loop: Header=BB4_2771 Depth=3
	s_sleep 1
	s_trap 2
	ds_read_b64 v[0:1], v0
	v_accvgpr_read_b32 v2, a14
	v_accvgpr_read_b32 v3, a15
	s_andn2_b64 s[70:71], s[70:71], exec
	s_waitcnt lgkmcnt(0)
	v_cmp_ge_u64_e32 vcc, v[0:1], v[2:3]
	s_orn2_b64 vcc, vcc, exec
	s_branch .LBB4_2770
.LBB4_2775:                             ;   in Loop: Header=BB4_1895 Depth=2
	s_or_b64 exec, exec, s[66:67]
	s_and_saveexec_b64 vcc, s[68:69]
	s_xor_b64 vcc, exec, vcc
	s_cbranch_execz .LBB4_2777
; %bb.2776:                             ;   in Loop: Header=BB4_1895 Depth=2
	v_mov_b32_e32 v0, 1
	ds_write_b32 v0, v0
	s_trap 2
.LBB4_2777:                             ;   in Loop: Header=BB4_1895 Depth=2
	s_or_b64 exec, exec, s[36:37]
	;;#ASMSTART
	s_wakeup
	;;#ASMEND
.LBB4_2778:                             ;   in Loop: Header=BB4_1895 Depth=2
	s_or_b64 exec, exec, s[34:35]
.LBB4_2779:                             ;   in Loop: Header=BB4_1895 Depth=2
	s_andn2_saveexec_b64 vcc, s[30:31]
	s_cbranch_execz .LBB4_2781
; %bb.2780:                             ;   in Loop: Header=BB4_1895 Depth=2
	;;#ASMSTART
	s_waitcnt lgkmcnt(0) vmcnt(0)
	;;#ASMEND
	s_barrier
.LBB4_2781:                             ;   in Loop: Header=BB4_1895 Depth=2
	s_or_b64 exec, exec, vcc
	v_and_b32_e32 v0, 16, v60
.LBB4_2782:                             ;   in Loop: Header=BB4_1895 Depth=2
	s_or_b64 exec, exec, s[28:29]
	v_cmp_ne_u32_e32 vcc, 0, v0
	s_xor_b64 s[28:29], s[12:13], -1
	s_and_b64 vcc, vcc, s[28:29]
	s_and_saveexec_b64 s[28:29], vcc
	s_cbranch_execz .LBB4_2784
; %bb.2783:                             ;   in Loop: Header=BB4_1895 Depth=2
	v_accvgpr_read_b32 v0, a20
	v_accvgpr_read_b32 v1, a21
	v_mov_b32_e32 v2, 1
	flat_store_dword v[0:1], v2
.LBB4_2784:                             ;   in Loop: Header=BB4_1895 Depth=2
	s_or_b64 exec, exec, s[28:29]
	v_and_b32_e32 v0, 48, v60
	v_cmp_ne_u32_e32 vcc, 0, v0
	s_and_saveexec_b64 s[28:29], vcc
	s_cbranch_execz .LBB4_1894
; %bb.2785:                             ;   in Loop: Header=BB4_1895 Depth=2
	v_add_co_u32_e32 v44, vcc, 2, v44
	v_addc_co_u32_e32 v45, vcc, 0, v45, vcc
	flat_store_dwordx2 v[48:49], v[44:45]
	s_branch .LBB4_1894
.LBB4_2786:                             ;   in Loop: Header=BB4_1895 Depth=2
	s_or_b64 exec, exec, s[34:35]
	v_accvgpr_read_b32 v40, a3
	v_accvgpr_read_b32 v41, a23
	;; [unrolled: 1-line block ×3, first 2 shown]
.LBB4_2787:                             ;   in Loop: Header=BB4_1895 Depth=2
	s_or_b64 exec, exec, s[30:31]
	buffer_load_dword v0, off, s[0:3], s33 offset:168 ; 4-byte Folded Reload
	v_lshlrev_b32_e32 v2, 11, v1
	s_mov_b64 s[28:29], 0
                                        ; implicit-def: $vgpr16
                                        ; implicit-def: $vgpr17
                                        ; implicit-def: $vgpr4
	s_waitcnt vmcnt(0)
	v_cmp_ne_u32_e32 vcc, v0, v2
	v_mov_b32_e32 v0, 0
	s_and_saveexec_b64 s[66:67], vcc
	s_cbranch_execz .LBB4_3181
; %bb.2788:                             ;   in Loop: Header=BB4_1895 Depth=2
	buffer_load_dword v0, off, s[0:3], s33 offset:168 ; 4-byte Folded Reload
	v_accvgpr_read_b32 v3, a38
	s_waitcnt vmcnt(0)
	v_sub_u32_e32 v1, v0, v2
	v_lshlrev_b32_e32 v0, 6, v27
	v_sub_u32_e32 v0, v3, v0
	v_ashrrev_i32_e32 v3, 31, v0
	v_lshrrev_b32_e32 v3, 26, v3
	v_ashrrev_i32_e32 v5, 31, v1
	v_add_u32_e32 v3, v0, v3
	v_lshrrev_b32_e32 v5, 22, v5
	v_ashrrev_i32_e32 v4, 6, v3
	v_and_b32_e32 v3, 0xffffffc0, v3
	v_add_u32_e32 v5, v1, v5
	v_sub_u32_e32 v3, v0, v3
	v_and_b32_e32 v6, 0xfffffc00, v5
	v_lshlrev_b32_e32 v0, 4, v3
	v_sub_u32_e32 v25, v1, v6
	v_lshl_add_u32 v0, v4, 10, v0
	v_ashrrev_i32_e32 v7, 10, v5
	v_cmp_lt_i32_e64 s[28:29], 15, v25
	v_sub_u32_e32 v26, v1, v0
	v_addc_co_u32_e64 v1, vcc, 0, v7, s[28:29]
	v_sub_u32_e32 v7, v1, v4
	v_cmp_lt_i32_e32 vcc, 15, v26
	s_and_saveexec_b64 s[68:69], vcc
	s_cbranch_execz .LBB4_3178
; %bb.2789:                             ;   in Loop: Header=BB4_1895 Depth=2
	s_trap 2
	ds_read_b128 v[8:11], v0
	v_add_u32_e32 v0, v0, v2
	v_ashrrev_i32_e32 v1, 31, v0
	s_mov_b64 s[70:71], 0
	s_waitcnt lgkmcnt(0)
	v_add_co_u32_e32 v4, vcc, v8, v0
	v_addc_co_u32_e32 v5, vcc, v9, v1, vcc
	v_add_co_u32_e32 v16, vcc, v10, v0
	v_addc_co_u32_e32 v17, vcc, v11, v1, vcc
	v_pk_mov_b32 v[18:19], v[4:5], v[4:5] op_sel:[0,1]
	v_pk_mov_b32 v[20:21], v[16:17], v[16:17] op_sel:[0,1]
.LBB4_2790:                             ;   Parent Loop BB4_47 Depth=1
                                        ;     Parent Loop BB4_1895 Depth=2
                                        ; =>    This Loop Header: Depth=3
                                        ;         Child Loop BB4_3175 Depth 4
	global_load_dwordx4 v[12:15], v[18:19], off glc slc
	global_load_dwordx4 v[8:11], v[20:21], off glc slc
	v_mov_b32_e32 v0, 0
	v_mov_b32_e32 v22, 0
	s_waitcnt vmcnt(1)
	v_cmp_ne_u16_sdwa vcc, v12, v59 src0_sel:BYTE_0 src1_sel:DWORD
	s_and_saveexec_b64 s[30:31], vcc
	s_cbranch_execz .LBB4_2796
; %bb.2791:                             ;   in Loop: Header=BB4_2790 Depth=3
	v_cmp_ne_u16_sdwa vcc, v12, s91 src0_sel:BYTE_0 src1_sel:DWORD
	v_bfrev_b32_e32 v22, 1
	s_and_saveexec_b64 s[34:35], vcc
	s_cbranch_execz .LBB4_2795
; %bb.2792:                             ;   in Loop: Header=BB4_2790 Depth=3
	v_and_b32_e32 v1, 0x7f, v12
	v_cmp_ne_u32_e32 vcc, s92, v1
	v_mov_b32_e32 v22, 0x7f800001
	s_and_saveexec_b64 s[36:37], vcc
	s_cbranch_execz .LBB4_2794
; %bb.2793:                             ;   in Loop: Header=BB4_2790 Depth=3
	v_and_b32_e32 v22, 7, v12
	v_ffbh_u32_e32 v22, v22
	v_min_u32_e32 v22, 32, v22
	v_lshrrev_b32_e32 v23, 3, v1
	v_subrev_u32_e32 v24, 28, v22
	v_sub_u32_e32 v22, 29, v22
	v_cmp_gt_u32_e32 vcc, 8, v1
	v_cndmask_b32_e32 v1, v23, v22, vcc
	v_cndmask_b32_e32 v22, 0, v24, vcc
	v_lshlrev_b64 v[22:23], v22, v[12:13]
	v_lshlrev_b32_e32 v22, 20, v22
	v_lshlrev_b32_e32 v23, 24, v12
	v_bfrev_b32_e32 v24, 60
	v_and_b32_e32 v22, 0x700000, v22
	v_and_b32_e32 v23, 0x80000000, v23
	v_lshl_add_u32 v1, v1, 23, v24
	v_or3_b32 v22, v23, v1, v22
.LBB4_2794:                             ;   in Loop: Header=BB4_2790 Depth=3
	s_or_b64 exec, exec, s[36:37]
.LBB4_2795:                             ;   in Loop: Header=BB4_2790 Depth=3
	s_or_b64 exec, exec, s[34:35]
.LBB4_2796:                             ;   in Loop: Header=BB4_2790 Depth=3
	s_or_b64 exec, exec, s[30:31]
	s_waitcnt vmcnt(0)
	v_cmp_ne_u16_sdwa vcc, v8, v59 src0_sel:BYTE_0 src1_sel:DWORD
	s_and_saveexec_b64 s[30:31], vcc
	s_cbranch_execz .LBB4_2802
; %bb.2797:                             ;   in Loop: Header=BB4_2790 Depth=3
	v_cmp_ne_u16_sdwa vcc, v8, s91 src0_sel:BYTE_0 src1_sel:DWORD
	v_bfrev_b32_e32 v0, 1
	s_and_saveexec_b64 s[34:35], vcc
	s_cbranch_execz .LBB4_2801
; %bb.2798:                             ;   in Loop: Header=BB4_2790 Depth=3
	v_and_b32_e32 v1, 0x7f, v8
	v_cmp_ne_u32_e32 vcc, s92, v1
	v_mov_b32_e32 v0, 0x7f800001
	s_and_saveexec_b64 s[36:37], vcc
	s_cbranch_execz .LBB4_2800
; %bb.2799:                             ;   in Loop: Header=BB4_2790 Depth=3
	v_and_b32_e32 v0, 7, v8
	v_ffbh_u32_e32 v0, v0
	v_min_u32_e32 v0, 32, v0
	v_lshrrev_b32_e32 v23, 3, v1
	v_subrev_u32_e32 v24, 28, v0
	v_sub_u32_e32 v0, 29, v0
	v_cmp_gt_u32_e32 vcc, 8, v1
	v_cndmask_b32_e32 v23, v23, v0, vcc
	v_cndmask_b32_e32 v0, 0, v24, vcc
	v_lshlrev_b64 v[0:1], v0, v[8:9]
	v_lshlrev_b32_e32 v0, 20, v0
	v_lshlrev_b32_e32 v1, 24, v8
	v_bfrev_b32_e32 v24, 60
	v_and_b32_e32 v0, 0x700000, v0
	v_and_b32_e32 v1, 0x80000000, v1
	v_lshl_add_u32 v23, v23, 23, v24
	v_or3_b32 v0, v1, v23, v0
.LBB4_2800:                             ;   in Loop: Header=BB4_2790 Depth=3
	s_or_b64 exec, exec, s[36:37]
.LBB4_2801:                             ;   in Loop: Header=BB4_2790 Depth=3
	s_or_b64 exec, exec, s[34:35]
.LBB4_2802:                             ;   in Loop: Header=BB4_2790 Depth=3
	s_or_b64 exec, exec, s[30:31]
	v_add_f32_e32 v22, v22, v0
	v_and_b32_sdwa v0, v22, s91 dst_sel:DWORD dst_unused:UNUSED_PAD src0_sel:BYTE_3 src1_sel:DWORD
	v_and_b32_e32 v28, 0x7f800000, v22
	v_mov_b32_e32 v29, v59
	v_and_b32_e32 v58, 0x7fffff, v22
	v_or_b32_e32 v27, 0x7e, v0
	v_cmp_ne_u64_e32 vcc, s[54:55], v[28:29]
	s_and_saveexec_b64 s[30:31], vcc
	s_xor_b64 s[34:35], exec, s[30:31]
	s_cbranch_execz .LBB4_2812
; %bb.2803:                             ;   in Loop: Header=BB4_2790 Depth=3
	v_and_b32_e32 v28, 0x7fffffff, v22
	v_mov_b32_e32 v29, v59
	v_cmp_gt_u64_e32 vcc, s[56:57], v[28:29]
	s_and_saveexec_b64 s[36:37], vcc
	s_cbranch_execz .LBB4_2811
; %bb.2804:                             ;   in Loop: Header=BB4_2790 Depth=3
	v_cmp_ne_u32_e32 vcc, 0, v22
	v_mov_b32_e32 v27, 0
	s_and_saveexec_b64 s[72:73], vcc
	s_cbranch_execz .LBB4_2810
; %bb.2805:                             ;   in Loop: Header=BB4_2790 Depth=3
	v_bfe_u32 v1, v22, 23, 8
	v_sub_u32_e32 v23, 0x79, v1
	v_cmp_gt_u32_e32 vcc, s93, v1
	v_add_u32_e32 v22, 0xffffff81, v1
	v_cndmask_b32_e32 v23, 0, v23, vcc
	v_cmp_eq_u32_e32 vcc, 0, v1
	v_mov_b32_e32 v1, 0xffffff82
	v_cndmask_b32_e32 v1, v22, v1, vcc
	v_mov_b32_e32 v22, 0x78
	v_or_b32_e32 v24, 0x800000, v58
	v_cndmask_b32_e32 v27, v23, v22, vcc
	v_cndmask_b32_e32 v58, v24, v58, vcc
	v_add_u32_e32 v22, 20, v27
	v_lshlrev_b64 v[22:23], v22, -1
	v_add_u32_e32 v24, 19, v27
	v_lshrrev_b64 v[32:33], v27, v[58:59]
	v_not_b32_e32 v23, v23
	v_not_b32_e32 v22, v22
	v_lshlrev_b64 v[30:31], v24, 1
	v_lshrrev_b32_e32 v24, 23, v32
	v_and_b32_e32 v23, 0, v23
	v_and_b32_e32 v22, v58, v22
	v_add3_u32 v28, v27, v1, v24
	v_bfe_u32 v1, v32, 20, 1
	v_add_u32_e32 v1, -1, v1
	v_cmp_eq_u64_e32 vcc, v[22:23], v[30:31]
	v_cndmask_b32_e32 v1, 0, v1, vcc
	v_add_u32_e32 v1, v1, v32
	v_and_b32_e32 v1, 0xfffff, v1
	v_add_co_u32_e32 v22, vcc, v1, v32
	v_add_u32_e32 v27, 6, v28
	v_addc_co_u32_e32 v23, vcc, 0, v33, vcc
	v_cmp_ne_u32_e32 vcc, 0, v27
                                        ; implicit-def: $vgpr24
	s_and_saveexec_b64 s[30:31], vcc
	s_xor_b64 s[30:31], exec, s[30:31]
; %bb.2806:                             ;   in Loop: Header=BB4_2790 Depth=3
	v_add_u32_e32 v1, 7, v28
	v_cmp_lt_u64_e32 vcc, s[58:59], v[22:23]
	v_cndmask_b32_e32 v24, v27, v1, vcc
	v_cndmask_b32_e64 v1, 0, 1, vcc
	v_lshrrev_b64 v[22:23], v1, v[22:23]
; %bb.2807:                             ;   in Loop: Header=BB4_2790 Depth=3
	s_andn2_saveexec_b64 vcc, s[30:31]
; %bb.2808:                             ;   in Loop: Header=BB4_2790 Depth=3
	v_bfe_u32 v24, v22, 23, 1
; %bb.2809:                             ;   in Loop: Header=BB4_2790 Depth=3
	s_or_b64 exec, exec, vcc
	v_lshrrev_b64 v[22:23], 20, v[22:23]
	v_cmp_gt_i32_e32 vcc, 16, v24
	v_cndmask_b32_e32 v23, 0, v23, vcc
	v_cndmask_b32_e32 v22, 7, v22, vcc
	v_min_i32_e32 v1, 15, v24
	v_cmp_eq_u32_e32 vcc, 0, v24
	v_cmp_eq_u64_e64 s[30:31], 0, v[22:23]
	v_lshlrev_b32_e32 v1, 3, v1
	v_and_or_b32 v1, v22, 7, v1
	s_and_b64 vcc, vcc, s[30:31]
	v_cndmask_b32_e64 v1, v1, 0, vcc
	v_or_b32_e32 v27, v1, v0
.LBB4_2810:                             ;   in Loop: Header=BB4_2790 Depth=3
	s_or_b64 exec, exec, s[72:73]
.LBB4_2811:                             ;   in Loop: Header=BB4_2790 Depth=3
	s_or_b64 exec, exec, s[36:37]
                                        ; implicit-def: $vgpr22
.LBB4_2812:                             ;   in Loop: Header=BB4_2790 Depth=3
	s_andn2_saveexec_b64 s[30:31], s[34:35]
; %bb.2813:                             ;   in Loop: Header=BB4_2790 Depth=3
	v_or_b32_sdwa v0, v22, s92 dst_sel:DWORD dst_unused:UNUSED_PAD src0_sel:BYTE_3 src1_sel:DWORD
	v_cmp_eq_u64_e32 vcc, 0, v[58:59]
	v_cndmask_b32_e32 v27, v0, v27, vcc
; %bb.2814:                             ;   in Loop: Header=BB4_2790 Depth=3
	s_or_b64 exec, exec, s[30:31]
	v_lshrrev_b16_e32 v22, 8, v12
	v_cmp_ne_u16_e32 vcc, 0, v22
	v_mov_b32_e32 v0, 0
	v_mov_b32_e32 v23, 0
	s_and_saveexec_b64 s[30:31], vcc
	s_cbranch_execz .LBB4_2820
; %bb.2815:                             ;   in Loop: Header=BB4_2790 Depth=3
	v_cmp_ne_u16_e32 vcc, s91, v22
	v_bfrev_b32_e32 v23, 1
	s_and_saveexec_b64 s[34:35], vcc
	s_cbranch_execz .LBB4_2819
; %bb.2816:                             ;   in Loop: Header=BB4_2790 Depth=3
	v_and_b32_e32 v1, 0x7f, v22
	v_cmp_ne_u32_e32 vcc, s92, v1
	v_mov_b32_e32 v23, 0x7f800001
	s_and_saveexec_b64 s[36:37], vcc
	s_cbranch_execz .LBB4_2818
; %bb.2817:                             ;   in Loop: Header=BB4_2790 Depth=3
	v_and_b32_e32 v24, 7, v22
	v_ffbh_u32_e32 v23, v24
	v_min_u32_e32 v29, 32, v23
	v_subrev_u32_e32 v23, 28, v29
	v_lshlrev_b64 v[22:23], v23, v[22:23]
	v_lshrrev_b32_e32 v28, 3, v1
	v_sub_u32_e32 v23, 29, v29
	v_and_b32_e32 v22, 7, v22
	v_cmp_gt_u32_e32 vcc, 8, v1
	v_cndmask_b32_e32 v1, v28, v23, vcc
	v_cndmask_b32_e32 v22, v24, v22, vcc
	v_lshlrev_b32_e32 v23, 16, v12
	v_bfrev_b32_e32 v24, 60
	v_lshlrev_b32_e32 v22, 20, v22
	v_and_b32_e32 v23, 0x80000000, v23
	v_lshl_add_u32 v1, v1, 23, v24
	v_or3_b32 v23, v23, v1, v22
.LBB4_2818:                             ;   in Loop: Header=BB4_2790 Depth=3
	s_or_b64 exec, exec, s[36:37]
.LBB4_2819:                             ;   in Loop: Header=BB4_2790 Depth=3
	s_or_b64 exec, exec, s[34:35]
.LBB4_2820:                             ;   in Loop: Header=BB4_2790 Depth=3
	s_or_b64 exec, exec, s[30:31]
	v_lshrrev_b16_e32 v22, 8, v8
	v_cmp_ne_u16_e32 vcc, 0, v22
	s_and_saveexec_b64 s[30:31], vcc
	s_cbranch_execz .LBB4_2826
; %bb.2821:                             ;   in Loop: Header=BB4_2790 Depth=3
	v_cmp_ne_u16_e32 vcc, s91, v22
	v_bfrev_b32_e32 v0, 1
	s_and_saveexec_b64 s[34:35], vcc
	s_cbranch_execz .LBB4_2825
; %bb.2822:                             ;   in Loop: Header=BB4_2790 Depth=3
	v_and_b32_e32 v1, 0x7f, v22
	v_cmp_ne_u32_e32 vcc, s92, v1
	v_mov_b32_e32 v0, 0x7f800001
	s_and_saveexec_b64 s[36:37], vcc
	s_cbranch_execz .LBB4_2824
; %bb.2823:                             ;   in Loop: Header=BB4_2790 Depth=3
	v_and_b32_e32 v0, 7, v22
	v_ffbh_u32_e32 v28, v0
	v_min_u32_e32 v30, 32, v28
	v_subrev_u32_e32 v28, 28, v30
	v_lshlrev_b64 v[28:29], v28, v[22:23]
	v_lshrrev_b32_e32 v24, 3, v1
	v_sub_u32_e32 v22, 29, v30
	v_and_b32_e32 v28, 7, v28
	v_cmp_gt_u32_e32 vcc, 8, v1
	v_cndmask_b32_e32 v1, v24, v22, vcc
	v_cndmask_b32_e32 v0, v0, v28, vcc
	v_lshlrev_b32_e32 v22, 16, v8
	v_bfrev_b32_e32 v24, 60
	v_lshlrev_b32_e32 v0, 20, v0
	v_and_b32_e32 v22, 0x80000000, v22
	v_lshl_add_u32 v1, v1, 23, v24
	v_or3_b32 v0, v22, v1, v0
.LBB4_2824:                             ;   in Loop: Header=BB4_2790 Depth=3
	s_or_b64 exec, exec, s[36:37]
.LBB4_2825:                             ;   in Loop: Header=BB4_2790 Depth=3
	s_or_b64 exec, exec, s[34:35]
.LBB4_2826:                             ;   in Loop: Header=BB4_2790 Depth=3
	s_or_b64 exec, exec, s[30:31]
	v_add_f32_e32 v22, v23, v0
	v_and_b32_sdwa v0, v22, s91 dst_sel:DWORD dst_unused:UNUSED_PAD src0_sel:BYTE_3 src1_sel:DWORD
	v_and_b32_e32 v30, 0x7f800000, v22
	v_mov_b32_e32 v31, v59
	v_and_b32_e32 v58, 0x7fffff, v22
	v_or_b32_e32 v28, 0x7e, v0
	v_cmp_ne_u64_e32 vcc, s[54:55], v[30:31]
	s_and_saveexec_b64 s[30:31], vcc
	s_xor_b64 s[34:35], exec, s[30:31]
	s_cbranch_execz .LBB4_2836
; %bb.2827:                             ;   in Loop: Header=BB4_2790 Depth=3
	v_and_b32_e32 v30, 0x7fffffff, v22
	v_mov_b32_e32 v31, v59
	v_cmp_gt_u64_e32 vcc, s[56:57], v[30:31]
	s_and_saveexec_b64 s[36:37], vcc
	s_cbranch_execz .LBB4_2835
; %bb.2828:                             ;   in Loop: Header=BB4_2790 Depth=3
	v_cmp_ne_u32_e32 vcc, 0, v22
	v_mov_b32_e32 v28, 0
	s_and_saveexec_b64 s[72:73], vcc
	s_cbranch_execz .LBB4_2834
; %bb.2829:                             ;   in Loop: Header=BB4_2790 Depth=3
	v_bfe_u32 v1, v22, 23, 8
	v_sub_u32_e32 v23, 0x79, v1
	v_cmp_gt_u32_e32 vcc, s93, v1
	v_add_u32_e32 v22, 0xffffff81, v1
	v_cndmask_b32_e32 v23, 0, v23, vcc
	v_cmp_eq_u32_e32 vcc, 0, v1
	v_mov_b32_e32 v1, 0xffffff82
	v_cndmask_b32_e32 v1, v22, v1, vcc
	v_mov_b32_e32 v22, 0x78
	v_or_b32_e32 v24, 0x800000, v58
	v_cndmask_b32_e32 v28, v23, v22, vcc
	v_cndmask_b32_e32 v58, v24, v58, vcc
	v_add_u32_e32 v22, 20, v28
	v_lshlrev_b64 v[22:23], v22, -1
	v_add_u32_e32 v24, 19, v28
	v_lshrrev_b64 v[32:33], v28, v[58:59]
	v_not_b32_e32 v23, v23
	v_not_b32_e32 v22, v22
	v_lshlrev_b64 v[30:31], v24, 1
	v_lshrrev_b32_e32 v24, 23, v32
	v_and_b32_e32 v23, 0, v23
	v_and_b32_e32 v22, v58, v22
	v_add3_u32 v29, v28, v1, v24
	v_bfe_u32 v1, v32, 20, 1
	v_add_u32_e32 v1, -1, v1
	v_cmp_eq_u64_e32 vcc, v[22:23], v[30:31]
	v_cndmask_b32_e32 v1, 0, v1, vcc
	v_add_u32_e32 v1, v1, v32
	v_and_b32_e32 v1, 0xfffff, v1
	v_add_co_u32_e32 v22, vcc, v1, v32
	v_add_u32_e32 v28, 6, v29
	v_addc_co_u32_e32 v23, vcc, 0, v33, vcc
	v_cmp_ne_u32_e32 vcc, 0, v28
                                        ; implicit-def: $vgpr24
	s_and_saveexec_b64 s[30:31], vcc
	s_xor_b64 s[30:31], exec, s[30:31]
; %bb.2830:                             ;   in Loop: Header=BB4_2790 Depth=3
	v_add_u32_e32 v1, 7, v29
	v_cmp_lt_u64_e32 vcc, s[58:59], v[22:23]
	v_cndmask_b32_e32 v24, v28, v1, vcc
	v_cndmask_b32_e64 v1, 0, 1, vcc
	v_lshrrev_b64 v[22:23], v1, v[22:23]
; %bb.2831:                             ;   in Loop: Header=BB4_2790 Depth=3
	s_andn2_saveexec_b64 vcc, s[30:31]
; %bb.2832:                             ;   in Loop: Header=BB4_2790 Depth=3
	v_bfe_u32 v24, v22, 23, 1
; %bb.2833:                             ;   in Loop: Header=BB4_2790 Depth=3
	s_or_b64 exec, exec, vcc
	v_lshrrev_b64 v[22:23], 20, v[22:23]
	v_cmp_gt_i32_e32 vcc, 16, v24
	v_cndmask_b32_e32 v23, 0, v23, vcc
	v_cndmask_b32_e32 v22, 7, v22, vcc
	v_min_i32_e32 v1, 15, v24
	v_cmp_eq_u32_e32 vcc, 0, v24
	v_cmp_eq_u64_e64 s[30:31], 0, v[22:23]
	v_lshlrev_b32_e32 v1, 3, v1
	v_and_or_b32 v1, v22, 7, v1
	s_and_b64 vcc, vcc, s[30:31]
	v_cndmask_b32_e64 v1, v1, 0, vcc
	v_or_b32_e32 v28, v1, v0
.LBB4_2834:                             ;   in Loop: Header=BB4_2790 Depth=3
	s_or_b64 exec, exec, s[72:73]
.LBB4_2835:                             ;   in Loop: Header=BB4_2790 Depth=3
	s_or_b64 exec, exec, s[36:37]
                                        ; implicit-def: $vgpr22
.LBB4_2836:                             ;   in Loop: Header=BB4_2790 Depth=3
	s_andn2_saveexec_b64 s[30:31], s[34:35]
; %bb.2837:                             ;   in Loop: Header=BB4_2790 Depth=3
	v_or_b32_sdwa v0, v22, s92 dst_sel:DWORD dst_unused:UNUSED_PAD src0_sel:BYTE_3 src1_sel:DWORD
	v_cmp_eq_u64_e32 vcc, 0, v[58:59]
	v_cndmask_b32_e32 v28, v0, v28, vcc
; %bb.2838:                             ;   in Loop: Header=BB4_2790 Depth=3
	s_or_b64 exec, exec, s[30:31]
	v_lshrrev_b32_e32 v22, 16, v12
	v_cmp_ne_u16_sdwa vcc, v22, v59 src0_sel:BYTE_0 src1_sel:DWORD
	v_mov_b32_e32 v0, 0
	v_mov_b32_e32 v23, 0
	s_and_saveexec_b64 s[30:31], vcc
	s_cbranch_execz .LBB4_2844
; %bb.2839:                             ;   in Loop: Header=BB4_2790 Depth=3
	v_cmp_ne_u16_sdwa vcc, v22, s91 src0_sel:BYTE_0 src1_sel:DWORD
	v_bfrev_b32_e32 v23, 1
	s_and_saveexec_b64 s[34:35], vcc
	s_cbranch_execz .LBB4_2843
; %bb.2840:                             ;   in Loop: Header=BB4_2790 Depth=3
	v_bfe_u32 v1, v12, 16, 7
	v_cmp_ne_u32_e32 vcc, s92, v1
	v_mov_b32_e32 v23, 0x7f800001
	s_and_saveexec_b64 s[36:37], vcc
	s_cbranch_execz .LBB4_2842
; %bb.2841:                             ;   in Loop: Header=BB4_2790 Depth=3
	v_and_b32_e32 v23, 7, v22
	v_ffbh_u32_e32 v29, v23
	v_min_u32_e32 v29, 32, v29
	v_subrev_u32_e32 v30, 28, v29
	v_lshlrev_b64 v[30:31], v30, v[22:23]
	v_lshrrev_b32_e32 v24, 3, v1
	v_sub_u32_e32 v29, 29, v29
	v_and_b32_e32 v30, 7, v30
	v_cmp_gt_u32_e32 vcc, 8, v1
	v_cndmask_b32_e32 v1, v24, v29, vcc
	v_cndmask_b32_e32 v23, v23, v30, vcc
	v_lshlrev_b32_e32 v22, 24, v22
	v_bfrev_b32_e32 v24, 60
	v_lshlrev_b32_e32 v23, 20, v23
	v_and_b32_e32 v22, 0x80000000, v22
	v_lshl_add_u32 v1, v1, 23, v24
	v_or3_b32 v23, v22, v1, v23
.LBB4_2842:                             ;   in Loop: Header=BB4_2790 Depth=3
	s_or_b64 exec, exec, s[36:37]
.LBB4_2843:                             ;   in Loop: Header=BB4_2790 Depth=3
	s_or_b64 exec, exec, s[34:35]
.LBB4_2844:                             ;   in Loop: Header=BB4_2790 Depth=3
	s_or_b64 exec, exec, s[30:31]
	v_lshrrev_b32_e32 v22, 16, v8
	v_cmp_ne_u16_sdwa vcc, v22, v59 src0_sel:BYTE_0 src1_sel:DWORD
	s_and_saveexec_b64 s[30:31], vcc
	s_cbranch_execz .LBB4_2850
; %bb.2845:                             ;   in Loop: Header=BB4_2790 Depth=3
	v_cmp_ne_u16_sdwa vcc, v22, s91 src0_sel:BYTE_0 src1_sel:DWORD
	v_bfrev_b32_e32 v0, 1
	s_and_saveexec_b64 s[34:35], vcc
	s_cbranch_execz .LBB4_2849
; %bb.2846:                             ;   in Loop: Header=BB4_2790 Depth=3
	v_bfe_u32 v1, v8, 16, 7
	v_cmp_ne_u32_e32 vcc, s92, v1
	v_mov_b32_e32 v0, 0x7f800001
	s_and_saveexec_b64 s[36:37], vcc
	s_cbranch_execz .LBB4_2848
; %bb.2847:                             ;   in Loop: Header=BB4_2790 Depth=3
	v_and_b32_e32 v0, 7, v22
	v_ffbh_u32_e32 v29, v0
	v_min_u32_e32 v29, 32, v29
	v_subrev_u32_e32 v30, 28, v29
	v_lshlrev_b64 v[30:31], v30, v[22:23]
	v_lshrrev_b32_e32 v24, 3, v1
	v_sub_u32_e32 v22, 29, v29
	v_and_b32_e32 v29, 7, v30
	v_cmp_gt_u32_e32 vcc, 8, v1
	v_cndmask_b32_e32 v1, v24, v22, vcc
	v_cndmask_b32_e32 v0, v0, v29, vcc
	v_lshlrev_b32_e32 v22, 8, v8
	v_bfrev_b32_e32 v24, 60
	v_lshlrev_b32_e32 v0, 20, v0
	v_and_b32_e32 v22, 0x80000000, v22
	v_lshl_add_u32 v1, v1, 23, v24
	v_or3_b32 v0, v22, v1, v0
.LBB4_2848:                             ;   in Loop: Header=BB4_2790 Depth=3
	s_or_b64 exec, exec, s[36:37]
.LBB4_2849:                             ;   in Loop: Header=BB4_2790 Depth=3
	s_or_b64 exec, exec, s[34:35]
.LBB4_2850:                             ;   in Loop: Header=BB4_2790 Depth=3
	s_or_b64 exec, exec, s[30:31]
	v_add_f32_e32 v22, v23, v0
	v_and_b32_sdwa v0, v22, s91 dst_sel:DWORD dst_unused:UNUSED_PAD src0_sel:BYTE_3 src1_sel:DWORD
	v_and_b32_e32 v30, 0x7f800000, v22
	v_mov_b32_e32 v31, v59
	v_and_b32_e32 v58, 0x7fffff, v22
	v_or_b32_e32 v29, 0x7e, v0
	v_cmp_ne_u64_e32 vcc, s[54:55], v[30:31]
	s_and_saveexec_b64 s[30:31], vcc
	s_xor_b64 s[34:35], exec, s[30:31]
	s_cbranch_execz .LBB4_2860
; %bb.2851:                             ;   in Loop: Header=BB4_2790 Depth=3
	v_and_b32_e32 v30, 0x7fffffff, v22
	v_mov_b32_e32 v31, v59
	v_cmp_gt_u64_e32 vcc, s[56:57], v[30:31]
	s_and_saveexec_b64 s[36:37], vcc
	s_cbranch_execz .LBB4_2859
; %bb.2852:                             ;   in Loop: Header=BB4_2790 Depth=3
	v_cmp_ne_u32_e32 vcc, 0, v22
	v_mov_b32_e32 v29, 0
	s_and_saveexec_b64 s[72:73], vcc
	s_cbranch_execz .LBB4_2858
; %bb.2853:                             ;   in Loop: Header=BB4_2790 Depth=3
	v_bfe_u32 v1, v22, 23, 8
	v_sub_u32_e32 v23, 0x79, v1
	v_cmp_gt_u32_e32 vcc, s93, v1
	v_add_u32_e32 v22, 0xffffff81, v1
	v_cndmask_b32_e32 v23, 0, v23, vcc
	v_cmp_eq_u32_e32 vcc, 0, v1
	v_mov_b32_e32 v1, 0xffffff82
	v_cndmask_b32_e32 v1, v22, v1, vcc
	v_mov_b32_e32 v22, 0x78
	v_or_b32_e32 v24, 0x800000, v58
	v_cndmask_b32_e32 v29, v23, v22, vcc
	v_cndmask_b32_e32 v58, v24, v58, vcc
	v_add_u32_e32 v22, 20, v29
	v_lshlrev_b64 v[22:23], v22, -1
	v_add_u32_e32 v24, 19, v29
	v_lshrrev_b64 v[34:35], v29, v[58:59]
	v_not_b32_e32 v23, v23
	v_not_b32_e32 v22, v22
	v_lshlrev_b64 v[32:33], v24, 1
	v_lshrrev_b32_e32 v24, 23, v34
	v_and_b32_e32 v23, 0, v23
	v_and_b32_e32 v22, v58, v22
	v_add3_u32 v30, v29, v1, v24
	v_bfe_u32 v1, v34, 20, 1
	v_add_u32_e32 v1, -1, v1
	v_cmp_eq_u64_e32 vcc, v[22:23], v[32:33]
	v_cndmask_b32_e32 v1, 0, v1, vcc
	v_add_u32_e32 v1, v1, v34
	v_and_b32_e32 v1, 0xfffff, v1
	v_add_co_u32_e32 v22, vcc, v1, v34
	v_add_u32_e32 v29, 6, v30
	v_addc_co_u32_e32 v23, vcc, 0, v35, vcc
	v_cmp_ne_u32_e32 vcc, 0, v29
                                        ; implicit-def: $vgpr24
	s_and_saveexec_b64 s[30:31], vcc
	s_xor_b64 s[30:31], exec, s[30:31]
; %bb.2854:                             ;   in Loop: Header=BB4_2790 Depth=3
	v_add_u32_e32 v1, 7, v30
	v_cmp_lt_u64_e32 vcc, s[58:59], v[22:23]
	v_cndmask_b32_e32 v24, v29, v1, vcc
	v_cndmask_b32_e64 v1, 0, 1, vcc
	v_lshrrev_b64 v[22:23], v1, v[22:23]
; %bb.2855:                             ;   in Loop: Header=BB4_2790 Depth=3
	s_andn2_saveexec_b64 vcc, s[30:31]
; %bb.2856:                             ;   in Loop: Header=BB4_2790 Depth=3
	v_bfe_u32 v24, v22, 23, 1
; %bb.2857:                             ;   in Loop: Header=BB4_2790 Depth=3
	s_or_b64 exec, exec, vcc
	v_lshrrev_b64 v[22:23], 20, v[22:23]
	v_cmp_gt_i32_e32 vcc, 16, v24
	v_cndmask_b32_e32 v23, 0, v23, vcc
	v_cndmask_b32_e32 v22, 7, v22, vcc
	v_min_i32_e32 v1, 15, v24
	v_cmp_eq_u32_e32 vcc, 0, v24
	v_cmp_eq_u64_e64 s[30:31], 0, v[22:23]
	v_lshlrev_b32_e32 v1, 3, v1
	v_and_or_b32 v1, v22, 7, v1
	s_and_b64 vcc, vcc, s[30:31]
	v_cndmask_b32_e64 v1, v1, 0, vcc
	v_or_b32_e32 v29, v1, v0
.LBB4_2858:                             ;   in Loop: Header=BB4_2790 Depth=3
	s_or_b64 exec, exec, s[72:73]
.LBB4_2859:                             ;   in Loop: Header=BB4_2790 Depth=3
	s_or_b64 exec, exec, s[36:37]
                                        ; implicit-def: $vgpr22
.LBB4_2860:                             ;   in Loop: Header=BB4_2790 Depth=3
	s_andn2_saveexec_b64 s[30:31], s[34:35]
; %bb.2861:                             ;   in Loop: Header=BB4_2790 Depth=3
	v_or_b32_sdwa v0, v22, s92 dst_sel:DWORD dst_unused:UNUSED_PAD src0_sel:BYTE_3 src1_sel:DWORD
	v_cmp_eq_u64_e32 vcc, 0, v[58:59]
	v_cndmask_b32_e32 v29, v0, v29, vcc
; %bb.2862:                             ;   in Loop: Header=BB4_2790 Depth=3
	s_or_b64 exec, exec, s[30:31]
	v_cmp_lt_u32_e32 vcc, s45, v12
	v_mov_b32_e32 v0, 0
	v_mov_b32_e32 v23, 0
	s_and_saveexec_b64 s[30:31], vcc
	s_cbranch_execz .LBB4_2868
; %bb.2863:                             ;   in Loop: Header=BB4_2790 Depth=3
	v_lshrrev_b32_e32 v22, 24, v12
	v_cmp_ne_u32_e32 vcc, s91, v22
	v_bfrev_b32_e32 v23, 1
	s_and_saveexec_b64 s[34:35], vcc
	s_cbranch_execz .LBB4_2867
; %bb.2864:                             ;   in Loop: Header=BB4_2790 Depth=3
	v_bfe_u32 v1, v12, 24, 7
	v_cmp_ne_u32_e32 vcc, s92, v1
	v_mov_b32_e32 v23, 0x7f800001
	s_and_saveexec_b64 s[36:37], vcc
	s_cbranch_execz .LBB4_2866
; %bb.2865:                             ;   in Loop: Header=BB4_2790 Depth=3
	v_and_b32_e32 v23, 7, v22
	v_ffbh_u32_e32 v30, v23
	v_min_u32_e32 v32, 32, v30
	v_subrev_u32_e32 v30, 28, v32
	v_lshlrev_b64 v[30:31], v30, v[22:23]
	v_lshrrev_b32_e32 v24, 3, v1
	v_sub_u32_e32 v31, 29, v32
	v_and_b32_e32 v30, 7, v30
	v_cmp_gt_u32_e32 vcc, 8, v1
	v_cndmask_b32_e32 v1, v24, v31, vcc
	v_cndmask_b32_e32 v23, v23, v30, vcc
	v_lshlrev_b32_e32 v22, 24, v22
	v_bfrev_b32_e32 v24, 60
	v_lshlrev_b32_e32 v23, 20, v23
	v_and_b32_e32 v22, 0x80000000, v22
	v_lshl_add_u32 v1, v1, 23, v24
	v_or3_b32 v23, v22, v1, v23
.LBB4_2866:                             ;   in Loop: Header=BB4_2790 Depth=3
	s_or_b64 exec, exec, s[36:37]
.LBB4_2867:                             ;   in Loop: Header=BB4_2790 Depth=3
	s_or_b64 exec, exec, s[34:35]
.LBB4_2868:                             ;   in Loop: Header=BB4_2790 Depth=3
	s_or_b64 exec, exec, s[30:31]
	v_cmp_lt_u32_e32 vcc, s45, v8
	s_and_saveexec_b64 s[30:31], vcc
	s_cbranch_execz .LBB4_2874
; %bb.2869:                             ;   in Loop: Header=BB4_2790 Depth=3
	v_lshrrev_b32_e32 v22, 24, v8
	v_cmp_ne_u32_e32 vcc, s91, v22
	v_bfrev_b32_e32 v0, 1
	s_and_saveexec_b64 s[34:35], vcc
	s_cbranch_execz .LBB4_2873
; %bb.2870:                             ;   in Loop: Header=BB4_2790 Depth=3
	v_bfe_u32 v1, v8, 24, 7
	v_cmp_ne_u32_e32 vcc, s92, v1
	v_mov_b32_e32 v0, 0x7f800001
	s_and_saveexec_b64 s[36:37], vcc
	s_cbranch_execz .LBB4_2872
; %bb.2871:                             ;   in Loop: Header=BB4_2790 Depth=3
	v_and_b32_e32 v0, 7, v22
	v_ffbh_u32_e32 v30, v0
	v_min_u32_e32 v32, 32, v30
	v_subrev_u32_e32 v30, 28, v32
	v_lshlrev_b64 v[30:31], v30, v[22:23]
	v_lshrrev_b32_e32 v24, 3, v1
	v_sub_u32_e32 v31, 29, v32
	v_and_b32_e32 v30, 7, v30
	v_cmp_gt_u32_e32 vcc, 8, v1
	v_cndmask_b32_e32 v1, v24, v31, vcc
	v_cndmask_b32_e32 v0, v0, v30, vcc
	v_lshlrev_b32_e32 v22, 24, v22
	v_bfrev_b32_e32 v24, 60
	v_lshlrev_b32_e32 v0, 20, v0
	v_and_b32_e32 v22, 0x80000000, v22
	v_lshl_add_u32 v1, v1, 23, v24
	v_or3_b32 v0, v22, v1, v0
.LBB4_2872:                             ;   in Loop: Header=BB4_2790 Depth=3
	s_or_b64 exec, exec, s[36:37]
.LBB4_2873:                             ;   in Loop: Header=BB4_2790 Depth=3
	s_or_b64 exec, exec, s[34:35]
.LBB4_2874:                             ;   in Loop: Header=BB4_2790 Depth=3
	s_or_b64 exec, exec, s[30:31]
	v_add_f32_e32 v22, v23, v0
	v_and_b32_sdwa v24, v22, s91 dst_sel:DWORD dst_unused:UNUSED_PAD src0_sel:BYTE_3 src1_sel:DWORD
	v_and_b32_e32 v30, 0x7f800000, v22
	v_mov_b32_e32 v31, v59
	v_and_b32_e32 v58, 0x7fffff, v22
	v_or_b32_e32 v0, 0x7e, v24
	v_cmp_ne_u64_e32 vcc, s[54:55], v[30:31]
	s_and_saveexec_b64 s[30:31], vcc
	s_xor_b64 s[34:35], exec, s[30:31]
	s_cbranch_execz .LBB4_2884
; %bb.2875:                             ;   in Loop: Header=BB4_2790 Depth=3
	v_and_b32_e32 v30, 0x7fffffff, v22
	v_mov_b32_e32 v31, v59
	v_cmp_gt_u64_e32 vcc, s[56:57], v[30:31]
	s_and_saveexec_b64 s[36:37], vcc
	s_cbranch_execz .LBB4_2883
; %bb.2876:                             ;   in Loop: Header=BB4_2790 Depth=3
	v_cmp_ne_u32_e32 vcc, 0, v22
	v_mov_b32_e32 v0, 0
	s_and_saveexec_b64 s[72:73], vcc
	s_cbranch_execz .LBB4_2882
; %bb.2877:                             ;   in Loop: Header=BB4_2790 Depth=3
	v_bfe_u32 v0, v22, 23, 8
	v_sub_u32_e32 v22, 0x79, v0
	v_cmp_gt_u32_e32 vcc, s93, v0
	v_add_u32_e32 v1, 0xffffff81, v0
	v_cndmask_b32_e32 v22, 0, v22, vcc
	v_cmp_eq_u32_e32 vcc, 0, v0
	v_mov_b32_e32 v0, 0xffffff82
	v_cndmask_b32_e32 v30, v1, v0, vcc
	v_mov_b32_e32 v0, 0x78
	v_or_b32_e32 v23, 0x800000, v58
	v_cndmask_b32_e32 v31, v22, v0, vcc
	v_cndmask_b32_e32 v58, v23, v58, vcc
	v_add_u32_e32 v0, 20, v31
	v_lshlrev_b64 v[0:1], v0, -1
	v_lshrrev_b64 v[32:33], v31, v[58:59]
	v_not_b32_e32 v1, v1
	v_not_b32_e32 v0, v0
	v_add_u32_e32 v22, 19, v31
	v_lshrrev_b32_e32 v34, 23, v32
	v_and_b32_e32 v1, 0, v1
	v_and_b32_e32 v0, v58, v0
	v_lshlrev_b64 v[22:23], v22, 1
	v_add3_u32 v31, v31, v30, v34
	v_bfe_u32 v34, v32, 20, 1
	v_add_u32_e32 v34, -1, v34
	v_cmp_eq_u64_e32 vcc, v[0:1], v[22:23]
	v_cndmask_b32_e32 v0, 0, v34, vcc
	v_add_u32_e32 v0, v0, v32
	v_and_b32_e32 v0, 0xfffff, v0
	v_add_co_u32_e32 v22, vcc, v0, v32
	v_add_u32_e32 v30, 6, v31
	v_addc_co_u32_e32 v23, vcc, 0, v33, vcc
	v_cmp_ne_u32_e32 vcc, 0, v30
                                        ; implicit-def: $vgpr0
	s_and_saveexec_b64 s[30:31], vcc
	s_xor_b64 s[30:31], exec, s[30:31]
; %bb.2878:                             ;   in Loop: Header=BB4_2790 Depth=3
	v_cmp_lt_u64_e32 vcc, s[58:59], v[22:23]
	v_add_u32_e32 v0, 7, v31
	v_cndmask_b32_e64 v1, 0, 1, vcc
	v_cndmask_b32_e32 v0, v30, v0, vcc
	v_lshrrev_b64 v[22:23], v1, v[22:23]
; %bb.2879:                             ;   in Loop: Header=BB4_2790 Depth=3
	s_andn2_saveexec_b64 vcc, s[30:31]
; %bb.2880:                             ;   in Loop: Header=BB4_2790 Depth=3
	v_bfe_u32 v0, v22, 23, 1
; %bb.2881:                             ;   in Loop: Header=BB4_2790 Depth=3
	s_or_b64 exec, exec, vcc
	v_lshrrev_b64 v[22:23], 20, v[22:23]
	v_cmp_gt_i32_e32 vcc, 16, v0
	v_cndmask_b32_e32 v23, 0, v23, vcc
	v_cndmask_b32_e32 v22, 7, v22, vcc
	v_cmp_eq_u32_e32 vcc, 0, v0
	v_min_i32_e32 v0, 15, v0
	v_cmp_eq_u64_e64 s[30:31], 0, v[22:23]
	v_lshlrev_b32_e32 v0, 3, v0
	v_and_or_b32 v0, v22, 7, v0
	s_and_b64 vcc, vcc, s[30:31]
	v_cndmask_b32_e64 v0, v0, 0, vcc
	v_or_b32_e32 v0, v0, v24
.LBB4_2882:                             ;   in Loop: Header=BB4_2790 Depth=3
	s_or_b64 exec, exec, s[72:73]
.LBB4_2883:                             ;   in Loop: Header=BB4_2790 Depth=3
	s_or_b64 exec, exec, s[36:37]
                                        ; implicit-def: $vgpr22
.LBB4_2884:                             ;   in Loop: Header=BB4_2790 Depth=3
	s_andn2_saveexec_b64 s[30:31], s[34:35]
; %bb.2885:                             ;   in Loop: Header=BB4_2790 Depth=3
	v_or_b32_sdwa v1, v22, s92 dst_sel:DWORD dst_unused:UNUSED_PAD src0_sel:BYTE_3 src1_sel:DWORD
	v_cmp_eq_u64_e32 vcc, 0, v[58:59]
	v_cndmask_b32_e32 v0, v1, v0, vcc
; %bb.2886:                             ;   in Loop: Header=BB4_2790 Depth=3
	s_or_b64 exec, exec, s[30:31]
	v_mov_b32_e32 v58, v13
	v_cmp_ne_u16_sdwa vcc, v13, v59 src0_sel:BYTE_0 src1_sel:DWORD
	v_mov_b32_e32 v23, 0
	v_mov_b32_e32 v22, 0
	s_and_saveexec_b64 s[30:31], vcc
	s_cbranch_execz .LBB4_2892
; %bb.2887:                             ;   in Loop: Header=BB4_2790 Depth=3
	v_cmp_ne_u16_sdwa vcc, v13, s91 src0_sel:BYTE_0 src1_sel:DWORD
	v_bfrev_b32_e32 v22, 1
	s_and_saveexec_b64 s[34:35], vcc
	s_cbranch_execz .LBB4_2891
; %bb.2888:                             ;   in Loop: Header=BB4_2790 Depth=3
	v_and_b32_e32 v1, 0x7f, v13
	v_cmp_ne_u32_e32 vcc, s92, v1
	v_mov_b32_e32 v22, 0x7f800001
	s_and_saveexec_b64 s[36:37], vcc
	s_cbranch_execz .LBB4_2890
; %bb.2889:                             ;   in Loop: Header=BB4_2790 Depth=3
	v_and_b32_e32 v22, 7, v13
	v_ffbh_u32_e32 v22, v22
	v_min_u32_e32 v22, 32, v22
	v_lshrrev_b32_e32 v24, 3, v1
	v_subrev_u32_e32 v30, 28, v22
	v_sub_u32_e32 v22, 29, v22
	v_cmp_gt_u32_e32 vcc, 8, v1
	v_cndmask_b32_e32 v1, v24, v22, vcc
	v_cndmask_b32_e32 v22, 0, v30, vcc
	v_lshlrev_b64 v[30:31], v22, v[58:59]
	v_lshlrev_b32_e32 v22, 20, v30
	v_lshlrev_b32_e32 v24, 24, v58
	v_bfrev_b32_e32 v30, 60
	v_and_b32_e32 v22, 0x700000, v22
	v_and_b32_e32 v24, 0x80000000, v24
	v_lshl_add_u32 v1, v1, 23, v30
	v_or3_b32 v22, v24, v1, v22
.LBB4_2890:                             ;   in Loop: Header=BB4_2790 Depth=3
	s_or_b64 exec, exec, s[36:37]
.LBB4_2891:                             ;   in Loop: Header=BB4_2790 Depth=3
	s_or_b64 exec, exec, s[34:35]
.LBB4_2892:                             ;   in Loop: Header=BB4_2790 Depth=3
	s_or_b64 exec, exec, s[30:31]
	v_cmp_ne_u16_sdwa vcc, v9, v59 src0_sel:BYTE_0 src1_sel:DWORD
	s_and_saveexec_b64 s[30:31], vcc
	s_cbranch_execz .LBB4_2898
; %bb.2893:                             ;   in Loop: Header=BB4_2790 Depth=3
	v_cmp_ne_u16_sdwa vcc, v9, s91 src0_sel:BYTE_0 src1_sel:DWORD
	v_bfrev_b32_e32 v23, 1
	s_and_saveexec_b64 s[34:35], vcc
	s_cbranch_execz .LBB4_2897
; %bb.2894:                             ;   in Loop: Header=BB4_2790 Depth=3
	v_and_b32_e32 v1, 0x7f, v9
	v_cmp_ne_u32_e32 vcc, s92, v1
	v_mov_b32_e32 v23, 0x7f800001
	s_and_saveexec_b64 s[36:37], vcc
	s_cbranch_execz .LBB4_2896
; %bb.2895:                             ;   in Loop: Header=BB4_2790 Depth=3
	v_and_b32_e32 v23, 7, v9
	v_ffbh_u32_e32 v23, v23
	v_min_u32_e32 v23, 32, v23
	v_lshrrev_b32_e32 v24, 3, v1
	v_subrev_u32_e32 v32, 28, v23
	v_sub_u32_e32 v23, 29, v23
	v_cmp_gt_u32_e32 vcc, 8, v1
	v_mov_b32_e32 v30, v9
	v_mov_b32_e32 v31, v59
	v_cndmask_b32_e32 v1, v24, v23, vcc
	v_cndmask_b32_e32 v23, 0, v32, vcc
	v_lshlrev_b64 v[32:33], v23, v[30:31]
	v_lshlrev_b32_e32 v23, 20, v32
	v_lshlrev_b32_e32 v24, 24, v30
	v_bfrev_b32_e32 v30, 60
	v_and_b32_e32 v23, 0x700000, v23
	v_and_b32_e32 v24, 0x80000000, v24
	v_lshl_add_u32 v1, v1, 23, v30
	v_or3_b32 v23, v24, v1, v23
.LBB4_2896:                             ;   in Loop: Header=BB4_2790 Depth=3
	s_or_b64 exec, exec, s[36:37]
.LBB4_2897:                             ;   in Loop: Header=BB4_2790 Depth=3
	s_or_b64 exec, exec, s[34:35]
.LBB4_2898:                             ;   in Loop: Header=BB4_2790 Depth=3
	s_or_b64 exec, exec, s[30:31]
	v_add_f32_e32 v31, v22, v23
	v_and_b32_sdwa v24, v31, s91 dst_sel:DWORD dst_unused:UNUSED_PAD src0_sel:BYTE_3 src1_sel:DWORD
	v_and_b32_e32 v32, 0x7f800000, v31
	v_mov_b32_e32 v33, v59
	v_and_b32_e32 v22, 0x7fffff, v31
	v_mov_b32_e32 v23, v59
	v_or_b32_e32 v30, 0x7e, v24
	v_cmp_ne_u64_e32 vcc, s[54:55], v[32:33]
	s_and_saveexec_b64 s[30:31], vcc
	s_xor_b64 s[34:35], exec, s[30:31]
	s_cbranch_execz .LBB4_2908
; %bb.2899:                             ;   in Loop: Header=BB4_2790 Depth=3
	v_and_b32_e32 v32, 0x7fffffff, v31
	v_mov_b32_e32 v33, v59
	v_cmp_gt_u64_e32 vcc, s[56:57], v[32:33]
	s_and_saveexec_b64 s[36:37], vcc
	s_cbranch_execz .LBB4_2907
; %bb.2900:                             ;   in Loop: Header=BB4_2790 Depth=3
	v_cmp_ne_u32_e32 vcc, 0, v31
	v_mov_b32_e32 v30, 0
	s_and_saveexec_b64 s[72:73], vcc
	s_cbranch_execz .LBB4_2906
; %bb.2901:                             ;   in Loop: Header=BB4_2790 Depth=3
	v_bfe_u32 v1, v31, 23, 8
	v_sub_u32_e32 v31, 0x79, v1
	v_cmp_gt_u32_e32 vcc, s93, v1
	v_add_u32_e32 v30, 0xffffff81, v1
	v_cndmask_b32_e32 v31, 0, v31, vcc
	v_cmp_eq_u32_e32 vcc, 0, v1
	v_mov_b32_e32 v1, 0xffffff82
	v_cndmask_b32_e32 v1, v30, v1, vcc
	v_mov_b32_e32 v30, 0x78
	v_cndmask_b32_e32 v36, v31, v30, vcc
	v_add_u32_e32 v30, 20, v36
	v_or_b32_e32 v32, 0x800000, v22
	v_lshlrev_b64 v[30:31], v30, -1
	v_cndmask_b32_e32 v22, v32, v22, vcc
	v_not_b32_e32 v30, v30
	v_and_b32_e32 v32, v22, v30
	v_add_u32_e32 v30, 19, v36
	v_lshrrev_b64 v[22:23], v36, v[22:23]
	v_not_b32_e32 v31, v31
	v_lshlrev_b64 v[34:35], v30, 1
	v_lshrrev_b32_e32 v30, 23, v22
	v_and_b32_e32 v33, 0, v31
	v_add3_u32 v36, v36, v1, v30
	v_bfe_u32 v1, v22, 20, 1
	v_add_u32_e32 v1, -1, v1
	v_cmp_eq_u64_e32 vcc, v[32:33], v[34:35]
	v_cndmask_b32_e32 v1, 0, v1, vcc
	v_add_u32_e32 v1, v1, v22
	v_and_b32_e32 v1, 0xfffff, v1
	v_add_co_u32_e32 v22, vcc, v1, v22
	v_add_u32_e32 v31, 6, v36
	v_addc_co_u32_e32 v23, vcc, 0, v23, vcc
	v_cmp_ne_u32_e32 vcc, 0, v31
                                        ; implicit-def: $vgpr30
	s_and_saveexec_b64 s[30:31], vcc
	s_xor_b64 s[30:31], exec, s[30:31]
; %bb.2902:                             ;   in Loop: Header=BB4_2790 Depth=3
	v_add_u32_e32 v1, 7, v36
	v_cmp_lt_u64_e32 vcc, s[58:59], v[22:23]
	v_cndmask_b32_e32 v30, v31, v1, vcc
	v_cndmask_b32_e64 v1, 0, 1, vcc
	v_lshrrev_b64 v[22:23], v1, v[22:23]
; %bb.2903:                             ;   in Loop: Header=BB4_2790 Depth=3
	s_andn2_saveexec_b64 vcc, s[30:31]
; %bb.2904:                             ;   in Loop: Header=BB4_2790 Depth=3
	v_bfe_u32 v30, v22, 23, 1
; %bb.2905:                             ;   in Loop: Header=BB4_2790 Depth=3
	s_or_b64 exec, exec, vcc
	v_lshrrev_b64 v[22:23], 20, v[22:23]
	v_cmp_gt_i32_e32 vcc, 16, v30
	v_cndmask_b32_e32 v23, 0, v23, vcc
	v_cndmask_b32_e32 v22, 7, v22, vcc
	v_min_i32_e32 v1, 15, v30
	v_cmp_eq_u32_e32 vcc, 0, v30
	v_cmp_eq_u64_e64 s[30:31], 0, v[22:23]
	v_lshlrev_b32_e32 v1, 3, v1
	v_and_or_b32 v1, v22, 7, v1
	s_and_b64 vcc, vcc, s[30:31]
	v_cndmask_b32_e64 v1, v1, 0, vcc
	v_or_b32_e32 v30, v1, v24
.LBB4_2906:                             ;   in Loop: Header=BB4_2790 Depth=3
	s_or_b64 exec, exec, s[72:73]
.LBB4_2907:                             ;   in Loop: Header=BB4_2790 Depth=3
	s_or_b64 exec, exec, s[36:37]
                                        ; implicit-def: $vgpr31
                                        ; implicit-def: $vgpr22_vgpr23
.LBB4_2908:                             ;   in Loop: Header=BB4_2790 Depth=3
	s_andn2_saveexec_b64 s[30:31], s[34:35]
; %bb.2909:                             ;   in Loop: Header=BB4_2790 Depth=3
	v_or_b32_sdwa v1, v31, s92 dst_sel:DWORD dst_unused:UNUSED_PAD src0_sel:BYTE_3 src1_sel:DWORD
	v_cmp_eq_u64_e32 vcc, 0, v[22:23]
	v_cndmask_b32_e32 v30, v1, v30, vcc
; %bb.2910:                             ;   in Loop: Header=BB4_2790 Depth=3
	s_or_b64 exec, exec, s[30:31]
	v_lshrrev_b16_e32 v22, 8, v58
	v_cmp_ne_u16_e32 vcc, 0, v22
	v_mov_b32_e32 v23, 0
	v_mov_b32_e32 v31, 0
	s_and_saveexec_b64 s[30:31], vcc
	s_cbranch_execz .LBB4_2916
; %bb.2911:                             ;   in Loop: Header=BB4_2790 Depth=3
	v_cmp_ne_u16_e32 vcc, s91, v22
	v_bfrev_b32_e32 v31, 1
	s_and_saveexec_b64 s[34:35], vcc
	s_cbranch_execz .LBB4_2915
; %bb.2912:                             ;   in Loop: Header=BB4_2790 Depth=3
	v_and_b32_e32 v1, 0x7f, v22
	v_cmp_ne_u32_e32 vcc, s92, v1
	v_mov_b32_e32 v31, 0x7f800001
	s_and_saveexec_b64 s[36:37], vcc
	s_cbranch_execz .LBB4_2914
; %bb.2913:                             ;   in Loop: Header=BB4_2790 Depth=3
	v_and_b32_e32 v24, 7, v22
	v_ffbh_u32_e32 v32, v24
	v_min_u32_e32 v34, 32, v32
	v_subrev_u32_e32 v32, 28, v34
	v_lshlrev_b64 v[32:33], v32, v[22:23]
	v_lshrrev_b32_e32 v31, 3, v1
	v_sub_u32_e32 v22, 29, v34
	v_and_b32_e32 v32, 7, v32
	v_cmp_gt_u32_e32 vcc, 8, v1
	v_cndmask_b32_e32 v1, v31, v22, vcc
	v_cndmask_b32_e32 v22, v24, v32, vcc
	v_lshlrev_b32_e32 v24, 16, v58
	v_bfrev_b32_e32 v31, 60
	v_lshlrev_b32_e32 v22, 20, v22
	v_and_b32_e32 v24, 0x80000000, v24
	v_lshl_add_u32 v1, v1, 23, v31
	v_or3_b32 v31, v24, v1, v22
.LBB4_2914:                             ;   in Loop: Header=BB4_2790 Depth=3
	s_or_b64 exec, exec, s[36:37]
.LBB4_2915:                             ;   in Loop: Header=BB4_2790 Depth=3
	s_or_b64 exec, exec, s[34:35]
.LBB4_2916:                             ;   in Loop: Header=BB4_2790 Depth=3
	s_or_b64 exec, exec, s[30:31]
	v_mov_b32_e32 v22, v9
	v_lshrrev_b16_e32 v24, 8, v22
	v_cmp_ne_u16_e32 vcc, 0, v24
	s_and_saveexec_b64 s[30:31], vcc
	s_cbranch_execz .LBB4_2922
; %bb.2917:                             ;   in Loop: Header=BB4_2790 Depth=3
	v_cmp_ne_u16_e32 vcc, s91, v24
	v_bfrev_b32_e32 v23, 1
	s_and_saveexec_b64 s[34:35], vcc
	s_cbranch_execz .LBB4_2921
; %bb.2918:                             ;   in Loop: Header=BB4_2790 Depth=3
	v_and_b32_e32 v1, 0x7f, v24
	v_cmp_ne_u32_e32 vcc, s92, v1
	v_mov_b32_e32 v23, 0x7f800001
	s_and_saveexec_b64 s[36:37], vcc
	s_cbranch_execz .LBB4_2920
; %bb.2919:                             ;   in Loop: Header=BB4_2790 Depth=3
	v_and_b32_e32 v23, 7, v24
	v_ffbh_u32_e32 v32, v23
	v_min_u32_e32 v35, 32, v32
	v_subrev_u32_e32 v32, 28, v35
	v_lshlrev_b64 v[32:33], v32, v[24:25]
	v_lshrrev_b32_e32 v34, 3, v1
	v_sub_u32_e32 v24, 29, v35
	v_and_b32_e32 v32, 7, v32
	v_cmp_gt_u32_e32 vcc, 8, v1
	v_cndmask_b32_e32 v1, v34, v24, vcc
	v_cndmask_b32_e32 v23, v23, v32, vcc
	v_lshlrev_b32_e32 v22, 16, v22
	v_bfrev_b32_e32 v24, 60
	v_lshlrev_b32_e32 v23, 20, v23
	v_and_b32_e32 v22, 0x80000000, v22
	v_lshl_add_u32 v1, v1, 23, v24
	v_or3_b32 v23, v22, v1, v23
.LBB4_2920:                             ;   in Loop: Header=BB4_2790 Depth=3
	s_or_b64 exec, exec, s[36:37]
.LBB4_2921:                             ;   in Loop: Header=BB4_2790 Depth=3
	s_or_b64 exec, exec, s[34:35]
.LBB4_2922:                             ;   in Loop: Header=BB4_2790 Depth=3
	s_or_b64 exec, exec, s[30:31]
	v_add_f32_e32 v22, v31, v23
	v_and_b32_sdwa v31, v22, s91 dst_sel:DWORD dst_unused:UNUSED_PAD src0_sel:BYTE_3 src1_sel:DWORD
	v_and_b32_e32 v32, 0x7f800000, v22
	v_mov_b32_e32 v33, v59
	v_and_b32_e32 v58, 0x7fffff, v22
	v_or_b32_e32 v24, 0x7e, v31
	v_cmp_ne_u64_e32 vcc, s[54:55], v[32:33]
	s_and_saveexec_b64 s[30:31], vcc
	s_xor_b64 s[34:35], exec, s[30:31]
	s_cbranch_execz .LBB4_2932
; %bb.2923:                             ;   in Loop: Header=BB4_2790 Depth=3
	v_and_b32_e32 v32, 0x7fffffff, v22
	v_mov_b32_e32 v33, v59
	v_cmp_gt_u64_e32 vcc, s[56:57], v[32:33]
	s_and_saveexec_b64 s[36:37], vcc
	s_cbranch_execz .LBB4_2931
; %bb.2924:                             ;   in Loop: Header=BB4_2790 Depth=3
	v_cmp_ne_u32_e32 vcc, 0, v22
	v_mov_b32_e32 v24, 0
	s_and_saveexec_b64 s[72:73], vcc
	s_cbranch_execz .LBB4_2930
; %bb.2925:                             ;   in Loop: Header=BB4_2790 Depth=3
	v_bfe_u32 v1, v22, 23, 8
	v_sub_u32_e32 v23, 0x79, v1
	v_cmp_gt_u32_e32 vcc, s93, v1
	v_add_u32_e32 v22, 0xffffff81, v1
	v_cndmask_b32_e32 v23, 0, v23, vcc
	v_cmp_eq_u32_e32 vcc, 0, v1
	v_mov_b32_e32 v1, 0xffffff82
	v_cndmask_b32_e32 v1, v22, v1, vcc
	v_mov_b32_e32 v22, 0x78
	v_or_b32_e32 v24, 0x800000, v58
	v_cndmask_b32_e32 v36, v23, v22, vcc
	v_cndmask_b32_e32 v58, v24, v58, vcc
	v_add_u32_e32 v22, 20, v36
	v_lshlrev_b64 v[22:23], v22, -1
	v_add_u32_e32 v24, 19, v36
	v_lshrrev_b64 v[34:35], v36, v[58:59]
	v_not_b32_e32 v23, v23
	v_not_b32_e32 v22, v22
	v_lshlrev_b64 v[32:33], v24, 1
	v_lshrrev_b32_e32 v24, 23, v34
	v_and_b32_e32 v23, 0, v23
	v_and_b32_e32 v22, v58, v22
	v_add3_u32 v37, v36, v1, v24
	v_bfe_u32 v1, v34, 20, 1
	v_add_u32_e32 v1, -1, v1
	v_cmp_eq_u64_e32 vcc, v[22:23], v[32:33]
	v_cndmask_b32_e32 v1, 0, v1, vcc
	v_add_u32_e32 v1, v1, v34
	v_and_b32_e32 v1, 0xfffff, v1
	v_add_co_u32_e32 v22, vcc, v1, v34
	v_add_u32_e32 v36, 6, v37
	v_addc_co_u32_e32 v23, vcc, 0, v35, vcc
	v_cmp_ne_u32_e32 vcc, 0, v36
                                        ; implicit-def: $vgpr24
	s_and_saveexec_b64 s[30:31], vcc
	s_xor_b64 s[30:31], exec, s[30:31]
; %bb.2926:                             ;   in Loop: Header=BB4_2790 Depth=3
	v_add_u32_e32 v1, 7, v37
	v_cmp_lt_u64_e32 vcc, s[58:59], v[22:23]
	v_cndmask_b32_e32 v24, v36, v1, vcc
	v_cndmask_b32_e64 v1, 0, 1, vcc
	v_lshrrev_b64 v[22:23], v1, v[22:23]
; %bb.2927:                             ;   in Loop: Header=BB4_2790 Depth=3
	s_andn2_saveexec_b64 vcc, s[30:31]
; %bb.2928:                             ;   in Loop: Header=BB4_2790 Depth=3
	v_bfe_u32 v24, v22, 23, 1
; %bb.2929:                             ;   in Loop: Header=BB4_2790 Depth=3
	s_or_b64 exec, exec, vcc
	v_lshrrev_b64 v[22:23], 20, v[22:23]
	v_cmp_gt_i32_e32 vcc, 16, v24
	v_cndmask_b32_e32 v23, 0, v23, vcc
	v_cndmask_b32_e32 v22, 7, v22, vcc
	v_min_i32_e32 v1, 15, v24
	v_cmp_eq_u32_e32 vcc, 0, v24
	v_cmp_eq_u64_e64 s[30:31], 0, v[22:23]
	v_lshlrev_b32_e32 v1, 3, v1
	v_and_or_b32 v1, v22, 7, v1
	s_and_b64 vcc, vcc, s[30:31]
	v_cndmask_b32_e64 v1, v1, 0, vcc
	v_or_b32_e32 v24, v1, v31
.LBB4_2930:                             ;   in Loop: Header=BB4_2790 Depth=3
	s_or_b64 exec, exec, s[72:73]
.LBB4_2931:                             ;   in Loop: Header=BB4_2790 Depth=3
	s_or_b64 exec, exec, s[36:37]
                                        ; implicit-def: $vgpr22
.LBB4_2932:                             ;   in Loop: Header=BB4_2790 Depth=3
	s_andn2_saveexec_b64 s[30:31], s[34:35]
; %bb.2933:                             ;   in Loop: Header=BB4_2790 Depth=3
	v_or_b32_sdwa v1, v22, s92 dst_sel:DWORD dst_unused:UNUSED_PAD src0_sel:BYTE_3 src1_sel:DWORD
	v_cmp_eq_u64_e32 vcc, 0, v[58:59]
	v_cndmask_b32_e32 v24, v1, v24, vcc
; %bb.2934:                             ;   in Loop: Header=BB4_2790 Depth=3
	s_or_b64 exec, exec, s[30:31]
	v_lshrrev_b32_e32 v22, 16, v13
	v_cmp_ne_u16_sdwa vcc, v22, v59 src0_sel:BYTE_0 src1_sel:DWORD
	v_mov_b32_e32 v23, 0
	v_mov_b32_e32 v31, 0
	s_and_saveexec_b64 s[30:31], vcc
	s_cbranch_execz .LBB4_2940
; %bb.2935:                             ;   in Loop: Header=BB4_2790 Depth=3
	v_cmp_ne_u16_sdwa vcc, v22, s91 src0_sel:BYTE_0 src1_sel:DWORD
	v_bfrev_b32_e32 v31, 1
	s_and_saveexec_b64 s[34:35], vcc
	s_cbranch_execz .LBB4_2939
; %bb.2936:                             ;   in Loop: Header=BB4_2790 Depth=3
	v_bfe_u32 v1, v13, 16, 7
	v_cmp_ne_u32_e32 vcc, s92, v1
	v_mov_b32_e32 v31, 0x7f800001
	s_and_saveexec_b64 s[36:37], vcc
	s_cbranch_execz .LBB4_2938
; %bb.2937:                             ;   in Loop: Header=BB4_2790 Depth=3
	v_and_b32_e32 v31, 7, v22
	v_ffbh_u32_e32 v32, v31
	v_min_u32_e32 v35, 32, v32
	v_subrev_u32_e32 v32, 28, v35
	v_lshlrev_b64 v[32:33], v32, v[22:23]
	v_lshrrev_b32_e32 v34, 3, v1
	v_sub_u32_e32 v33, 29, v35
	v_and_b32_e32 v32, 7, v32
	v_cmp_gt_u32_e32 vcc, 8, v1
	v_cndmask_b32_e32 v1, v34, v33, vcc
	v_cndmask_b32_e32 v31, v31, v32, vcc
	v_lshlrev_b32_e32 v22, 24, v22
	v_bfrev_b32_e32 v32, 60
	v_lshlrev_b32_e32 v31, 20, v31
	v_and_b32_e32 v22, 0x80000000, v22
	v_lshl_add_u32 v1, v1, 23, v32
	v_or3_b32 v31, v22, v1, v31
.LBB4_2938:                             ;   in Loop: Header=BB4_2790 Depth=3
	s_or_b64 exec, exec, s[36:37]
.LBB4_2939:                             ;   in Loop: Header=BB4_2790 Depth=3
	s_or_b64 exec, exec, s[34:35]
.LBB4_2940:                             ;   in Loop: Header=BB4_2790 Depth=3
	s_or_b64 exec, exec, s[30:31]
	v_lshrrev_b32_e32 v22, 16, v9
	v_cmp_ne_u16_sdwa vcc, v22, v59 src0_sel:BYTE_0 src1_sel:DWORD
	s_and_saveexec_b64 s[30:31], vcc
	s_cbranch_execz .LBB4_2946
; %bb.2941:                             ;   in Loop: Header=BB4_2790 Depth=3
	v_cmp_ne_u16_sdwa vcc, v22, s91 src0_sel:BYTE_0 src1_sel:DWORD
	v_bfrev_b32_e32 v23, 1
	s_and_saveexec_b64 s[34:35], vcc
	s_cbranch_execz .LBB4_2945
; %bb.2942:                             ;   in Loop: Header=BB4_2790 Depth=3
	v_bfe_u32 v1, v9, 16, 7
	v_cmp_ne_u32_e32 vcc, s92, v1
	v_mov_b32_e32 v23, 0x7f800001
	s_and_saveexec_b64 s[36:37], vcc
	s_cbranch_execz .LBB4_2944
; %bb.2943:                             ;   in Loop: Header=BB4_2790 Depth=3
	v_and_b32_e32 v32, 7, v22
	v_ffbh_u32_e32 v23, v32
	v_min_u32_e32 v34, 32, v23
	v_subrev_u32_e32 v23, 28, v34
	v_lshlrev_b64 v[22:23], v23, v[22:23]
	v_lshrrev_b32_e32 v33, 3, v1
	v_sub_u32_e32 v23, 29, v34
	v_and_b32_e32 v22, 7, v22
	v_cmp_gt_u32_e32 vcc, 8, v1
	v_cndmask_b32_e32 v1, v33, v23, vcc
	v_cndmask_b32_e32 v22, v32, v22, vcc
	v_lshlrev_b32_e32 v23, 8, v9
	v_bfrev_b32_e32 v32, 60
	v_lshlrev_b32_e32 v22, 20, v22
	v_and_b32_e32 v23, 0x80000000, v23
	v_lshl_add_u32 v1, v1, 23, v32
	v_or3_b32 v23, v23, v1, v22
.LBB4_2944:                             ;   in Loop: Header=BB4_2790 Depth=3
	s_or_b64 exec, exec, s[36:37]
.LBB4_2945:                             ;   in Loop: Header=BB4_2790 Depth=3
	s_or_b64 exec, exec, s[34:35]
.LBB4_2946:                             ;   in Loop: Header=BB4_2790 Depth=3
	s_or_b64 exec, exec, s[30:31]
	v_add_f32_e32 v23, v31, v23
	v_and_b32_sdwa v31, v23, s91 dst_sel:DWORD dst_unused:UNUSED_PAD src0_sel:BYTE_3 src1_sel:DWORD
	v_and_b32_e32 v32, 0x7f800000, v23
	v_mov_b32_e32 v33, v59
	v_and_b32_e32 v58, 0x7fffff, v23
	v_or_b32_e32 v22, 0x7e, v31
	v_cmp_ne_u64_e32 vcc, s[54:55], v[32:33]
	s_and_saveexec_b64 s[30:31], vcc
	s_xor_b64 s[34:35], exec, s[30:31]
	s_cbranch_execz .LBB4_2956
; %bb.2947:                             ;   in Loop: Header=BB4_2790 Depth=3
	v_and_b32_e32 v32, 0x7fffffff, v23
	v_mov_b32_e32 v33, v59
	v_cmp_gt_u64_e32 vcc, s[56:57], v[32:33]
	s_and_saveexec_b64 s[36:37], vcc
	s_cbranch_execz .LBB4_2955
; %bb.2948:                             ;   in Loop: Header=BB4_2790 Depth=3
	v_cmp_ne_u32_e32 vcc, 0, v23
	v_mov_b32_e32 v22, 0
	s_and_saveexec_b64 s[72:73], vcc
	s_cbranch_execz .LBB4_2954
; %bb.2949:                             ;   in Loop: Header=BB4_2790 Depth=3
	v_bfe_u32 v1, v23, 23, 8
	v_sub_u32_e32 v23, 0x79, v1
	v_cmp_gt_u32_e32 vcc, s93, v1
	v_add_u32_e32 v22, 0xffffff81, v1
	v_cndmask_b32_e32 v23, 0, v23, vcc
	v_cmp_eq_u32_e32 vcc, 0, v1
	v_mov_b32_e32 v1, 0xffffff82
	v_cndmask_b32_e32 v1, v22, v1, vcc
	v_mov_b32_e32 v22, 0x78
	v_or_b32_e32 v32, 0x800000, v58
	v_cndmask_b32_e32 v36, v23, v22, vcc
	v_cndmask_b32_e32 v58, v32, v58, vcc
	v_add_u32_e32 v22, 20, v36
	v_lshlrev_b64 v[22:23], v22, -1
	v_lshrrev_b64 v[34:35], v36, v[58:59]
	v_not_b32_e32 v23, v23
	v_not_b32_e32 v22, v22
	v_add_u32_e32 v32, 19, v36
	v_lshrrev_b32_e32 v37, 23, v34
	v_and_b32_e32 v23, 0, v23
	v_and_b32_e32 v22, v58, v22
	v_lshlrev_b64 v[32:33], v32, 1
	v_add3_u32 v38, v36, v1, v37
	v_bfe_u32 v1, v34, 20, 1
	v_add_u32_e32 v1, -1, v1
	v_cmp_eq_u64_e32 vcc, v[22:23], v[32:33]
	v_cndmask_b32_e32 v1, 0, v1, vcc
	v_add_u32_e32 v1, v1, v34
	v_and_b32_e32 v1, 0xfffff, v1
	v_add_co_u32_e32 v22, vcc, v1, v34
	v_add_u32_e32 v37, 6, v38
	v_addc_co_u32_e32 v23, vcc, 0, v35, vcc
	v_cmp_ne_u32_e32 vcc, 0, v37
                                        ; implicit-def: $vgpr36
	s_and_saveexec_b64 s[30:31], vcc
	s_xor_b64 s[30:31], exec, s[30:31]
; %bb.2950:                             ;   in Loop: Header=BB4_2790 Depth=3
	v_add_u32_e32 v1, 7, v38
	v_cmp_lt_u64_e32 vcc, s[58:59], v[22:23]
	v_cndmask_b32_e32 v36, v37, v1, vcc
	v_cndmask_b32_e64 v1, 0, 1, vcc
	v_lshrrev_b64 v[22:23], v1, v[22:23]
; %bb.2951:                             ;   in Loop: Header=BB4_2790 Depth=3
	s_andn2_saveexec_b64 vcc, s[30:31]
; %bb.2952:                             ;   in Loop: Header=BB4_2790 Depth=3
	v_bfe_u32 v36, v22, 23, 1
; %bb.2953:                             ;   in Loop: Header=BB4_2790 Depth=3
	s_or_b64 exec, exec, vcc
	v_lshrrev_b64 v[22:23], 20, v[22:23]
	v_cmp_gt_i32_e32 vcc, 16, v36
	v_min_i32_e32 v1, 15, v36
	v_cndmask_b32_e32 v23, 0, v23, vcc
	v_cndmask_b32_e32 v22, 7, v22, vcc
	v_lshlrev_b32_e32 v1, 3, v1
	v_cmp_eq_u32_e32 vcc, 0, v36
	v_cmp_eq_u64_e64 s[30:31], 0, v[22:23]
	v_and_b32_e32 v1, 0xf8, v1
	v_and_or_b32 v1, v22, 7, v1
	s_and_b64 vcc, vcc, s[30:31]
	v_cndmask_b32_e64 v1, v1, 0, vcc
	v_or_b32_e32 v22, v1, v31
.LBB4_2954:                             ;   in Loop: Header=BB4_2790 Depth=3
	s_or_b64 exec, exec, s[72:73]
.LBB4_2955:                             ;   in Loop: Header=BB4_2790 Depth=3
	s_or_b64 exec, exec, s[36:37]
                                        ; implicit-def: $vgpr23
.LBB4_2956:                             ;   in Loop: Header=BB4_2790 Depth=3
	s_andn2_saveexec_b64 s[30:31], s[34:35]
; %bb.2957:                             ;   in Loop: Header=BB4_2790 Depth=3
	v_or_b32_sdwa v1, v23, s92 dst_sel:DWORD dst_unused:UNUSED_PAD src0_sel:BYTE_3 src1_sel:DWORD
	v_cmp_eq_u64_e32 vcc, 0, v[58:59]
	v_cndmask_b32_e32 v22, v1, v22, vcc
; %bb.2958:                             ;   in Loop: Header=BB4_2790 Depth=3
	s_or_b64 exec, exec, s[30:31]
	v_cmp_lt_u64_e32 vcc, s[44:45], v[12:13]
	v_mov_b32_e32 v23, 0
	v_mov_b32_e32 v31, 0
	s_and_saveexec_b64 s[30:31], vcc
	s_cbranch_execz .LBB4_2964
; %bb.2959:                             ;   in Loop: Header=BB4_2790 Depth=3
	v_lshrrev_b32_e32 v12, 24, v13
	v_cmp_ne_u32_e32 vcc, s91, v12
	v_bfrev_b32_e32 v31, 1
	s_and_saveexec_b64 s[34:35], vcc
	s_cbranch_execz .LBB4_2963
; %bb.2960:                             ;   in Loop: Header=BB4_2790 Depth=3
	v_bfe_u32 v1, v13, 24, 7
	v_cmp_ne_u32_e32 vcc, s92, v1
	v_mov_b32_e32 v31, 0x7f800001
	s_and_saveexec_b64 s[36:37], vcc
	s_cbranch_execz .LBB4_2962
; %bb.2961:                             ;   in Loop: Header=BB4_2790 Depth=3
	v_and_b32_e32 v13, 7, v12
	v_ffbh_u32_e32 v32, v13
	v_min_u32_e32 v34, 32, v32
	v_subrev_u32_e32 v32, 28, v34
	v_lshlrev_b64 v[32:33], v32, v[12:13]
	v_lshrrev_b32_e32 v31, 3, v1
	v_sub_u32_e32 v33, 29, v34
	v_and_b32_e32 v32, 7, v32
	v_cmp_gt_u32_e32 vcc, 8, v1
	v_cndmask_b32_e32 v1, v31, v33, vcc
	v_cndmask_b32_e32 v13, v13, v32, vcc
	v_lshlrev_b32_e32 v12, 24, v12
	v_bfrev_b32_e32 v31, 60
	v_lshlrev_b32_e32 v13, 20, v13
	v_and_b32_e32 v12, 0x80000000, v12
	v_lshl_add_u32 v1, v1, 23, v31
	v_or3_b32 v31, v12, v1, v13
.LBB4_2962:                             ;   in Loop: Header=BB4_2790 Depth=3
	s_or_b64 exec, exec, s[36:37]
.LBB4_2963:                             ;   in Loop: Header=BB4_2790 Depth=3
	s_or_b64 exec, exec, s[34:35]
.LBB4_2964:                             ;   in Loop: Header=BB4_2790 Depth=3
	s_or_b64 exec, exec, s[30:31]
	v_cmp_lt_u64_e32 vcc, s[44:45], v[8:9]
	s_and_saveexec_b64 s[30:31], vcc
	s_cbranch_execz .LBB4_2970
; %bb.2965:                             ;   in Loop: Header=BB4_2790 Depth=3
	v_lshrrev_b32_e32 v8, 24, v9
	v_cmp_ne_u32_e32 vcc, s91, v8
	v_bfrev_b32_e32 v23, 1
	s_and_saveexec_b64 s[34:35], vcc
	s_cbranch_execz .LBB4_2969
; %bb.2966:                             ;   in Loop: Header=BB4_2790 Depth=3
	v_bfe_u32 v1, v9, 24, 7
	v_cmp_ne_u32_e32 vcc, s92, v1
	v_mov_b32_e32 v23, 0x7f800001
	s_and_saveexec_b64 s[36:37], vcc
	s_cbranch_execz .LBB4_2968
; %bb.2967:                             ;   in Loop: Header=BB4_2790 Depth=3
	v_and_b32_e32 v9, 7, v8
	v_ffbh_u32_e32 v12, v9
	v_min_u32_e32 v32, 32, v12
	v_subrev_u32_e32 v12, 28, v32
	v_lshlrev_b64 v[12:13], v12, v[8:9]
	v_lshrrev_b32_e32 v23, 3, v1
	v_sub_u32_e32 v13, 29, v32
	v_and_b32_e32 v12, 7, v12
	v_cmp_gt_u32_e32 vcc, 8, v1
	v_cndmask_b32_e32 v1, v23, v13, vcc
	v_cndmask_b32_e32 v9, v9, v12, vcc
	v_lshlrev_b32_e32 v8, 24, v8
	v_bfrev_b32_e32 v12, 60
	v_lshlrev_b32_e32 v9, 20, v9
	v_and_b32_e32 v8, 0x80000000, v8
	v_lshl_add_u32 v1, v1, 23, v12
	v_or3_b32 v23, v8, v1, v9
.LBB4_2968:                             ;   in Loop: Header=BB4_2790 Depth=3
	s_or_b64 exec, exec, s[36:37]
.LBB4_2969:                             ;   in Loop: Header=BB4_2790 Depth=3
	s_or_b64 exec, exec, s[34:35]
.LBB4_2970:                             ;   in Loop: Header=BB4_2790 Depth=3
	s_or_b64 exec, exec, s[30:31]
	v_add_f32_e32 v8, v31, v23
	v_and_b32_sdwa v12, v8, s91 dst_sel:DWORD dst_unused:UNUSED_PAD src0_sel:BYTE_3 src1_sel:DWORD
	v_and_b32_e32 v32, 0x7f800000, v8
	v_mov_b32_e32 v33, v59
	v_and_b32_e32 v58, 0x7fffff, v8
	v_or_b32_e32 v13, 0x7e, v12
	v_cmp_ne_u64_e32 vcc, s[54:55], v[32:33]
	s_and_saveexec_b64 s[30:31], vcc
	s_xor_b64 s[34:35], exec, s[30:31]
	s_cbranch_execz .LBB4_2980
; %bb.2971:                             ;   in Loop: Header=BB4_2790 Depth=3
	v_and_b32_e32 v32, 0x7fffffff, v8
	v_mov_b32_e32 v33, v59
	v_cmp_gt_u64_e32 vcc, s[56:57], v[32:33]
	s_and_saveexec_b64 s[36:37], vcc
	s_cbranch_execz .LBB4_2979
; %bb.2972:                             ;   in Loop: Header=BB4_2790 Depth=3
	v_cmp_ne_u32_e32 vcc, 0, v8
	v_mov_b32_e32 v13, 0
	s_and_saveexec_b64 s[72:73], vcc
	s_cbranch_execz .LBB4_2978
; %bb.2973:                             ;   in Loop: Header=BB4_2790 Depth=3
	v_bfe_u32 v1, v8, 23, 8
	v_sub_u32_e32 v9, 0x79, v1
	v_cmp_gt_u32_e32 vcc, s93, v1
	v_add_u32_e32 v8, 0xffffff81, v1
	v_cndmask_b32_e32 v9, 0, v9, vcc
	v_cmp_eq_u32_e32 vcc, 0, v1
	v_mov_b32_e32 v1, 0xffffff82
	v_cndmask_b32_e32 v1, v8, v1, vcc
	v_mov_b32_e32 v8, 0x78
	v_or_b32_e32 v13, 0x800000, v58
	v_cndmask_b32_e32 v23, v9, v8, vcc
	v_cndmask_b32_e32 v58, v13, v58, vcc
	v_add_u32_e32 v8, 20, v23
	v_lshlrev_b64 v[8:9], v8, -1
	v_add_u32_e32 v13, 19, v23
	v_lshrrev_b64 v[34:35], v23, v[58:59]
	v_not_b32_e32 v9, v9
	v_not_b32_e32 v8, v8
	v_lshlrev_b64 v[32:33], v13, 1
	v_lshrrev_b32_e32 v13, 23, v34
	v_and_b32_e32 v9, 0, v9
	v_and_b32_e32 v8, v58, v8
	v_add3_u32 v31, v23, v1, v13
	v_bfe_u32 v1, v34, 20, 1
	v_add_u32_e32 v1, -1, v1
	v_cmp_eq_u64_e32 vcc, v[8:9], v[32:33]
	v_cndmask_b32_e32 v1, 0, v1, vcc
	v_add_u32_e32 v1, v1, v34
	v_and_b32_e32 v1, 0xfffff, v1
	v_add_co_u32_e32 v8, vcc, v1, v34
	v_add_u32_e32 v23, 6, v31
	v_addc_co_u32_e32 v9, vcc, 0, v35, vcc
	v_cmp_ne_u32_e32 vcc, 0, v23
                                        ; implicit-def: $vgpr13
	s_and_saveexec_b64 s[30:31], vcc
	s_xor_b64 s[30:31], exec, s[30:31]
; %bb.2974:                             ;   in Loop: Header=BB4_2790 Depth=3
	v_add_u32_e32 v1, 7, v31
	v_cmp_lt_u64_e32 vcc, s[58:59], v[8:9]
	v_cndmask_b32_e32 v13, v23, v1, vcc
	v_cndmask_b32_e64 v1, 0, 1, vcc
	v_lshrrev_b64 v[8:9], v1, v[8:9]
; %bb.2975:                             ;   in Loop: Header=BB4_2790 Depth=3
	s_andn2_saveexec_b64 vcc, s[30:31]
; %bb.2976:                             ;   in Loop: Header=BB4_2790 Depth=3
	v_bfe_u32 v13, v8, 23, 1
; %bb.2977:                             ;   in Loop: Header=BB4_2790 Depth=3
	s_or_b64 exec, exec, vcc
	v_lshrrev_b64 v[8:9], 20, v[8:9]
	v_cmp_gt_i32_e32 vcc, 16, v13
	v_min_i32_e32 v1, 15, v13
	v_cndmask_b32_e32 v9, 0, v9, vcc
	v_cndmask_b32_e32 v8, 7, v8, vcc
	v_lshlrev_b32_e32 v1, 3, v1
	v_cmp_eq_u32_e32 vcc, 0, v13
	v_cmp_eq_u64_e64 s[30:31], 0, v[8:9]
	v_and_b32_e32 v1, 0xf8, v1
	v_and_or_b32 v1, v8, 7, v1
	s_and_b64 vcc, vcc, s[30:31]
	v_cndmask_b32_e64 v1, v1, 0, vcc
	v_or_b32_e32 v13, v1, v12
.LBB4_2978:                             ;   in Loop: Header=BB4_2790 Depth=3
	s_or_b64 exec, exec, s[72:73]
.LBB4_2979:                             ;   in Loop: Header=BB4_2790 Depth=3
	s_or_b64 exec, exec, s[36:37]
                                        ; implicit-def: $vgpr8
.LBB4_2980:                             ;   in Loop: Header=BB4_2790 Depth=3
	s_andn2_saveexec_b64 s[30:31], s[34:35]
; %bb.2981:                             ;   in Loop: Header=BB4_2790 Depth=3
	v_or_b32_sdwa v1, v8, s92 dst_sel:DWORD dst_unused:UNUSED_PAD src0_sel:BYTE_3 src1_sel:DWORD
	v_cmp_eq_u64_e32 vcc, 0, v[58:59]
	v_cndmask_b32_e32 v13, v1, v13, vcc
; %bb.2982:                             ;   in Loop: Header=BB4_2790 Depth=3
	s_or_b64 exec, exec, s[30:31]
	v_cmp_ne_u16_sdwa vcc, v14, v59 src0_sel:BYTE_0 src1_sel:DWORD
	v_mov_b32_e32 v8, 0
	v_mov_b32_e32 v9, 0
	s_and_saveexec_b64 s[30:31], vcc
	s_cbranch_execz .LBB4_2988
; %bb.2983:                             ;   in Loop: Header=BB4_2790 Depth=3
	v_cmp_ne_u16_sdwa vcc, v14, s91 src0_sel:BYTE_0 src1_sel:DWORD
	v_bfrev_b32_e32 v9, 1
	s_and_saveexec_b64 s[34:35], vcc
	s_cbranch_execz .LBB4_2987
; %bb.2984:                             ;   in Loop: Header=BB4_2790 Depth=3
	v_and_b32_e32 v1, 0x7f, v14
	v_cmp_ne_u32_e32 vcc, s92, v1
	v_mov_b32_e32 v9, 0x7f800001
	s_and_saveexec_b64 s[36:37], vcc
	s_cbranch_execz .LBB4_2986
; %bb.2985:                             ;   in Loop: Header=BB4_2790 Depth=3
	v_and_b32_e32 v9, 7, v14
	v_ffbh_u32_e32 v9, v9
	v_min_u32_e32 v9, 32, v9
	v_lshrrev_b32_e32 v12, 3, v1
	v_subrev_u32_e32 v23, 28, v9
	v_sub_u32_e32 v9, 29, v9
	v_cmp_gt_u32_e32 vcc, 8, v1
	v_cndmask_b32_e32 v1, v12, v9, vcc
	v_cndmask_b32_e32 v9, 0, v23, vcc
	v_lshlrev_b64 v[32:33], v9, v[14:15]
	v_lshlrev_b32_e32 v9, 20, v32
	v_lshlrev_b32_e32 v12, 24, v14
	v_bfrev_b32_e32 v23, 60
	v_and_b32_e32 v9, 0x700000, v9
	v_and_b32_e32 v12, 0x80000000, v12
	v_lshl_add_u32 v1, v1, 23, v23
	v_or3_b32 v9, v12, v1, v9
.LBB4_2986:                             ;   in Loop: Header=BB4_2790 Depth=3
	s_or_b64 exec, exec, s[36:37]
.LBB4_2987:                             ;   in Loop: Header=BB4_2790 Depth=3
	s_or_b64 exec, exec, s[34:35]
.LBB4_2988:                             ;   in Loop: Header=BB4_2790 Depth=3
	s_or_b64 exec, exec, s[30:31]
	v_cmp_ne_u16_sdwa vcc, v10, v59 src0_sel:BYTE_0 src1_sel:DWORD
	s_and_saveexec_b64 s[30:31], vcc
	s_cbranch_execz .LBB4_2994
; %bb.2989:                             ;   in Loop: Header=BB4_2790 Depth=3
	v_cmp_ne_u16_sdwa vcc, v10, s91 src0_sel:BYTE_0 src1_sel:DWORD
	v_bfrev_b32_e32 v8, 1
	s_and_saveexec_b64 s[34:35], vcc
	s_cbranch_execz .LBB4_2993
; %bb.2990:                             ;   in Loop: Header=BB4_2790 Depth=3
	v_and_b32_e32 v1, 0x7f, v10
	v_cmp_ne_u32_e32 vcc, s92, v1
	v_mov_b32_e32 v8, 0x7f800001
	s_and_saveexec_b64 s[36:37], vcc
	s_cbranch_execz .LBB4_2992
; %bb.2991:                             ;   in Loop: Header=BB4_2790 Depth=3
	v_and_b32_e32 v8, 7, v10
	v_ffbh_u32_e32 v8, v8
	v_min_u32_e32 v8, 32, v8
	v_lshrrev_b32_e32 v12, 3, v1
	v_subrev_u32_e32 v23, 28, v8
	v_sub_u32_e32 v8, 29, v8
	v_cmp_gt_u32_e32 vcc, 8, v1
	v_cndmask_b32_e32 v1, v12, v8, vcc
	v_cndmask_b32_e32 v8, 0, v23, vcc
	v_lshlrev_b64 v[32:33], v8, v[10:11]
	v_lshlrev_b32_e32 v8, 20, v32
	v_lshlrev_b32_e32 v12, 24, v10
	v_bfrev_b32_e32 v23, 60
	v_and_b32_e32 v8, 0x700000, v8
	v_and_b32_e32 v12, 0x80000000, v12
	v_lshl_add_u32 v1, v1, 23, v23
	v_or3_b32 v8, v12, v1, v8
.LBB4_2992:                             ;   in Loop: Header=BB4_2790 Depth=3
	s_or_b64 exec, exec, s[36:37]
.LBB4_2993:                             ;   in Loop: Header=BB4_2790 Depth=3
	s_or_b64 exec, exec, s[34:35]
.LBB4_2994:                             ;   in Loop: Header=BB4_2790 Depth=3
	s_or_b64 exec, exec, s[30:31]
	v_add_f32_e32 v8, v9, v8
	v_and_b32_sdwa v12, v8, s91 dst_sel:DWORD dst_unused:UNUSED_PAD src0_sel:BYTE_3 src1_sel:DWORD
	v_and_b32_e32 v32, 0x7f800000, v8
	v_mov_b32_e32 v33, v59
	v_and_b32_e32 v58, 0x7fffff, v8
	v_or_b32_e32 v23, 0x7e, v12
	v_cmp_ne_u64_e32 vcc, s[54:55], v[32:33]
	s_and_saveexec_b64 s[30:31], vcc
	s_xor_b64 s[34:35], exec, s[30:31]
	s_cbranch_execz .LBB4_3004
; %bb.2995:                             ;   in Loop: Header=BB4_2790 Depth=3
	v_and_b32_e32 v32, 0x7fffffff, v8
	v_mov_b32_e32 v33, v59
	v_cmp_gt_u64_e32 vcc, s[56:57], v[32:33]
	s_and_saveexec_b64 s[36:37], vcc
	s_cbranch_execz .LBB4_3003
; %bb.2996:                             ;   in Loop: Header=BB4_2790 Depth=3
	v_cmp_ne_u32_e32 vcc, 0, v8
	v_mov_b32_e32 v23, 0
	s_and_saveexec_b64 s[72:73], vcc
	s_cbranch_execz .LBB4_3002
; %bb.2997:                             ;   in Loop: Header=BB4_2790 Depth=3
	v_bfe_u32 v1, v8, 23, 8
	v_sub_u32_e32 v9, 0x79, v1
	v_cmp_gt_u32_e32 vcc, s93, v1
	v_add_u32_e32 v8, 0xffffff81, v1
	v_cndmask_b32_e32 v9, 0, v9, vcc
	v_cmp_eq_u32_e32 vcc, 0, v1
	v_mov_b32_e32 v1, 0xffffff82
	v_cndmask_b32_e32 v1, v8, v1, vcc
	v_mov_b32_e32 v8, 0x78
	v_or_b32_e32 v23, 0x800000, v58
	v_cndmask_b32_e32 v31, v9, v8, vcc
	v_cndmask_b32_e32 v58, v23, v58, vcc
	v_add_u32_e32 v8, 20, v31
	v_lshlrev_b64 v[8:9], v8, -1
	v_add_u32_e32 v23, 19, v31
	v_lshrrev_b64 v[34:35], v31, v[58:59]
	v_not_b32_e32 v9, v9
	v_not_b32_e32 v8, v8
	v_lshlrev_b64 v[32:33], v23, 1
	v_lshrrev_b32_e32 v23, 23, v34
	v_and_b32_e32 v9, 0, v9
	v_and_b32_e32 v8, v58, v8
	v_add3_u32 v36, v31, v1, v23
	v_bfe_u32 v1, v34, 20, 1
	v_add_u32_e32 v1, -1, v1
	v_cmp_eq_u64_e32 vcc, v[8:9], v[32:33]
	v_cndmask_b32_e32 v1, 0, v1, vcc
	v_add_u32_e32 v1, v1, v34
	v_and_b32_e32 v1, 0xfffff, v1
	v_add_co_u32_e32 v8, vcc, v1, v34
	v_add_u32_e32 v31, 6, v36
	v_addc_co_u32_e32 v9, vcc, 0, v35, vcc
	v_cmp_ne_u32_e32 vcc, 0, v31
                                        ; implicit-def: $vgpr23
	s_and_saveexec_b64 s[30:31], vcc
	s_xor_b64 s[30:31], exec, s[30:31]
; %bb.2998:                             ;   in Loop: Header=BB4_2790 Depth=3
	v_add_u32_e32 v1, 7, v36
	v_cmp_lt_u64_e32 vcc, s[58:59], v[8:9]
	v_cndmask_b32_e32 v23, v31, v1, vcc
	v_cndmask_b32_e64 v1, 0, 1, vcc
	v_lshrrev_b64 v[8:9], v1, v[8:9]
; %bb.2999:                             ;   in Loop: Header=BB4_2790 Depth=3
	s_andn2_saveexec_b64 vcc, s[30:31]
; %bb.3000:                             ;   in Loop: Header=BB4_2790 Depth=3
	v_bfe_u32 v23, v8, 23, 1
; %bb.3001:                             ;   in Loop: Header=BB4_2790 Depth=3
	s_or_b64 exec, exec, vcc
	v_lshrrev_b64 v[8:9], 20, v[8:9]
	v_cmp_gt_i32_e32 vcc, 16, v23
	v_cndmask_b32_e32 v9, 0, v9, vcc
	v_cndmask_b32_e32 v8, 7, v8, vcc
	v_min_i32_e32 v1, 15, v23
	v_cmp_eq_u32_e32 vcc, 0, v23
	v_cmp_eq_u64_e64 s[30:31], 0, v[8:9]
	v_lshlrev_b32_e32 v1, 3, v1
	v_and_or_b32 v1, v8, 7, v1
	s_and_b64 vcc, vcc, s[30:31]
	v_cndmask_b32_e64 v1, v1, 0, vcc
	v_or_b32_e32 v23, v1, v12
.LBB4_3002:                             ;   in Loop: Header=BB4_2790 Depth=3
	s_or_b64 exec, exec, s[72:73]
.LBB4_3003:                             ;   in Loop: Header=BB4_2790 Depth=3
	s_or_b64 exec, exec, s[36:37]
                                        ; implicit-def: $vgpr8
.LBB4_3004:                             ;   in Loop: Header=BB4_2790 Depth=3
	s_andn2_saveexec_b64 s[30:31], s[34:35]
; %bb.3005:                             ;   in Loop: Header=BB4_2790 Depth=3
	v_or_b32_sdwa v1, v8, s92 dst_sel:DWORD dst_unused:UNUSED_PAD src0_sel:BYTE_3 src1_sel:DWORD
	v_cmp_eq_u64_e32 vcc, 0, v[58:59]
	v_cndmask_b32_e32 v23, v1, v23, vcc
; %bb.3006:                             ;   in Loop: Header=BB4_2790 Depth=3
	s_or_b64 exec, exec, s[30:31]
	v_lshrrev_b16_e32 v8, 8, v14
	v_cmp_ne_u16_e32 vcc, 0, v8
	v_mov_b32_e32 v9, 0
	v_mov_b32_e32 v12, 0
	s_and_saveexec_b64 s[30:31], vcc
	s_cbranch_execz .LBB4_3012
; %bb.3007:                             ;   in Loop: Header=BB4_2790 Depth=3
	v_cmp_ne_u16_e32 vcc, s91, v8
	v_bfrev_b32_e32 v12, 1
	s_and_saveexec_b64 s[34:35], vcc
	s_cbranch_execz .LBB4_3011
; %bb.3008:                             ;   in Loop: Header=BB4_2790 Depth=3
	v_and_b32_e32 v1, 0x7f, v8
	v_cmp_ne_u32_e32 vcc, s92, v1
	v_mov_b32_e32 v12, 0x7f800001
	s_and_saveexec_b64 s[36:37], vcc
	s_cbranch_execz .LBB4_3010
; %bb.3009:                             ;   in Loop: Header=BB4_2790 Depth=3
	v_and_b32_e32 v12, 7, v8
	v_ffbh_u32_e32 v32, v12
	v_min_u32_e32 v34, 32, v32
	v_subrev_u32_e32 v32, 28, v34
	v_lshlrev_b64 v[32:33], v32, v[8:9]
	v_lshrrev_b32_e32 v31, 3, v1
	v_sub_u32_e32 v8, 29, v34
	v_and_b32_e32 v32, 7, v32
	v_cmp_gt_u32_e32 vcc, 8, v1
	v_cndmask_b32_e32 v1, v31, v8, vcc
	v_cndmask_b32_e32 v8, v12, v32, vcc
	v_lshlrev_b32_e32 v12, 16, v14
	v_bfrev_b32_e32 v31, 60
	v_lshlrev_b32_e32 v8, 20, v8
	v_and_b32_e32 v12, 0x80000000, v12
	v_lshl_add_u32 v1, v1, 23, v31
	v_or3_b32 v12, v12, v1, v8
.LBB4_3010:                             ;   in Loop: Header=BB4_2790 Depth=3
	s_or_b64 exec, exec, s[36:37]
.LBB4_3011:                             ;   in Loop: Header=BB4_2790 Depth=3
	s_or_b64 exec, exec, s[34:35]
.LBB4_3012:                             ;   in Loop: Header=BB4_2790 Depth=3
	s_or_b64 exec, exec, s[30:31]
	v_lshrrev_b16_e32 v8, 8, v10
	v_cmp_ne_u16_e32 vcc, 0, v8
	s_and_saveexec_b64 s[30:31], vcc
	s_cbranch_execz .LBB4_3018
; %bb.3013:                             ;   in Loop: Header=BB4_2790 Depth=3
	v_cmp_ne_u16_e32 vcc, s91, v8
	v_bfrev_b32_e32 v9, 1
	s_and_saveexec_b64 s[34:35], vcc
	s_cbranch_execz .LBB4_3017
; %bb.3014:                             ;   in Loop: Header=BB4_2790 Depth=3
	v_and_b32_e32 v1, 0x7f, v8
	v_cmp_ne_u32_e32 vcc, s92, v1
	v_mov_b32_e32 v9, 0x7f800001
	s_and_saveexec_b64 s[36:37], vcc
	s_cbranch_execz .LBB4_3016
; %bb.3015:                             ;   in Loop: Header=BB4_2790 Depth=3
	v_and_b32_e32 v31, 7, v8
	v_ffbh_u32_e32 v9, v31
	v_min_u32_e32 v33, 32, v9
	v_subrev_u32_e32 v9, 28, v33
	v_lshlrev_b64 v[8:9], v9, v[8:9]
	v_lshrrev_b32_e32 v32, 3, v1
	v_sub_u32_e32 v9, 29, v33
	v_and_b32_e32 v8, 7, v8
	v_cmp_gt_u32_e32 vcc, 8, v1
	v_cndmask_b32_e32 v1, v32, v9, vcc
	v_cndmask_b32_e32 v8, v31, v8, vcc
	v_lshlrev_b32_e32 v9, 16, v10
	v_bfrev_b32_e32 v31, 60
	v_lshlrev_b32_e32 v8, 20, v8
	v_and_b32_e32 v9, 0x80000000, v9
	v_lshl_add_u32 v1, v1, 23, v31
	v_or3_b32 v9, v9, v1, v8
.LBB4_3016:                             ;   in Loop: Header=BB4_2790 Depth=3
	s_or_b64 exec, exec, s[36:37]
.LBB4_3017:                             ;   in Loop: Header=BB4_2790 Depth=3
	s_or_b64 exec, exec, s[34:35]
.LBB4_3018:                             ;   in Loop: Header=BB4_2790 Depth=3
	s_or_b64 exec, exec, s[30:31]
	v_add_f32_e32 v8, v12, v9
	v_and_b32_sdwa v12, v8, s91 dst_sel:DWORD dst_unused:UNUSED_PAD src0_sel:BYTE_3 src1_sel:DWORD
	v_and_b32_e32 v32, 0x7f800000, v8
	v_mov_b32_e32 v33, v59
	v_and_b32_e32 v58, 0x7fffff, v8
	v_or_b32_e32 v36, 0x7e, v12
	v_cmp_ne_u64_e32 vcc, s[54:55], v[32:33]
	s_and_saveexec_b64 s[30:31], vcc
	s_xor_b64 s[34:35], exec, s[30:31]
	s_cbranch_execz .LBB4_3028
; %bb.3019:                             ;   in Loop: Header=BB4_2790 Depth=3
	v_and_b32_e32 v32, 0x7fffffff, v8
	v_mov_b32_e32 v33, v59
	v_cmp_gt_u64_e32 vcc, s[56:57], v[32:33]
	s_and_saveexec_b64 s[36:37], vcc
	s_cbranch_execz .LBB4_3027
; %bb.3020:                             ;   in Loop: Header=BB4_2790 Depth=3
	v_cmp_ne_u32_e32 vcc, 0, v8
	v_mov_b32_e32 v36, 0
	s_and_saveexec_b64 s[72:73], vcc
	s_cbranch_execz .LBB4_3026
; %bb.3021:                             ;   in Loop: Header=BB4_2790 Depth=3
	v_bfe_u32 v1, v8, 23, 8
	v_sub_u32_e32 v9, 0x79, v1
	v_cmp_gt_u32_e32 vcc, s93, v1
	v_add_u32_e32 v8, 0xffffff81, v1
	v_cndmask_b32_e32 v9, 0, v9, vcc
	v_cmp_eq_u32_e32 vcc, 0, v1
	v_mov_b32_e32 v1, 0xffffff82
	v_cndmask_b32_e32 v1, v8, v1, vcc
	v_mov_b32_e32 v8, 0x78
	v_or_b32_e32 v31, 0x800000, v58
	v_cndmask_b32_e32 v36, v9, v8, vcc
	v_cndmask_b32_e32 v58, v31, v58, vcc
	v_add_u32_e32 v8, 20, v36
	v_lshlrev_b64 v[8:9], v8, -1
	v_add_u32_e32 v31, 19, v36
	v_lshrrev_b64 v[34:35], v36, v[58:59]
	v_not_b32_e32 v9, v9
	v_not_b32_e32 v8, v8
	v_lshlrev_b64 v[32:33], v31, 1
	v_lshrrev_b32_e32 v31, 23, v34
	v_and_b32_e32 v9, 0, v9
	v_and_b32_e32 v8, v58, v8
	v_add3_u32 v37, v36, v1, v31
	v_bfe_u32 v1, v34, 20, 1
	v_add_u32_e32 v1, -1, v1
	v_cmp_eq_u64_e32 vcc, v[8:9], v[32:33]
	v_cndmask_b32_e32 v1, 0, v1, vcc
	v_add_u32_e32 v1, v1, v34
	v_and_b32_e32 v1, 0xfffff, v1
	v_add_co_u32_e32 v8, vcc, v1, v34
	v_add_u32_e32 v36, 6, v37
	v_addc_co_u32_e32 v9, vcc, 0, v35, vcc
	v_cmp_ne_u32_e32 vcc, 0, v36
                                        ; implicit-def: $vgpr31
	s_and_saveexec_b64 s[30:31], vcc
	s_xor_b64 s[30:31], exec, s[30:31]
; %bb.3022:                             ;   in Loop: Header=BB4_2790 Depth=3
	v_add_u32_e32 v1, 7, v37
	v_cmp_lt_u64_e32 vcc, s[58:59], v[8:9]
	v_cndmask_b32_e32 v31, v36, v1, vcc
	v_cndmask_b32_e64 v1, 0, 1, vcc
	v_lshrrev_b64 v[8:9], v1, v[8:9]
; %bb.3023:                             ;   in Loop: Header=BB4_2790 Depth=3
	s_andn2_saveexec_b64 vcc, s[30:31]
; %bb.3024:                             ;   in Loop: Header=BB4_2790 Depth=3
	v_bfe_u32 v31, v8, 23, 1
; %bb.3025:                             ;   in Loop: Header=BB4_2790 Depth=3
	s_or_b64 exec, exec, vcc
	v_lshrrev_b64 v[8:9], 20, v[8:9]
	v_cmp_gt_i32_e32 vcc, 16, v31
	v_cndmask_b32_e32 v9, 0, v9, vcc
	v_cndmask_b32_e32 v8, 7, v8, vcc
	v_min_i32_e32 v1, 15, v31
	v_cmp_eq_u32_e32 vcc, 0, v31
	v_cmp_eq_u64_e64 s[30:31], 0, v[8:9]
	v_lshlrev_b32_e32 v1, 3, v1
	v_and_or_b32 v1, v8, 7, v1
	s_and_b64 vcc, vcc, s[30:31]
	v_cndmask_b32_e64 v1, v1, 0, vcc
	v_or_b32_e32 v36, v1, v12
.LBB4_3026:                             ;   in Loop: Header=BB4_2790 Depth=3
	s_or_b64 exec, exec, s[72:73]
.LBB4_3027:                             ;   in Loop: Header=BB4_2790 Depth=3
	s_or_b64 exec, exec, s[36:37]
                                        ; implicit-def: $vgpr8
.LBB4_3028:                             ;   in Loop: Header=BB4_2790 Depth=3
	s_andn2_saveexec_b64 s[30:31], s[34:35]
; %bb.3029:                             ;   in Loop: Header=BB4_2790 Depth=3
	v_or_b32_sdwa v1, v8, s92 dst_sel:DWORD dst_unused:UNUSED_PAD src0_sel:BYTE_3 src1_sel:DWORD
	v_cmp_eq_u64_e32 vcc, 0, v[58:59]
	v_cndmask_b32_e32 v36, v1, v36, vcc
; %bb.3030:                             ;   in Loop: Header=BB4_2790 Depth=3
	s_or_b64 exec, exec, s[30:31]
	v_lshrrev_b32_e32 v8, 16, v14
	v_cmp_ne_u16_sdwa vcc, v8, v59 src0_sel:BYTE_0 src1_sel:DWORD
	v_mov_b32_e32 v9, 0
	v_mov_b32_e32 v12, 0
	s_and_saveexec_b64 s[30:31], vcc
	s_cbranch_execz .LBB4_3036
; %bb.3031:                             ;   in Loop: Header=BB4_2790 Depth=3
	v_cmp_ne_u16_sdwa vcc, v8, s91 src0_sel:BYTE_0 src1_sel:DWORD
	v_bfrev_b32_e32 v12, 1
	s_and_saveexec_b64 s[34:35], vcc
	s_cbranch_execz .LBB4_3035
; %bb.3032:                             ;   in Loop: Header=BB4_2790 Depth=3
	v_bfe_u32 v1, v14, 16, 7
	v_cmp_ne_u32_e32 vcc, s92, v1
	v_mov_b32_e32 v12, 0x7f800001
	s_and_saveexec_b64 s[36:37], vcc
	s_cbranch_execz .LBB4_3034
; %bb.3033:                             ;   in Loop: Header=BB4_2790 Depth=3
	v_and_b32_e32 v12, 7, v8
	v_ffbh_u32_e32 v32, v12
	v_min_u32_e32 v34, 32, v32
	v_subrev_u32_e32 v32, 28, v34
	v_lshlrev_b64 v[32:33], v32, v[8:9]
	v_lshrrev_b32_e32 v31, 3, v1
	v_sub_u32_e32 v33, 29, v34
	v_and_b32_e32 v32, 7, v32
	v_cmp_gt_u32_e32 vcc, 8, v1
	v_cndmask_b32_e32 v1, v31, v33, vcc
	v_cndmask_b32_e32 v12, v12, v32, vcc
	v_lshlrev_b32_e32 v8, 24, v8
	v_bfrev_b32_e32 v31, 60
	v_lshlrev_b32_e32 v12, 20, v12
	v_and_b32_e32 v8, 0x80000000, v8
	v_lshl_add_u32 v1, v1, 23, v31
	v_or3_b32 v12, v8, v1, v12
.LBB4_3034:                             ;   in Loop: Header=BB4_2790 Depth=3
	s_or_b64 exec, exec, s[36:37]
.LBB4_3035:                             ;   in Loop: Header=BB4_2790 Depth=3
	s_or_b64 exec, exec, s[34:35]
.LBB4_3036:                             ;   in Loop: Header=BB4_2790 Depth=3
	s_or_b64 exec, exec, s[30:31]
	v_lshrrev_b32_e32 v8, 16, v10
	v_cmp_ne_u16_sdwa vcc, v8, v59 src0_sel:BYTE_0 src1_sel:DWORD
	s_and_saveexec_b64 s[30:31], vcc
	s_cbranch_execz .LBB4_3042
; %bb.3037:                             ;   in Loop: Header=BB4_2790 Depth=3
	v_cmp_ne_u16_sdwa vcc, v8, s91 src0_sel:BYTE_0 src1_sel:DWORD
	v_bfrev_b32_e32 v9, 1
	s_and_saveexec_b64 s[34:35], vcc
	s_cbranch_execz .LBB4_3041
; %bb.3038:                             ;   in Loop: Header=BB4_2790 Depth=3
	v_bfe_u32 v1, v10, 16, 7
	v_cmp_ne_u32_e32 vcc, s92, v1
	v_mov_b32_e32 v9, 0x7f800001
	s_and_saveexec_b64 s[36:37], vcc
	s_cbranch_execz .LBB4_3040
; %bb.3039:                             ;   in Loop: Header=BB4_2790 Depth=3
	v_and_b32_e32 v31, 7, v8
	v_ffbh_u32_e32 v9, v31
	v_min_u32_e32 v33, 32, v9
	v_subrev_u32_e32 v9, 28, v33
	v_lshlrev_b64 v[8:9], v9, v[8:9]
	v_lshrrev_b32_e32 v32, 3, v1
	v_sub_u32_e32 v9, 29, v33
	v_and_b32_e32 v8, 7, v8
	v_cmp_gt_u32_e32 vcc, 8, v1
	v_cndmask_b32_e32 v1, v32, v9, vcc
	v_cndmask_b32_e32 v8, v31, v8, vcc
	v_lshlrev_b32_e32 v9, 8, v10
	v_bfrev_b32_e32 v31, 60
	v_lshlrev_b32_e32 v8, 20, v8
	v_and_b32_e32 v9, 0x80000000, v9
	v_lshl_add_u32 v1, v1, 23, v31
	v_or3_b32 v9, v9, v1, v8
.LBB4_3040:                             ;   in Loop: Header=BB4_2790 Depth=3
	s_or_b64 exec, exec, s[36:37]
.LBB4_3041:                             ;   in Loop: Header=BB4_2790 Depth=3
	s_or_b64 exec, exec, s[34:35]
.LBB4_3042:                             ;   in Loop: Header=BB4_2790 Depth=3
	s_or_b64 exec, exec, s[30:31]
	v_add_f32_e32 v8, v12, v9
	v_and_b32_sdwa v12, v8, s91 dst_sel:DWORD dst_unused:UNUSED_PAD src0_sel:BYTE_3 src1_sel:DWORD
	v_and_b32_e32 v32, 0x7f800000, v8
	v_mov_b32_e32 v33, v59
	v_and_b32_e32 v58, 0x7fffff, v8
	v_or_b32_e32 v37, 0x7e, v12
	v_cmp_ne_u64_e32 vcc, s[54:55], v[32:33]
	s_and_saveexec_b64 s[30:31], vcc
	s_xor_b64 s[34:35], exec, s[30:31]
	s_cbranch_execz .LBB4_3052
; %bb.3043:                             ;   in Loop: Header=BB4_2790 Depth=3
	v_and_b32_e32 v32, 0x7fffffff, v8
	v_mov_b32_e32 v33, v59
	v_cmp_gt_u64_e32 vcc, s[56:57], v[32:33]
	s_and_saveexec_b64 s[36:37], vcc
	s_cbranch_execz .LBB4_3051
; %bb.3044:                             ;   in Loop: Header=BB4_2790 Depth=3
	v_cmp_ne_u32_e32 vcc, 0, v8
	v_mov_b32_e32 v37, 0
	s_and_saveexec_b64 s[72:73], vcc
	s_cbranch_execz .LBB4_3050
; %bb.3045:                             ;   in Loop: Header=BB4_2790 Depth=3
	v_bfe_u32 v1, v8, 23, 8
	v_sub_u32_e32 v9, 0x79, v1
	v_cmp_gt_u32_e32 vcc, s93, v1
	v_add_u32_e32 v8, 0xffffff81, v1
	v_cndmask_b32_e32 v9, 0, v9, vcc
	v_cmp_eq_u32_e32 vcc, 0, v1
	v_mov_b32_e32 v1, 0xffffff82
	v_cndmask_b32_e32 v1, v8, v1, vcc
	v_mov_b32_e32 v8, 0x78
	v_or_b32_e32 v31, 0x800000, v58
	v_cndmask_b32_e32 v37, v9, v8, vcc
	v_cndmask_b32_e32 v58, v31, v58, vcc
	v_add_u32_e32 v8, 20, v37
	v_lshlrev_b64 v[8:9], v8, -1
	v_add_u32_e32 v31, 19, v37
	v_lshrrev_b64 v[34:35], v37, v[58:59]
	v_not_b32_e32 v9, v9
	v_not_b32_e32 v8, v8
	v_lshlrev_b64 v[32:33], v31, 1
	v_lshrrev_b32_e32 v31, 23, v34
	v_and_b32_e32 v9, 0, v9
	v_and_b32_e32 v8, v58, v8
	v_add3_u32 v38, v37, v1, v31
	v_bfe_u32 v1, v34, 20, 1
	v_add_u32_e32 v1, -1, v1
	v_cmp_eq_u64_e32 vcc, v[8:9], v[32:33]
	v_cndmask_b32_e32 v1, 0, v1, vcc
	v_add_u32_e32 v1, v1, v34
	v_and_b32_e32 v1, 0xfffff, v1
	v_add_co_u32_e32 v8, vcc, v1, v34
	v_add_u32_e32 v37, 6, v38
	v_addc_co_u32_e32 v9, vcc, 0, v35, vcc
	v_cmp_ne_u32_e32 vcc, 0, v37
                                        ; implicit-def: $vgpr31
	s_and_saveexec_b64 s[30:31], vcc
	s_xor_b64 s[30:31], exec, s[30:31]
; %bb.3046:                             ;   in Loop: Header=BB4_2790 Depth=3
	v_add_u32_e32 v1, 7, v38
	v_cmp_lt_u64_e32 vcc, s[58:59], v[8:9]
	v_cndmask_b32_e32 v31, v37, v1, vcc
	v_cndmask_b32_e64 v1, 0, 1, vcc
	v_lshrrev_b64 v[8:9], v1, v[8:9]
; %bb.3047:                             ;   in Loop: Header=BB4_2790 Depth=3
	s_andn2_saveexec_b64 vcc, s[30:31]
; %bb.3048:                             ;   in Loop: Header=BB4_2790 Depth=3
	v_bfe_u32 v31, v8, 23, 1
; %bb.3049:                             ;   in Loop: Header=BB4_2790 Depth=3
	s_or_b64 exec, exec, vcc
	v_lshrrev_b64 v[8:9], 20, v[8:9]
	v_cmp_gt_i32_e32 vcc, 16, v31
	v_cndmask_b32_e32 v9, 0, v9, vcc
	v_cndmask_b32_e32 v8, 7, v8, vcc
	v_min_i32_e32 v1, 15, v31
	v_cmp_eq_u32_e32 vcc, 0, v31
	v_cmp_eq_u64_e64 s[30:31], 0, v[8:9]
	v_lshlrev_b32_e32 v1, 3, v1
	v_and_or_b32 v1, v8, 7, v1
	s_and_b64 vcc, vcc, s[30:31]
	v_cndmask_b32_e64 v1, v1, 0, vcc
	v_or_b32_e32 v37, v1, v12
.LBB4_3050:                             ;   in Loop: Header=BB4_2790 Depth=3
	s_or_b64 exec, exec, s[72:73]
.LBB4_3051:                             ;   in Loop: Header=BB4_2790 Depth=3
	s_or_b64 exec, exec, s[36:37]
                                        ; implicit-def: $vgpr8
.LBB4_3052:                             ;   in Loop: Header=BB4_2790 Depth=3
	s_andn2_saveexec_b64 s[30:31], s[34:35]
; %bb.3053:                             ;   in Loop: Header=BB4_2790 Depth=3
	v_or_b32_sdwa v1, v8, s92 dst_sel:DWORD dst_unused:UNUSED_PAD src0_sel:BYTE_3 src1_sel:DWORD
	v_cmp_eq_u64_e32 vcc, 0, v[58:59]
	v_cndmask_b32_e32 v37, v1, v37, vcc
; %bb.3054:                             ;   in Loop: Header=BB4_2790 Depth=3
	s_or_b64 exec, exec, s[30:31]
	v_cmp_lt_u32_e32 vcc, s45, v14
	v_mov_b32_e32 v9, 0
	v_mov_b32_e32 v12, 0
	s_and_saveexec_b64 s[30:31], vcc
	s_cbranch_execz .LBB4_3060
; %bb.3055:                             ;   in Loop: Header=BB4_2790 Depth=3
	v_lshrrev_b32_e32 v8, 24, v14
	v_cmp_ne_u32_e32 vcc, s91, v8
	v_bfrev_b32_e32 v12, 1
	s_and_saveexec_b64 s[34:35], vcc
	s_cbranch_execz .LBB4_3059
; %bb.3056:                             ;   in Loop: Header=BB4_2790 Depth=3
	v_bfe_u32 v1, v14, 24, 7
	v_cmp_ne_u32_e32 vcc, s92, v1
	v_mov_b32_e32 v12, 0x7f800001
	s_and_saveexec_b64 s[36:37], vcc
	s_cbranch_execz .LBB4_3058
; %bb.3057:                             ;   in Loop: Header=BB4_2790 Depth=3
	v_and_b32_e32 v12, 7, v8
	v_ffbh_u32_e32 v32, v12
	v_min_u32_e32 v34, 32, v32
	v_subrev_u32_e32 v32, 28, v34
	v_lshlrev_b64 v[32:33], v32, v[8:9]
	v_lshrrev_b32_e32 v31, 3, v1
	v_sub_u32_e32 v33, 29, v34
	v_and_b32_e32 v32, 7, v32
	v_cmp_gt_u32_e32 vcc, 8, v1
	v_cndmask_b32_e32 v1, v31, v33, vcc
	v_cndmask_b32_e32 v12, v12, v32, vcc
	v_lshlrev_b32_e32 v8, 24, v8
	v_bfrev_b32_e32 v31, 60
	v_lshlrev_b32_e32 v12, 20, v12
	v_and_b32_e32 v8, 0x80000000, v8
	v_lshl_add_u32 v1, v1, 23, v31
	v_or3_b32 v12, v8, v1, v12
.LBB4_3058:                             ;   in Loop: Header=BB4_2790 Depth=3
	s_or_b64 exec, exec, s[36:37]
.LBB4_3059:                             ;   in Loop: Header=BB4_2790 Depth=3
	s_or_b64 exec, exec, s[34:35]
.LBB4_3060:                             ;   in Loop: Header=BB4_2790 Depth=3
	s_or_b64 exec, exec, s[30:31]
	v_cmp_lt_u32_e32 vcc, s45, v10
	s_and_saveexec_b64 s[30:31], vcc
	s_cbranch_execz .LBB4_3066
; %bb.3061:                             ;   in Loop: Header=BB4_2790 Depth=3
	v_lshrrev_b32_e32 v8, 24, v10
	v_cmp_ne_u32_e32 vcc, s91, v8
	v_bfrev_b32_e32 v9, 1
	s_and_saveexec_b64 s[34:35], vcc
	s_cbranch_execz .LBB4_3065
; %bb.3062:                             ;   in Loop: Header=BB4_2790 Depth=3
	v_bfe_u32 v1, v10, 24, 7
	v_cmp_ne_u32_e32 vcc, s92, v1
	v_mov_b32_e32 v9, 0x7f800001
	s_and_saveexec_b64 s[36:37], vcc
	s_cbranch_execz .LBB4_3064
; %bb.3063:                             ;   in Loop: Header=BB4_2790 Depth=3
	v_and_b32_e32 v9, 7, v8
	v_ffbh_u32_e32 v32, v9
	v_min_u32_e32 v34, 32, v32
	v_subrev_u32_e32 v32, 28, v34
	v_lshlrev_b64 v[32:33], v32, v[8:9]
	v_lshrrev_b32_e32 v31, 3, v1
	v_sub_u32_e32 v33, 29, v34
	v_and_b32_e32 v32, 7, v32
	v_cmp_gt_u32_e32 vcc, 8, v1
	v_cndmask_b32_e32 v1, v31, v33, vcc
	v_cndmask_b32_e32 v9, v9, v32, vcc
	v_lshlrev_b32_e32 v8, 24, v8
	v_bfrev_b32_e32 v31, 60
	v_lshlrev_b32_e32 v9, 20, v9
	v_and_b32_e32 v8, 0x80000000, v8
	v_lshl_add_u32 v1, v1, 23, v31
	v_or3_b32 v9, v8, v1, v9
.LBB4_3064:                             ;   in Loop: Header=BB4_2790 Depth=3
	s_or_b64 exec, exec, s[36:37]
.LBB4_3065:                             ;   in Loop: Header=BB4_2790 Depth=3
	s_or_b64 exec, exec, s[34:35]
.LBB4_3066:                             ;   in Loop: Header=BB4_2790 Depth=3
	s_or_b64 exec, exec, s[30:31]
	v_add_f32_e32 v8, v12, v9
	v_and_b32_sdwa v12, v8, s91 dst_sel:DWORD dst_unused:UNUSED_PAD src0_sel:BYTE_3 src1_sel:DWORD
	v_and_b32_e32 v32, 0x7f800000, v8
	v_mov_b32_e32 v33, v59
	v_and_b32_e32 v58, 0x7fffff, v8
	v_or_b32_e32 v38, 0x7e, v12
	v_cmp_ne_u64_e32 vcc, s[54:55], v[32:33]
	s_and_saveexec_b64 s[30:31], vcc
	s_xor_b64 s[34:35], exec, s[30:31]
	s_cbranch_execz .LBB4_3076
; %bb.3067:                             ;   in Loop: Header=BB4_2790 Depth=3
	v_and_b32_e32 v32, 0x7fffffff, v8
	v_mov_b32_e32 v33, v59
	v_cmp_gt_u64_e32 vcc, s[56:57], v[32:33]
	s_and_saveexec_b64 s[36:37], vcc
	s_cbranch_execz .LBB4_3075
; %bb.3068:                             ;   in Loop: Header=BB4_2790 Depth=3
	v_cmp_ne_u32_e32 vcc, 0, v8
	v_mov_b32_e32 v38, 0
	s_and_saveexec_b64 s[72:73], vcc
	s_cbranch_execz .LBB4_3074
; %bb.3069:                             ;   in Loop: Header=BB4_2790 Depth=3
	v_bfe_u32 v1, v8, 23, 8
	v_sub_u32_e32 v9, 0x79, v1
	v_cmp_gt_u32_e32 vcc, s93, v1
	v_add_u32_e32 v8, 0xffffff81, v1
	v_cndmask_b32_e32 v9, 0, v9, vcc
	v_cmp_eq_u32_e32 vcc, 0, v1
	v_mov_b32_e32 v1, 0xffffff82
	v_cndmask_b32_e32 v1, v8, v1, vcc
	v_mov_b32_e32 v8, 0x78
	v_or_b32_e32 v31, 0x800000, v58
	v_cndmask_b32_e32 v38, v9, v8, vcc
	v_cndmask_b32_e32 v58, v31, v58, vcc
	v_add_u32_e32 v8, 20, v38
	v_lshlrev_b64 v[8:9], v8, -1
	v_add_u32_e32 v31, 19, v38
	v_lshrrev_b64 v[34:35], v38, v[58:59]
	v_not_b32_e32 v9, v9
	v_not_b32_e32 v8, v8
	v_lshlrev_b64 v[32:33], v31, 1
	v_lshrrev_b32_e32 v31, 23, v34
	v_and_b32_e32 v9, 0, v9
	v_and_b32_e32 v8, v58, v8
	v_add3_u32 v39, v38, v1, v31
	v_bfe_u32 v1, v34, 20, 1
	v_add_u32_e32 v1, -1, v1
	v_cmp_eq_u64_e32 vcc, v[8:9], v[32:33]
	v_cndmask_b32_e32 v1, 0, v1, vcc
	v_add_u32_e32 v1, v1, v34
	v_and_b32_e32 v1, 0xfffff, v1
	v_add_co_u32_e32 v8, vcc, v1, v34
	v_add_u32_e32 v38, 6, v39
	v_addc_co_u32_e32 v9, vcc, 0, v35, vcc
	v_cmp_ne_u32_e32 vcc, 0, v38
                                        ; implicit-def: $vgpr31
	s_and_saveexec_b64 s[30:31], vcc
	s_xor_b64 s[30:31], exec, s[30:31]
; %bb.3070:                             ;   in Loop: Header=BB4_2790 Depth=3
	v_add_u32_e32 v1, 7, v39
	v_cmp_lt_u64_e32 vcc, s[58:59], v[8:9]
	v_cndmask_b32_e32 v31, v38, v1, vcc
	v_cndmask_b32_e64 v1, 0, 1, vcc
	v_lshrrev_b64 v[8:9], v1, v[8:9]
; %bb.3071:                             ;   in Loop: Header=BB4_2790 Depth=3
	s_andn2_saveexec_b64 vcc, s[30:31]
; %bb.3072:                             ;   in Loop: Header=BB4_2790 Depth=3
	v_bfe_u32 v31, v8, 23, 1
; %bb.3073:                             ;   in Loop: Header=BB4_2790 Depth=3
	s_or_b64 exec, exec, vcc
	v_lshrrev_b64 v[8:9], 20, v[8:9]
	v_cmp_gt_i32_e32 vcc, 16, v31
	v_cndmask_b32_e32 v9, 0, v9, vcc
	v_cndmask_b32_e32 v8, 7, v8, vcc
	v_min_i32_e32 v1, 15, v31
	v_cmp_eq_u32_e32 vcc, 0, v31
	v_cmp_eq_u64_e64 s[30:31], 0, v[8:9]
	v_lshlrev_b32_e32 v1, 3, v1
	v_and_or_b32 v1, v8, 7, v1
	s_and_b64 vcc, vcc, s[30:31]
	v_cndmask_b32_e64 v1, v1, 0, vcc
	v_or_b32_e32 v38, v1, v12
.LBB4_3074:                             ;   in Loop: Header=BB4_2790 Depth=3
	s_or_b64 exec, exec, s[72:73]
.LBB4_3075:                             ;   in Loop: Header=BB4_2790 Depth=3
	s_or_b64 exec, exec, s[36:37]
                                        ; implicit-def: $vgpr8
.LBB4_3076:                             ;   in Loop: Header=BB4_2790 Depth=3
	s_andn2_saveexec_b64 s[30:31], s[34:35]
; %bb.3077:                             ;   in Loop: Header=BB4_2790 Depth=3
	v_or_b32_sdwa v1, v8, s92 dst_sel:DWORD dst_unused:UNUSED_PAD src0_sel:BYTE_3 src1_sel:DWORD
	v_cmp_eq_u64_e32 vcc, 0, v[58:59]
	v_cndmask_b32_e32 v38, v1, v38, vcc
; %bb.3078:                             ;   in Loop: Header=BB4_2790 Depth=3
	s_or_b64 exec, exec, s[30:31]
	v_mov_b32_e32 v58, v15
	v_cmp_ne_u16_sdwa vcc, v15, v59 src0_sel:BYTE_0 src1_sel:DWORD
	v_mov_b32_e32 v9, 0
	v_mov_b32_e32 v8, 0
	s_and_saveexec_b64 s[30:31], vcc
	s_cbranch_execz .LBB4_3084
; %bb.3079:                             ;   in Loop: Header=BB4_2790 Depth=3
	v_cmp_ne_u16_sdwa vcc, v15, s91 src0_sel:BYTE_0 src1_sel:DWORD
	v_bfrev_b32_e32 v8, 1
	s_and_saveexec_b64 s[34:35], vcc
	s_cbranch_execz .LBB4_3083
; %bb.3080:                             ;   in Loop: Header=BB4_2790 Depth=3
	v_and_b32_e32 v1, 0x7f, v15
	v_cmp_ne_u32_e32 vcc, s92, v1
	v_mov_b32_e32 v8, 0x7f800001
	s_and_saveexec_b64 s[36:37], vcc
	s_cbranch_execz .LBB4_3082
; %bb.3081:                             ;   in Loop: Header=BB4_2790 Depth=3
	v_and_b32_e32 v8, 7, v15
	v_ffbh_u32_e32 v8, v8
	v_min_u32_e32 v8, 32, v8
	v_lshrrev_b32_e32 v12, 3, v1
	v_subrev_u32_e32 v31, 28, v8
	v_sub_u32_e32 v8, 29, v8
	v_cmp_gt_u32_e32 vcc, 8, v1
	v_cndmask_b32_e32 v1, v12, v8, vcc
	v_cndmask_b32_e32 v8, 0, v31, vcc
	v_lshlrev_b64 v[32:33], v8, v[58:59]
	v_lshlrev_b32_e32 v8, 20, v32
	v_lshlrev_b32_e32 v12, 24, v58
	v_bfrev_b32_e32 v31, 60
	v_and_b32_e32 v8, 0x700000, v8
	v_and_b32_e32 v12, 0x80000000, v12
	v_lshl_add_u32 v1, v1, 23, v31
	v_or3_b32 v8, v12, v1, v8
.LBB4_3082:                             ;   in Loop: Header=BB4_2790 Depth=3
	s_or_b64 exec, exec, s[36:37]
.LBB4_3083:                             ;   in Loop: Header=BB4_2790 Depth=3
	s_or_b64 exec, exec, s[34:35]
.LBB4_3084:                             ;   in Loop: Header=BB4_2790 Depth=3
	s_or_b64 exec, exec, s[30:31]
	v_cmp_ne_u16_sdwa vcc, v11, v59 src0_sel:BYTE_0 src1_sel:DWORD
	s_and_saveexec_b64 s[30:31], vcc
	s_cbranch_execz .LBB4_3090
; %bb.3085:                             ;   in Loop: Header=BB4_2790 Depth=3
	v_cmp_ne_u16_sdwa vcc, v11, s91 src0_sel:BYTE_0 src1_sel:DWORD
	v_bfrev_b32_e32 v9, 1
	s_and_saveexec_b64 s[34:35], vcc
	s_cbranch_execz .LBB4_3089
; %bb.3086:                             ;   in Loop: Header=BB4_2790 Depth=3
	v_and_b32_e32 v1, 0x7f, v11
	v_cmp_ne_u32_e32 vcc, s92, v1
	v_mov_b32_e32 v9, 0x7f800001
	s_and_saveexec_b64 s[36:37], vcc
	s_cbranch_execz .LBB4_3088
; %bb.3087:                             ;   in Loop: Header=BB4_2790 Depth=3
	v_and_b32_e32 v9, 7, v11
	v_ffbh_u32_e32 v9, v9
	v_min_u32_e32 v9, 32, v9
	v_lshrrev_b32_e32 v12, 3, v1
	v_subrev_u32_e32 v31, 28, v9
	v_sub_u32_e32 v9, 29, v9
	v_cmp_gt_u32_e32 vcc, 8, v1
	v_mov_b32_e32 v32, v11
	v_mov_b32_e32 v33, v59
	v_cndmask_b32_e32 v1, v12, v9, vcc
	v_cndmask_b32_e32 v9, 0, v31, vcc
	v_lshlrev_b64 v[34:35], v9, v[32:33]
	v_lshlrev_b32_e32 v9, 20, v34
	v_lshlrev_b32_e32 v12, 24, v32
	v_bfrev_b32_e32 v31, 60
	v_and_b32_e32 v9, 0x700000, v9
	v_and_b32_e32 v12, 0x80000000, v12
	v_lshl_add_u32 v1, v1, 23, v31
	v_or3_b32 v9, v12, v1, v9
.LBB4_3088:                             ;   in Loop: Header=BB4_2790 Depth=3
	s_or_b64 exec, exec, s[36:37]
.LBB4_3089:                             ;   in Loop: Header=BB4_2790 Depth=3
	s_or_b64 exec, exec, s[34:35]
.LBB4_3090:                             ;   in Loop: Header=BB4_2790 Depth=3
	s_or_b64 exec, exec, s[30:31]
	v_add_f32_e32 v39, v8, v9
	v_and_b32_sdwa v12, v39, s91 dst_sel:DWORD dst_unused:UNUSED_PAD src0_sel:BYTE_3 src1_sel:DWORD
	v_and_b32_e32 v32, 0x7f800000, v39
	v_mov_b32_e32 v33, v59
	v_and_b32_e32 v8, 0x7fffff, v39
	v_mov_b32_e32 v9, v59
	v_or_b32_e32 v31, 0x7e, v12
	v_cmp_ne_u64_e32 vcc, s[54:55], v[32:33]
	s_and_saveexec_b64 s[30:31], vcc
	s_xor_b64 s[34:35], exec, s[30:31]
	s_cbranch_execz .LBB4_3100
; %bb.3091:                             ;   in Loop: Header=BB4_2790 Depth=3
	v_and_b32_e32 v32, 0x7fffffff, v39
	v_mov_b32_e32 v33, v59
	v_cmp_gt_u64_e32 vcc, s[56:57], v[32:33]
	s_and_saveexec_b64 s[36:37], vcc
	s_cbranch_execz .LBB4_3099
; %bb.3092:                             ;   in Loop: Header=BB4_2790 Depth=3
	v_cmp_ne_u32_e32 vcc, 0, v39
	v_mov_b32_e32 v31, 0
	s_and_saveexec_b64 s[72:73], vcc
	s_cbranch_execz .LBB4_3098
; %bb.3093:                             ;   in Loop: Header=BB4_2790 Depth=3
	v_bfe_u32 v1, v39, 23, 8
	v_sub_u32_e32 v32, 0x79, v1
	v_cmp_gt_u32_e32 vcc, s93, v1
	v_add_u32_e32 v31, 0xffffff81, v1
	v_cndmask_b32_e32 v32, 0, v32, vcc
	v_cmp_eq_u32_e32 vcc, 0, v1
	v_mov_b32_e32 v1, 0xffffff82
	v_cndmask_b32_e32 v1, v31, v1, vcc
	v_mov_b32_e32 v31, 0x78
	v_cndmask_b32_e32 v31, v32, v31, vcc
	v_or_b32_e32 v33, 0x800000, v8
	v_add_u32_e32 v32, 20, v31
	v_cndmask_b32_e32 v8, v33, v8, vcc
	v_lshlrev_b64 v[32:33], v32, -1
	v_not_b32_e32 v32, v32
	v_and_b32_e32 v32, v8, v32
	v_lshrrev_b64 v[8:9], v31, v[8:9]
	v_not_b32_e32 v33, v33
	v_add_u32_e32 v34, 19, v31
	v_lshrrev_b32_e32 v39, 23, v8
	v_and_b32_e32 v33, 0, v33
	v_lshlrev_b64 v[34:35], v34, 1
	v_add3_u32 v52, v31, v1, v39
	v_bfe_u32 v1, v8, 20, 1
	v_add_u32_e32 v1, -1, v1
	v_cmp_eq_u64_e32 vcc, v[32:33], v[34:35]
	v_cndmask_b32_e32 v1, 0, v1, vcc
	v_add_u32_e32 v1, v1, v8
	v_and_b32_e32 v1, 0xfffff, v1
	v_add_co_u32_e32 v8, vcc, v1, v8
	v_add_u32_e32 v39, 6, v52
	v_addc_co_u32_e32 v9, vcc, 0, v9, vcc
	v_cmp_ne_u32_e32 vcc, 0, v39
                                        ; implicit-def: $vgpr31
	s_and_saveexec_b64 s[30:31], vcc
	s_xor_b64 s[30:31], exec, s[30:31]
; %bb.3094:                             ;   in Loop: Header=BB4_2790 Depth=3
	v_add_u32_e32 v1, 7, v52
	v_cmp_lt_u64_e32 vcc, s[58:59], v[8:9]
	v_cndmask_b32_e32 v31, v39, v1, vcc
	v_cndmask_b32_e64 v1, 0, 1, vcc
	v_lshrrev_b64 v[8:9], v1, v[8:9]
; %bb.3095:                             ;   in Loop: Header=BB4_2790 Depth=3
	s_andn2_saveexec_b64 vcc, s[30:31]
; %bb.3096:                             ;   in Loop: Header=BB4_2790 Depth=3
	v_bfe_u32 v31, v8, 23, 1
; %bb.3097:                             ;   in Loop: Header=BB4_2790 Depth=3
	s_or_b64 exec, exec, vcc
	v_lshrrev_b64 v[8:9], 20, v[8:9]
	v_cmp_gt_i32_e32 vcc, 16, v31
	v_cndmask_b32_e32 v9, 0, v9, vcc
	v_cndmask_b32_e32 v8, 7, v8, vcc
	v_min_i32_e32 v1, 15, v31
	v_cmp_eq_u32_e32 vcc, 0, v31
	v_cmp_eq_u64_e64 s[30:31], 0, v[8:9]
	v_lshlrev_b32_e32 v1, 3, v1
	v_and_or_b32 v1, v8, 7, v1
	s_and_b64 vcc, vcc, s[30:31]
	v_cndmask_b32_e64 v1, v1, 0, vcc
	v_or_b32_e32 v31, v1, v12
.LBB4_3098:                             ;   in Loop: Header=BB4_2790 Depth=3
	s_or_b64 exec, exec, s[72:73]
.LBB4_3099:                             ;   in Loop: Header=BB4_2790 Depth=3
	s_or_b64 exec, exec, s[36:37]
                                        ; implicit-def: $vgpr39
                                        ; implicit-def: $vgpr8_vgpr9
.LBB4_3100:                             ;   in Loop: Header=BB4_2790 Depth=3
	s_andn2_saveexec_b64 s[30:31], s[34:35]
; %bb.3101:                             ;   in Loop: Header=BB4_2790 Depth=3
	v_or_b32_sdwa v1, v39, s92 dst_sel:DWORD dst_unused:UNUSED_PAD src0_sel:BYTE_3 src1_sel:DWORD
	v_cmp_eq_u64_e32 vcc, 0, v[8:9]
	v_cndmask_b32_e32 v31, v1, v31, vcc
; %bb.3102:                             ;   in Loop: Header=BB4_2790 Depth=3
	s_or_b64 exec, exec, s[30:31]
	v_lshrrev_b16_e32 v8, 8, v58
	v_cmp_ne_u16_e32 vcc, 0, v8
	v_mov_b32_e32 v9, 0
	v_mov_b32_e32 v39, 0
	s_and_saveexec_b64 s[30:31], vcc
	s_cbranch_execz .LBB4_3108
; %bb.3103:                             ;   in Loop: Header=BB4_2790 Depth=3
	v_cmp_ne_u16_e32 vcc, s91, v8
	v_bfrev_b32_e32 v39, 1
	s_and_saveexec_b64 s[34:35], vcc
	s_cbranch_execz .LBB4_3107
; %bb.3104:                             ;   in Loop: Header=BB4_2790 Depth=3
	v_and_b32_e32 v1, 0x7f, v8
	v_cmp_ne_u32_e32 vcc, s92, v1
	v_mov_b32_e32 v39, 0x7f800001
	s_and_saveexec_b64 s[36:37], vcc
	s_cbranch_execz .LBB4_3106
; %bb.3105:                             ;   in Loop: Header=BB4_2790 Depth=3
	v_and_b32_e32 v12, 7, v8
	v_ffbh_u32_e32 v32, v12
	v_min_u32_e32 v35, 32, v32
	v_subrev_u32_e32 v32, 28, v35
	v_lshlrev_b64 v[32:33], v32, v[8:9]
	v_lshrrev_b32_e32 v34, 3, v1
	v_sub_u32_e32 v8, 29, v35
	v_and_b32_e32 v32, 7, v32
	v_cmp_gt_u32_e32 vcc, 8, v1
	v_cndmask_b32_e32 v1, v34, v8, vcc
	v_cndmask_b32_e32 v8, v12, v32, vcc
	v_lshlrev_b32_e32 v12, 16, v58
	v_bfrev_b32_e32 v32, 60
	v_lshlrev_b32_e32 v8, 20, v8
	v_and_b32_e32 v12, 0x80000000, v12
	v_lshl_add_u32 v1, v1, 23, v32
	v_or3_b32 v39, v12, v1, v8
.LBB4_3106:                             ;   in Loop: Header=BB4_2790 Depth=3
	s_or_b64 exec, exec, s[36:37]
.LBB4_3107:                             ;   in Loop: Header=BB4_2790 Depth=3
	s_or_b64 exec, exec, s[34:35]
.LBB4_3108:                             ;   in Loop: Header=BB4_2790 Depth=3
	s_or_b64 exec, exec, s[30:31]
	v_mov_b32_e32 v8, v11
	v_lshrrev_b16_e32 v12, 8, v8
	v_cmp_ne_u16_e32 vcc, 0, v12
	s_and_saveexec_b64 s[30:31], vcc
	s_cbranch_execz .LBB4_3114
; %bb.3109:                             ;   in Loop: Header=BB4_2790 Depth=3
	v_cmp_ne_u16_e32 vcc, s91, v12
	v_bfrev_b32_e32 v9, 1
	s_and_saveexec_b64 s[34:35], vcc
	s_cbranch_execz .LBB4_3113
; %bb.3110:                             ;   in Loop: Header=BB4_2790 Depth=3
	v_and_b32_e32 v1, 0x7f, v12
	v_cmp_ne_u32_e32 vcc, s92, v1
	v_mov_b32_e32 v9, 0x7f800001
	s_and_saveexec_b64 s[36:37], vcc
	s_cbranch_execz .LBB4_3112
; %bb.3111:                             ;   in Loop: Header=BB4_2790 Depth=3
	v_and_b32_e32 v9, 7, v12
	v_ffbh_u32_e32 v32, v9
	v_min_u32_e32 v35, 32, v32
	v_subrev_u32_e32 v32, 28, v35
	v_lshlrev_b64 v[32:33], v32, v[12:13]
	v_lshrrev_b32_e32 v34, 3, v1
	v_sub_u32_e32 v12, 29, v35
	v_and_b32_e32 v32, 7, v32
	v_cmp_gt_u32_e32 vcc, 8, v1
	v_cndmask_b32_e32 v1, v34, v12, vcc
	v_cndmask_b32_e32 v9, v9, v32, vcc
	v_lshlrev_b32_e32 v8, 16, v8
	v_bfrev_b32_e32 v12, 60
	v_lshlrev_b32_e32 v9, 20, v9
	v_and_b32_e32 v8, 0x80000000, v8
	v_lshl_add_u32 v1, v1, 23, v12
	v_or3_b32 v9, v8, v1, v9
.LBB4_3112:                             ;   in Loop: Header=BB4_2790 Depth=3
	s_or_b64 exec, exec, s[36:37]
.LBB4_3113:                             ;   in Loop: Header=BB4_2790 Depth=3
	s_or_b64 exec, exec, s[34:35]
.LBB4_3114:                             ;   in Loop: Header=BB4_2790 Depth=3
	s_or_b64 exec, exec, s[30:31]
	v_add_f32_e32 v8, v39, v9
	v_and_b32_sdwa v39, v8, s91 dst_sel:DWORD dst_unused:UNUSED_PAD src0_sel:BYTE_3 src1_sel:DWORD
	v_and_b32_e32 v32, 0x7f800000, v8
	v_mov_b32_e32 v33, v59
	v_and_b32_e32 v58, 0x7fffff, v8
	v_or_b32_e32 v12, 0x7e, v39
	v_cmp_ne_u64_e32 vcc, s[54:55], v[32:33]
	s_and_saveexec_b64 s[30:31], vcc
	s_xor_b64 s[34:35], exec, s[30:31]
	s_cbranch_execz .LBB4_3124
; %bb.3115:                             ;   in Loop: Header=BB4_2790 Depth=3
	v_and_b32_e32 v32, 0x7fffffff, v8
	v_mov_b32_e32 v33, v59
	v_cmp_gt_u64_e32 vcc, s[56:57], v[32:33]
	s_and_saveexec_b64 s[36:37], vcc
	s_cbranch_execz .LBB4_3123
; %bb.3116:                             ;   in Loop: Header=BB4_2790 Depth=3
	v_cmp_ne_u32_e32 vcc, 0, v8
	v_mov_b32_e32 v12, 0
	s_and_saveexec_b64 s[72:73], vcc
	s_cbranch_execz .LBB4_3122
; %bb.3117:                             ;   in Loop: Header=BB4_2790 Depth=3
	v_bfe_u32 v1, v8, 23, 8
	v_sub_u32_e32 v9, 0x79, v1
	v_cmp_gt_u32_e32 vcc, s93, v1
	v_add_u32_e32 v8, 0xffffff81, v1
	v_cndmask_b32_e32 v9, 0, v9, vcc
	v_cmp_eq_u32_e32 vcc, 0, v1
	v_mov_b32_e32 v1, 0xffffff82
	v_cndmask_b32_e32 v1, v8, v1, vcc
	v_mov_b32_e32 v8, 0x78
	v_or_b32_e32 v12, 0x800000, v58
	v_cndmask_b32_e32 v52, v9, v8, vcc
	v_cndmask_b32_e32 v58, v12, v58, vcc
	v_add_u32_e32 v8, 20, v52
	v_lshlrev_b64 v[8:9], v8, -1
	v_add_u32_e32 v12, 19, v52
	v_lshrrev_b64 v[34:35], v52, v[58:59]
	v_not_b32_e32 v9, v9
	v_not_b32_e32 v8, v8
	v_lshlrev_b64 v[32:33], v12, 1
	v_lshrrev_b32_e32 v12, 23, v34
	v_and_b32_e32 v9, 0, v9
	v_and_b32_e32 v8, v58, v8
	v_add3_u32 v53, v52, v1, v12
	v_bfe_u32 v1, v34, 20, 1
	v_add_u32_e32 v1, -1, v1
	v_cmp_eq_u64_e32 vcc, v[8:9], v[32:33]
	v_cndmask_b32_e32 v1, 0, v1, vcc
	v_add_u32_e32 v1, v1, v34
	v_and_b32_e32 v1, 0xfffff, v1
	v_add_co_u32_e32 v8, vcc, v1, v34
	v_add_u32_e32 v52, 6, v53
	v_addc_co_u32_e32 v9, vcc, 0, v35, vcc
	v_cmp_ne_u32_e32 vcc, 0, v52
                                        ; implicit-def: $vgpr12
	s_and_saveexec_b64 s[30:31], vcc
	s_xor_b64 s[30:31], exec, s[30:31]
; %bb.3118:                             ;   in Loop: Header=BB4_2790 Depth=3
	v_add_u32_e32 v1, 7, v53
	v_cmp_lt_u64_e32 vcc, s[58:59], v[8:9]
	v_cndmask_b32_e32 v12, v52, v1, vcc
	v_cndmask_b32_e64 v1, 0, 1, vcc
	v_lshrrev_b64 v[8:9], v1, v[8:9]
; %bb.3119:                             ;   in Loop: Header=BB4_2790 Depth=3
	s_andn2_saveexec_b64 vcc, s[30:31]
; %bb.3120:                             ;   in Loop: Header=BB4_2790 Depth=3
	v_bfe_u32 v12, v8, 23, 1
; %bb.3121:                             ;   in Loop: Header=BB4_2790 Depth=3
	s_or_b64 exec, exec, vcc
	v_lshrrev_b64 v[8:9], 20, v[8:9]
	v_cmp_gt_i32_e32 vcc, 16, v12
	v_cndmask_b32_e32 v9, 0, v9, vcc
	v_cndmask_b32_e32 v8, 7, v8, vcc
	v_min_i32_e32 v1, 15, v12
	v_cmp_eq_u32_e32 vcc, 0, v12
	v_cmp_eq_u64_e64 s[30:31], 0, v[8:9]
	v_lshlrev_b32_e32 v1, 3, v1
	v_and_or_b32 v1, v8, 7, v1
	s_and_b64 vcc, vcc, s[30:31]
	v_cndmask_b32_e64 v1, v1, 0, vcc
	v_or_b32_e32 v12, v1, v39
.LBB4_3122:                             ;   in Loop: Header=BB4_2790 Depth=3
	s_or_b64 exec, exec, s[72:73]
.LBB4_3123:                             ;   in Loop: Header=BB4_2790 Depth=3
	s_or_b64 exec, exec, s[36:37]
                                        ; implicit-def: $vgpr8
.LBB4_3124:                             ;   in Loop: Header=BB4_2790 Depth=3
	s_andn2_saveexec_b64 s[30:31], s[34:35]
; %bb.3125:                             ;   in Loop: Header=BB4_2790 Depth=3
	v_or_b32_sdwa v1, v8, s92 dst_sel:DWORD dst_unused:UNUSED_PAD src0_sel:BYTE_3 src1_sel:DWORD
	v_cmp_eq_u64_e32 vcc, 0, v[58:59]
	v_cndmask_b32_e32 v12, v1, v12, vcc
; %bb.3126:                             ;   in Loop: Header=BB4_2790 Depth=3
	s_or_b64 exec, exec, s[30:31]
	v_lshrrev_b32_e32 v8, 16, v15
	v_cmp_ne_u16_sdwa vcc, v8, v59 src0_sel:BYTE_0 src1_sel:DWORD
	v_mov_b32_e32 v9, 0
	v_mov_b32_e32 v39, 0
	s_and_saveexec_b64 s[30:31], vcc
	s_cbranch_execz .LBB4_3132
; %bb.3127:                             ;   in Loop: Header=BB4_2790 Depth=3
	v_cmp_ne_u16_sdwa vcc, v8, s91 src0_sel:BYTE_0 src1_sel:DWORD
	v_bfrev_b32_e32 v39, 1
	s_and_saveexec_b64 s[34:35], vcc
	s_cbranch_execz .LBB4_3131
; %bb.3128:                             ;   in Loop: Header=BB4_2790 Depth=3
	v_bfe_u32 v1, v15, 16, 7
	v_cmp_ne_u32_e32 vcc, s92, v1
	v_mov_b32_e32 v39, 0x7f800001
	s_and_saveexec_b64 s[36:37], vcc
	s_cbranch_execz .LBB4_3130
; %bb.3129:                             ;   in Loop: Header=BB4_2790 Depth=3
	v_and_b32_e32 v34, 7, v8
	v_ffbh_u32_e32 v32, v34
	v_min_u32_e32 v39, 32, v32
	v_subrev_u32_e32 v32, 28, v39
	v_lshlrev_b64 v[32:33], v32, v[8:9]
	v_lshrrev_b32_e32 v35, 3, v1
	v_sub_u32_e32 v33, 29, v39
	v_and_b32_e32 v32, 7, v32
	v_cmp_gt_u32_e32 vcc, 8, v1
	v_cndmask_b32_e32 v1, v35, v33, vcc
	v_cndmask_b32_e32 v32, v34, v32, vcc
	v_lshlrev_b32_e32 v8, 24, v8
	v_bfrev_b32_e32 v33, 60
	v_lshlrev_b32_e32 v32, 20, v32
	v_and_b32_e32 v8, 0x80000000, v8
	v_lshl_add_u32 v1, v1, 23, v33
	v_or3_b32 v39, v8, v1, v32
.LBB4_3130:                             ;   in Loop: Header=BB4_2790 Depth=3
	s_or_b64 exec, exec, s[36:37]
.LBB4_3131:                             ;   in Loop: Header=BB4_2790 Depth=3
	s_or_b64 exec, exec, s[34:35]
.LBB4_3132:                             ;   in Loop: Header=BB4_2790 Depth=3
	s_or_b64 exec, exec, s[30:31]
	v_lshrrev_b32_e32 v8, 16, v11
	v_cmp_ne_u16_sdwa vcc, v8, v59 src0_sel:BYTE_0 src1_sel:DWORD
	s_and_saveexec_b64 s[30:31], vcc
	s_cbranch_execz .LBB4_3138
; %bb.3133:                             ;   in Loop: Header=BB4_2790 Depth=3
	v_cmp_ne_u16_sdwa vcc, v8, s91 src0_sel:BYTE_0 src1_sel:DWORD
	v_bfrev_b32_e32 v9, 1
	s_and_saveexec_b64 s[34:35], vcc
	s_cbranch_execz .LBB4_3137
; %bb.3134:                             ;   in Loop: Header=BB4_2790 Depth=3
	v_bfe_u32 v1, v11, 16, 7
	v_cmp_ne_u32_e32 vcc, s92, v1
	v_mov_b32_e32 v9, 0x7f800001
	s_and_saveexec_b64 s[36:37], vcc
	s_cbranch_execz .LBB4_3136
; %bb.3135:                             ;   in Loop: Header=BB4_2790 Depth=3
	v_and_b32_e32 v32, 7, v8
	v_ffbh_u32_e32 v9, v32
	v_min_u32_e32 v34, 32, v9
	v_subrev_u32_e32 v9, 28, v34
	v_lshlrev_b64 v[8:9], v9, v[8:9]
	v_lshrrev_b32_e32 v33, 3, v1
	v_sub_u32_e32 v9, 29, v34
	v_and_b32_e32 v8, 7, v8
	v_cmp_gt_u32_e32 vcc, 8, v1
	v_cndmask_b32_e32 v1, v33, v9, vcc
	v_cndmask_b32_e32 v8, v32, v8, vcc
	v_lshlrev_b32_e32 v9, 8, v11
	v_bfrev_b32_e32 v32, 60
	v_lshlrev_b32_e32 v8, 20, v8
	v_and_b32_e32 v9, 0x80000000, v9
	v_lshl_add_u32 v1, v1, 23, v32
	v_or3_b32 v9, v9, v1, v8
.LBB4_3136:                             ;   in Loop: Header=BB4_2790 Depth=3
	s_or_b64 exec, exec, s[36:37]
.LBB4_3137:                             ;   in Loop: Header=BB4_2790 Depth=3
	s_or_b64 exec, exec, s[34:35]
.LBB4_3138:                             ;   in Loop: Header=BB4_2790 Depth=3
	s_or_b64 exec, exec, s[30:31]
	v_add_f32_e32 v8, v39, v9
	v_and_b32_sdwa v52, v8, s91 dst_sel:DWORD dst_unused:UNUSED_PAD src0_sel:BYTE_3 src1_sel:DWORD
	v_and_b32_e32 v32, 0x7f800000, v8
	v_mov_b32_e32 v33, v59
	v_and_b32_e32 v58, 0x7fffff, v8
	v_or_b32_e32 v39, 0x7e, v52
	v_cmp_ne_u64_e32 vcc, s[54:55], v[32:33]
	s_and_saveexec_b64 s[30:31], vcc
	s_xor_b64 s[34:35], exec, s[30:31]
	s_cbranch_execz .LBB4_3148
; %bb.3139:                             ;   in Loop: Header=BB4_2790 Depth=3
	v_and_b32_e32 v32, 0x7fffffff, v8
	v_mov_b32_e32 v33, v59
	v_cmp_gt_u64_e32 vcc, s[56:57], v[32:33]
	s_and_saveexec_b64 s[36:37], vcc
	s_cbranch_execz .LBB4_3147
; %bb.3140:                             ;   in Loop: Header=BB4_2790 Depth=3
	v_cmp_ne_u32_e32 vcc, 0, v8
	v_mov_b32_e32 v39, 0
	s_and_saveexec_b64 s[72:73], vcc
	s_cbranch_execz .LBB4_3146
; %bb.3141:                             ;   in Loop: Header=BB4_2790 Depth=3
	v_bfe_u32 v1, v8, 23, 8
	v_sub_u32_e32 v9, 0x79, v1
	v_cmp_gt_u32_e32 vcc, s93, v1
	v_add_u32_e32 v8, 0xffffff81, v1
	v_cndmask_b32_e32 v9, 0, v9, vcc
	v_cmp_eq_u32_e32 vcc, 0, v1
	v_mov_b32_e32 v1, 0xffffff82
	v_cndmask_b32_e32 v1, v8, v1, vcc
	v_mov_b32_e32 v8, 0x78
	v_or_b32_e32 v32, 0x800000, v58
	v_cndmask_b32_e32 v39, v9, v8, vcc
	v_cndmask_b32_e32 v58, v32, v58, vcc
	v_add_u32_e32 v8, 20, v39
	v_lshlrev_b64 v[8:9], v8, -1
	v_lshrrev_b64 v[34:35], v39, v[58:59]
	v_not_b32_e32 v9, v9
	v_not_b32_e32 v8, v8
	v_add_u32_e32 v32, 19, v39
	v_lshrrev_b32_e32 v53, 23, v34
	v_and_b32_e32 v9, 0, v9
	v_and_b32_e32 v8, v58, v8
	v_lshlrev_b64 v[32:33], v32, 1
	v_add3_u32 v54, v39, v1, v53
	v_bfe_u32 v1, v34, 20, 1
	v_add_u32_e32 v1, -1, v1
	v_cmp_eq_u64_e32 vcc, v[8:9], v[32:33]
	v_cndmask_b32_e32 v1, 0, v1, vcc
	v_add_u32_e32 v1, v1, v34
	v_and_b32_e32 v1, 0xfffff, v1
	v_add_co_u32_e32 v8, vcc, v1, v34
	v_add_u32_e32 v53, 6, v54
	v_addc_co_u32_e32 v9, vcc, 0, v35, vcc
	v_cmp_ne_u32_e32 vcc, 0, v53
                                        ; implicit-def: $vgpr39
	s_and_saveexec_b64 s[30:31], vcc
	s_xor_b64 s[30:31], exec, s[30:31]
; %bb.3142:                             ;   in Loop: Header=BB4_2790 Depth=3
	v_add_u32_e32 v1, 7, v54
	v_cmp_lt_u64_e32 vcc, s[58:59], v[8:9]
	v_cndmask_b32_e32 v39, v53, v1, vcc
	v_cndmask_b32_e64 v1, 0, 1, vcc
	v_lshrrev_b64 v[8:9], v1, v[8:9]
; %bb.3143:                             ;   in Loop: Header=BB4_2790 Depth=3
	s_andn2_saveexec_b64 vcc, s[30:31]
; %bb.3144:                             ;   in Loop: Header=BB4_2790 Depth=3
	v_bfe_u32 v39, v8, 23, 1
; %bb.3145:                             ;   in Loop: Header=BB4_2790 Depth=3
	s_or_b64 exec, exec, vcc
	v_lshrrev_b64 v[8:9], 20, v[8:9]
	v_cmp_gt_i32_e32 vcc, 16, v39
	v_min_i32_e32 v1, 15, v39
	v_cndmask_b32_e32 v9, 0, v9, vcc
	v_cndmask_b32_e32 v8, 7, v8, vcc
	v_lshlrev_b32_e32 v1, 3, v1
	v_cmp_eq_u32_e32 vcc, 0, v39
	v_cmp_eq_u64_e64 s[30:31], 0, v[8:9]
	v_and_b32_e32 v1, 0xf8, v1
	v_and_or_b32 v1, v8, 7, v1
	s_and_b64 vcc, vcc, s[30:31]
	v_cndmask_b32_e64 v1, v1, 0, vcc
	v_or_b32_e32 v39, v1, v52
.LBB4_3146:                             ;   in Loop: Header=BB4_2790 Depth=3
	s_or_b64 exec, exec, s[72:73]
.LBB4_3147:                             ;   in Loop: Header=BB4_2790 Depth=3
	s_or_b64 exec, exec, s[36:37]
                                        ; implicit-def: $vgpr8
.LBB4_3148:                             ;   in Loop: Header=BB4_2790 Depth=3
	s_andn2_saveexec_b64 s[30:31], s[34:35]
; %bb.3149:                             ;   in Loop: Header=BB4_2790 Depth=3
	v_or_b32_sdwa v1, v8, s92 dst_sel:DWORD dst_unused:UNUSED_PAD src0_sel:BYTE_3 src1_sel:DWORD
	v_cmp_eq_u64_e32 vcc, 0, v[58:59]
	v_cndmask_b32_e32 v39, v1, v39, vcc
; %bb.3150:                             ;   in Loop: Header=BB4_2790 Depth=3
	s_or_b64 exec, exec, s[30:31]
	v_cmp_lt_u64_e32 vcc, s[44:45], v[14:15]
	v_mov_b32_e32 v9, 0
	v_mov_b32_e32 v14, 0
	s_and_saveexec_b64 s[30:31], vcc
	s_cbranch_execz .LBB4_3156
; %bb.3151:                             ;   in Loop: Header=BB4_2790 Depth=3
	v_lshrrev_b32_e32 v8, 24, v15
	v_cmp_ne_u32_e32 vcc, s91, v8
	v_bfrev_b32_e32 v14, 1
	s_and_saveexec_b64 s[34:35], vcc
	s_cbranch_execz .LBB4_3155
; %bb.3152:                             ;   in Loop: Header=BB4_2790 Depth=3
	v_bfe_u32 v1, v15, 24, 7
	v_cmp_ne_u32_e32 vcc, s92, v1
	v_mov_b32_e32 v14, 0x7f800001
	s_and_saveexec_b64 s[36:37], vcc
	s_cbranch_execz .LBB4_3154
; %bb.3153:                             ;   in Loop: Header=BB4_2790 Depth=3
	v_and_b32_e32 v32, 7, v8
	v_ffbh_u32_e32 v14, v32
	v_min_u32_e32 v34, 32, v14
	v_subrev_u32_e32 v14, 28, v34
	v_lshlrev_b64 v[14:15], v14, v[8:9]
	v_lshrrev_b32_e32 v33, 3, v1
	v_sub_u32_e32 v15, 29, v34
	v_and_b32_e32 v14, 7, v14
	v_cmp_gt_u32_e32 vcc, 8, v1
	v_cndmask_b32_e32 v1, v33, v15, vcc
	v_cndmask_b32_e32 v14, v32, v14, vcc
	v_lshlrev_b32_e32 v8, 24, v8
	v_bfrev_b32_e32 v15, 60
	v_lshlrev_b32_e32 v14, 20, v14
	v_and_b32_e32 v8, 0x80000000, v8
	v_lshl_add_u32 v1, v1, 23, v15
	v_or3_b32 v14, v8, v1, v14
.LBB4_3154:                             ;   in Loop: Header=BB4_2790 Depth=3
	s_or_b64 exec, exec, s[36:37]
.LBB4_3155:                             ;   in Loop: Header=BB4_2790 Depth=3
	s_or_b64 exec, exec, s[34:35]
.LBB4_3156:                             ;   in Loop: Header=BB4_2790 Depth=3
	s_or_b64 exec, exec, s[30:31]
	v_cmp_lt_u64_e32 vcc, s[44:45], v[10:11]
	s_and_saveexec_b64 s[30:31], vcc
	s_cbranch_execz .LBB4_3162
; %bb.3157:                             ;   in Loop: Header=BB4_2790 Depth=3
	v_lshrrev_b32_e32 v8, 24, v11
	v_cmp_ne_u32_e32 vcc, s91, v8
	v_bfrev_b32_e32 v9, 1
	s_and_saveexec_b64 s[34:35], vcc
	s_cbranch_execz .LBB4_3161
; %bb.3158:                             ;   in Loop: Header=BB4_2790 Depth=3
	v_bfe_u32 v1, v11, 24, 7
	v_cmp_ne_u32_e32 vcc, s92, v1
	v_mov_b32_e32 v9, 0x7f800001
	s_and_saveexec_b64 s[36:37], vcc
	s_cbranch_execz .LBB4_3160
; %bb.3159:                             ;   in Loop: Header=BB4_2790 Depth=3
	v_and_b32_e32 v9, 7, v8
	v_ffbh_u32_e32 v10, v9
	v_min_u32_e32 v32, 32, v10
	v_subrev_u32_e32 v10, 28, v32
	v_lshlrev_b64 v[10:11], v10, v[8:9]
	v_lshrrev_b32_e32 v15, 3, v1
	v_sub_u32_e32 v11, 29, v32
	v_and_b32_e32 v10, 7, v10
	v_cmp_gt_u32_e32 vcc, 8, v1
	v_cndmask_b32_e32 v1, v15, v11, vcc
	v_cndmask_b32_e32 v9, v9, v10, vcc
	v_lshlrev_b32_e32 v8, 24, v8
	v_bfrev_b32_e32 v10, 60
	v_lshlrev_b32_e32 v9, 20, v9
	v_and_b32_e32 v8, 0x80000000, v8
	v_lshl_add_u32 v1, v1, 23, v10
	v_or3_b32 v9, v8, v1, v9
.LBB4_3160:                             ;   in Loop: Header=BB4_2790 Depth=3
	s_or_b64 exec, exec, s[36:37]
.LBB4_3161:                             ;   in Loop: Header=BB4_2790 Depth=3
	s_or_b64 exec, exec, s[34:35]
.LBB4_3162:                             ;   in Loop: Header=BB4_2790 Depth=3
	s_or_b64 exec, exec, s[30:31]
	v_add_f32_e32 v8, v14, v9
	v_and_b32_sdwa v10, v8, s91 dst_sel:DWORD dst_unused:UNUSED_PAD src0_sel:BYTE_3 src1_sel:DWORD
	v_and_b32_e32 v14, 0x7f800000, v8
	v_mov_b32_e32 v15, v59
	v_and_b32_e32 v58, 0x7fffff, v8
	v_or_b32_e32 v11, 0x7e, v10
	v_cmp_ne_u64_e32 vcc, s[54:55], v[14:15]
	s_and_saveexec_b64 s[30:31], vcc
	s_xor_b64 s[34:35], exec, s[30:31]
	s_cbranch_execz .LBB4_3172
; %bb.3163:                             ;   in Loop: Header=BB4_2790 Depth=3
	v_and_b32_e32 v14, 0x7fffffff, v8
	v_mov_b32_e32 v15, v59
	v_cmp_gt_u64_e32 vcc, s[56:57], v[14:15]
	s_and_saveexec_b64 s[36:37], vcc
	s_cbranch_execz .LBB4_3171
; %bb.3164:                             ;   in Loop: Header=BB4_2790 Depth=3
	v_cmp_ne_u32_e32 vcc, 0, v8
	v_mov_b32_e32 v11, 0
	s_and_saveexec_b64 s[72:73], vcc
	s_cbranch_execz .LBB4_3170
; %bb.3165:                             ;   in Loop: Header=BB4_2790 Depth=3
	v_bfe_u32 v1, v8, 23, 8
	v_sub_u32_e32 v9, 0x79, v1
	v_cmp_gt_u32_e32 vcc, s93, v1
	v_add_u32_e32 v8, 0xffffff81, v1
	v_cndmask_b32_e32 v9, 0, v9, vcc
	v_cmp_eq_u32_e32 vcc, 0, v1
	v_mov_b32_e32 v1, 0xffffff82
	v_cndmask_b32_e32 v1, v8, v1, vcc
	v_mov_b32_e32 v8, 0x78
	v_or_b32_e32 v11, 0x800000, v58
	v_cndmask_b32_e32 v14, v9, v8, vcc
	v_cndmask_b32_e32 v58, v11, v58, vcc
	v_add_u32_e32 v8, 20, v14
	v_lshlrev_b64 v[8:9], v8, -1
	v_add_u32_e32 v11, 19, v14
	v_lshrrev_b64 v[34:35], v14, v[58:59]
	v_not_b32_e32 v9, v9
	v_not_b32_e32 v8, v8
	v_lshlrev_b64 v[32:33], v11, 1
	v_lshrrev_b32_e32 v11, 23, v34
	v_and_b32_e32 v9, 0, v9
	v_and_b32_e32 v8, v58, v8
	v_add3_u32 v15, v14, v1, v11
	v_bfe_u32 v1, v34, 20, 1
	v_add_u32_e32 v1, -1, v1
	v_cmp_eq_u64_e32 vcc, v[8:9], v[32:33]
	v_cndmask_b32_e32 v1, 0, v1, vcc
	v_add_u32_e32 v1, v1, v34
	v_and_b32_e32 v1, 0xfffff, v1
	v_add_co_u32_e32 v8, vcc, v1, v34
	v_add_u32_e32 v14, 6, v15
	v_addc_co_u32_e32 v9, vcc, 0, v35, vcc
	v_cmp_ne_u32_e32 vcc, 0, v14
                                        ; implicit-def: $vgpr11
	s_and_saveexec_b64 s[30:31], vcc
	s_xor_b64 s[30:31], exec, s[30:31]
; %bb.3166:                             ;   in Loop: Header=BB4_2790 Depth=3
	v_add_u32_e32 v1, 7, v15
	v_cmp_lt_u64_e32 vcc, s[58:59], v[8:9]
	v_cndmask_b32_e32 v11, v14, v1, vcc
	v_cndmask_b32_e64 v1, 0, 1, vcc
	v_lshrrev_b64 v[8:9], v1, v[8:9]
; %bb.3167:                             ;   in Loop: Header=BB4_2790 Depth=3
	s_andn2_saveexec_b64 vcc, s[30:31]
; %bb.3168:                             ;   in Loop: Header=BB4_2790 Depth=3
	v_bfe_u32 v11, v8, 23, 1
; %bb.3169:                             ;   in Loop: Header=BB4_2790 Depth=3
	s_or_b64 exec, exec, vcc
	v_lshrrev_b64 v[8:9], 20, v[8:9]
	v_cmp_gt_i32_e32 vcc, 16, v11
	v_min_i32_e32 v1, 15, v11
	v_cndmask_b32_e32 v9, 0, v9, vcc
	v_cndmask_b32_e32 v8, 7, v8, vcc
	v_lshlrev_b32_e32 v1, 3, v1
	v_cmp_eq_u32_e32 vcc, 0, v11
	v_cmp_eq_u64_e64 s[30:31], 0, v[8:9]
	v_and_b32_e32 v1, 0xf8, v1
	v_and_or_b32 v1, v8, 7, v1
	s_and_b64 vcc, vcc, s[30:31]
	v_cndmask_b32_e64 v1, v1, 0, vcc
	v_or_b32_e32 v11, v1, v10
.LBB4_3170:                             ;   in Loop: Header=BB4_2790 Depth=3
	s_or_b64 exec, exec, s[72:73]
.LBB4_3171:                             ;   in Loop: Header=BB4_2790 Depth=3
	s_or_b64 exec, exec, s[36:37]
                                        ; implicit-def: $vgpr8
.LBB4_3172:                             ;   in Loop: Header=BB4_2790 Depth=3
	s_andn2_saveexec_b64 s[30:31], s[34:35]
; %bb.3173:                             ;   in Loop: Header=BB4_2790 Depth=3
	v_or_b32_sdwa v1, v8, s92 dst_sel:DWORD dst_unused:UNUSED_PAD src0_sel:BYTE_3 src1_sel:DWORD
	v_cmp_eq_u64_e32 vcc, 0, v[58:59]
	v_cndmask_b32_e32 v11, v1, v11, vcc
; %bb.3174:                             ;   in Loop: Header=BB4_2790 Depth=3
	s_or_b64 exec, exec, s[30:31]
	v_lshlrev_b32_e32 v1, 8, v24
	v_perm_b32 v1, v1, v30, s94
	v_lshl_or_b32 v1, v22, 16, v1
	v_lshl_or_b32 v9, v13, 24, v1
	v_and_b32_e32 v1, 0xff, v29
	v_lshlrev_b32_e32 v8, 8, v28
	v_lshlrev_b32_e32 v0, 24, v0
	v_lshlrev_b32_e32 v1, 16, v1
	v_perm_b32 v8, v8, v27, s94
	v_or3_b32 v8, v0, v1, v8
	v_and_b32_e32 v0, 0xff, v37
	v_lshlrev_b32_e32 v10, 8, v36
	v_lshlrev_b32_e32 v1, 24, v38
	;; [unrolled: 1-line block ×3, first 2 shown]
	v_perm_b32 v10, v10, v23, s94
	v_or3_b32 v10, v1, v0, v10
	v_lshlrev_b32_e32 v0, 8, v12
	v_perm_b32 v0, v0, v31, s94
	v_lshl_or_b32 v0, v39, 16, v0
	v_lshl_or_b32 v11, v11, 24, v0
	s_mov_b64 s[72:73], 0
	s_mov_b64 s[74:75], -1
.LBB4_3175:                             ;   Parent Loop BB4_47 Depth=1
                                        ;     Parent Loop BB4_1895 Depth=2
                                        ;       Parent Loop BB4_2790 Depth=3
                                        ; =>      This Inner Loop Header: Depth=4
	s_cmp_eq_u32 s72, 0
	s_cselect_b64 s[30:31], -1, 0
	s_cmp_eq_u32 s72, 1
	v_cndmask_b32_e64 v0, 0, 1, s[74:75]
	s_cselect_b64 s[36:37], -1, 0
	v_cmp_ne_u32_e64 s[34:35], 1, v0
	v_cndmask_b32_e64 v1, v5, v17, s[36:37]
	v_cndmask_b32_e64 v0, v4, v16, s[36:37]
	global_store_dwordx4 v[0:1], v[8:11], off glc slc
	v_add_co_u32_e32 v0, vcc, 0x400, v0
	v_addc_co_u32_e32 v1, vcc, 0, v1, vcc
	s_mov_b64 s[74:75], 0
	s_mov_b64 s[72:73], 1
	v_cndmask_b32_e64 v16, v16, v0, s[36:37]
	s_and_b64 vcc, exec, s[34:35]
	v_cndmask_b32_e64 v17, v17, v1, s[36:37]
	v_cndmask_b32_e64 v5, v5, v1, s[30:31]
	;; [unrolled: 1-line block ×3, first 2 shown]
	s_cbranch_vccz .LBB4_3175
; %bb.3176:                             ;   in Loop: Header=BB4_2790 Depth=3
	v_accvgpr_read_b32 v0, a39
	v_add_co_u32_e32 v18, vcc, v18, v0
	v_accvgpr_read_b32 v1, a40
	v_addc_co_u32_e32 v19, vcc, v19, v1, vcc
	v_add_co_u32_e32 v20, vcc, v20, v0
	v_addc_co_u32_e32 v21, vcc, v21, v1, vcc
	v_accvgpr_read_b32 v0, a30
	v_add_co_u32_e32 v4, vcc, v4, v0
	v_accvgpr_read_b32 v1, a33
	v_addc_co_u32_e32 v5, vcc, v5, v1, vcc
	v_add_co_u32_e32 v16, vcc, v16, v0
	v_accvgpr_read_b32 v0, a26
	v_addc_co_u32_e32 v17, vcc, v17, v1, vcc
	v_sub_u32_e32 v26, v26, v0
	v_cmp_gt_i32_e32 vcc, 16, v26
	v_accvgpr_read_b32 v0, a22
	s_or_b64 s[70:71], vcc, s[70:71]
	v_sub_u32_e32 v7, v7, v0
	s_andn2_b64 exec, exec, s[70:71]
	s_cbranch_execnz .LBB4_2790
; %bb.3177:                             ;   in Loop: Header=BB4_1895 Depth=2
	s_or_b64 exec, exec, s[70:71]
.LBB4_3178:                             ;   in Loop: Header=BB4_1895 Depth=2
	s_or_b64 exec, exec, s[68:69]
	buffer_load_dword v0, off, s[0:3], s33 offset:168 ; 4-byte Folded Reload
	s_mov_b64 s[30:31], 0
                                        ; implicit-def: $vgpr17
                                        ; implicit-def: $vgpr4
	s_waitcnt vmcnt(0)
	v_and_b32_e32 v1, 15, v0
	v_cndmask_b32_e64 v16, v25, v1, s[28:29]
	v_cmp_ne_u32_e32 vcc, 0, v16
	v_mov_b32_e32 v0, 0
	s_and_saveexec_b64 s[34:35], vcc
	s_cbranch_execz .LBB4_3180
; %bb.3179:                             ;   in Loop: Header=BB4_1895 Depth=2
	v_sub_u32_e32 v0, v25, v1
	v_cndmask_b32_e64 v0, 0, v0, s[28:29]
	v_add3_u32 v0, v6, v2, v0
	v_cmp_lt_i32_e32 vcc, 0, v7
	v_accvgpr_read_b32 v2, a22
	v_cndmask_b32_e32 v1, 0, v2, vcc
	v_sub_u32_e32 v1, v1, v7
	v_lshl_add_u32 v17, v1, 6, v3
	v_ashrrev_i32_e32 v1, 31, v17
	v_lshrrev_b32_e32 v1, 26, v1
	v_add_u32_e32 v1, v17, v1
	s_mov_b64 s[30:31], exec
	v_ashrrev_i32_e32 v4, 6, v1
.LBB4_3180:                             ;   in Loop: Header=BB4_1895 Depth=2
	s_or_b64 exec, exec, s[34:35]
	s_and_b64 s[28:29], s[30:31], exec
.LBB4_3181:                             ;   in Loop: Header=BB4_1895 Depth=2
	s_or_b64 exec, exec, s[66:67]
	v_accvgpr_read_b32 v24, a22
	s_and_saveexec_b64 s[34:35], s[28:29]
	s_cbranch_execz .LBB4_1967
.LBB4_3182:                             ;   in Loop: Header=BB4_1895 Depth=2
	s_waitcnt vmcnt(0)
	v_ashrrev_i32_e32 v1, 31, v16
	v_lshrrev_b32_e32 v1, 23, v1
	v_add_u32_e32 v1, v16, v1
	v_ashrrev_i32_e32 v6, 9, v1
	v_sub_u32_e32 v2, v6, v4
	v_ashrrev_i32_e32 v1, 31, v17
	v_cmp_lt_i32_e32 vcc, 0, v2
	v_lshrrev_b32_e32 v3, 26, v1
	s_and_saveexec_b64 s[30:31], vcc
	s_cbranch_execz .LBB4_3410
; %bb.3183:                             ;   in Loop: Header=BB4_1895 Depth=2
	s_trap 2
	ds_read_b128 v[8:11], v0
	v_add_u32_e32 v1, v17, v3
	v_and_b32_e32 v1, 0xffffffc0, v1
	v_sub_u32_e32 v1, v17, v1
	v_lshlrev_b32_e32 v4, 9, v4
	v_add3_u32 v1, v0, v1, v4
	v_ashrrev_i32_e32 v7, 31, v1
	s_waitcnt lgkmcnt(0)
	v_add_co_u32_e32 v4, vcc, v8, v1
	v_addc_co_u32_e32 v5, vcc, v9, v7, vcc
	v_add_co_u32_e32 v8, vcc, v10, v1
	v_addc_co_u32_e32 v9, vcc, v11, v7, vcc
	s_mov_b64 s[36:37], 0
	v_pk_mov_b32 v[10:11], v[4:5], v[4:5] op_sel:[0,1]
	v_pk_mov_b32 v[12:13], v[8:9], v[8:9] op_sel:[0,1]
	s_branch .LBB4_3185
.LBB4_3184:                             ;   in Loop: Header=BB4_3185 Depth=3
	s_or_b64 exec, exec, s[28:29]
	v_accvgpr_read_b32 v1, a36
	flat_store_byte v[10:11], v7 glc slc
	flat_store_byte v[10:11], v20 offset:64 glc slc
	flat_store_byte v[10:11], v23 offset:128 glc slc
	;; [unrolled: 1-line block ×7, first 2 shown]
	flat_store_byte v[12:13], v7 glc slc
	flat_store_byte v[12:13], v20 offset:64 glc slc
	flat_store_byte v[12:13], v23 offset:128 glc slc
	;; [unrolled: 1-line block ×7, first 2 shown]
	v_add_co_u32_e32 v4, vcc, v4, v1
	v_accvgpr_read_b32 v7, a37
	v_addc_co_u32_e32 v5, vcc, v5, v7, vcc
	v_add_co_u32_e32 v8, vcc, v8, v1
	v_addc_co_u32_e32 v9, vcc, v9, v7, vcc
	v_add_co_u32_e32 v10, vcc, v10, v1
	v_accvgpr_read_b32 v24, a22
	v_addc_co_u32_e32 v11, vcc, v11, v7, vcc
	v_sub_u32_e32 v2, v2, v24
	v_cmp_gt_i32_e32 vcc, 1, v2
	s_or_b64 s[36:37], vcc, s[36:37]
	v_add_co_u32_e32 v12, vcc, v12, v1
	v_addc_co_u32_e32 v13, vcc, v13, v7, vcc
	s_andn2_b64 exec, exec, s[36:37]
	s_cbranch_execz .LBB4_3409
.LBB4_3185:                             ;   Parent Loop BB4_47 Depth=1
                                        ;     Parent Loop BB4_1895 Depth=2
                                        ; =>    This Inner Loop Header: Depth=3
	flat_load_ubyte v37, v[4:5] glc slc
	flat_load_ubyte v31, v[4:5] offset:64 glc slc
	flat_load_ubyte v30, v[4:5] offset:128 glc slc
	;; [unrolled: 1-line block ×7, first 2 shown]
	flat_load_ubyte v7, v[8:9] glc slc
	flat_load_ubyte v20, v[8:9] offset:64 glc slc
	flat_load_ubyte v23, v[8:9] offset:128 glc slc
	;; [unrolled: 1-line block ×7, first 2 shown]
	v_mov_b32_e32 v15, 0
	v_mov_b32_e32 v36, 0
	s_waitcnt vmcnt(0) lgkmcnt(0)
	v_cmp_ne_u16_e32 vcc, 0, v37
	s_and_saveexec_b64 s[28:29], vcc
	s_cbranch_execz .LBB4_3191
; %bb.3186:                             ;   in Loop: Header=BB4_3185 Depth=3
	v_cmp_ne_u16_e32 vcc, s91, v37
	v_bfrev_b32_e32 v36, 1
	s_and_saveexec_b64 s[66:67], vcc
	s_cbranch_execz .LBB4_3190
; %bb.3187:                             ;   in Loop: Header=BB4_3185 Depth=3
	v_and_b32_e32 v14, 0xffff, v37
	v_and_b32_e32 v1, 0x7f, v14
	v_cmp_ne_u32_e32 vcc, s92, v1
	v_mov_b32_e32 v36, 0x7f800001
	s_and_saveexec_b64 s[68:69], vcc
	s_cbranch_execz .LBB4_3189
; %bb.3188:                             ;   in Loop: Header=BB4_3185 Depth=3
	v_and_b32_e32 v34, 7, v14
	v_ffbh_u32_e32 v32, v34
	v_min_u32_e32 v36, 32, v32
	v_subrev_u32_e32 v32, 28, v36
	v_lshlrev_b64 v[32:33], v32, v[14:15]
	v_lshrrev_b32_e32 v35, 3, v1
	v_sub_u32_e32 v14, 29, v36
	v_and_b32_e32 v32, 7, v32
	v_cmp_gt_u32_e32 vcc, 8, v1
	v_cndmask_b32_e32 v1, v35, v14, vcc
	v_cndmask_b32_e32 v14, v34, v32, vcc
	v_lshlrev_b32_e32 v32, 24, v37
	v_bfrev_b32_e32 v33, 60
	v_lshlrev_b32_e32 v14, 20, v14
	v_and_b32_e32 v32, 0x80000000, v32
	v_lshl_add_u32 v1, v1, 23, v33
	v_or3_b32 v36, v32, v1, v14
.LBB4_3189:                             ;   in Loop: Header=BB4_3185 Depth=3
	s_or_b64 exec, exec, s[68:69]
.LBB4_3190:                             ;   in Loop: Header=BB4_3185 Depth=3
	s_or_b64 exec, exec, s[66:67]
.LBB4_3191:                             ;   in Loop: Header=BB4_3185 Depth=3
	s_or_b64 exec, exec, s[28:29]
	v_and_b32_e32 v14, 0xff, v7
	v_cmp_ne_u16_e32 vcc, 0, v14
	s_and_saveexec_b64 s[28:29], vcc
	s_cbranch_execz .LBB4_3197
; %bb.3192:                             ;   in Loop: Header=BB4_3185 Depth=3
	v_cmp_ne_u16_e32 vcc, s91, v14
	v_bfrev_b32_e32 v15, 1
	s_and_saveexec_b64 s[66:67], vcc
	s_cbranch_execz .LBB4_3196
; %bb.3193:                             ;   in Loop: Header=BB4_3185 Depth=3
	v_and_b32_e32 v1, 0x7f, v7
	v_cmp_ne_u32_e32 vcc, s92, v1
	v_mov_b32_e32 v15, 0x7f800001
	s_and_saveexec_b64 s[68:69], vcc
	s_cbranch_execz .LBB4_3195
; %bb.3194:                             ;   in Loop: Header=BB4_3185 Depth=3
	v_and_b32_e32 v32, 7, v14
	v_ffbh_u32_e32 v15, v32
	v_min_u32_e32 v34, 32, v15
	v_subrev_u32_e32 v15, 28, v34
	v_lshlrev_b64 v[14:15], v15, v[14:15]
	v_lshrrev_b32_e32 v33, 3, v1
	v_sub_u32_e32 v15, 29, v34
	v_and_b32_e32 v14, 7, v14
	v_cmp_gt_u32_e32 vcc, 8, v1
	v_cndmask_b32_e32 v1, v33, v15, vcc
	v_cndmask_b32_e32 v14, v32, v14, vcc
	v_lshlrev_b32_e32 v7, 24, v7
	v_bfrev_b32_e32 v15, 60
	v_lshlrev_b32_e32 v14, 20, v14
	v_and_b32_e32 v7, 0x80000000, v7
	v_lshl_add_u32 v1, v1, 23, v15
	v_or3_b32 v15, v7, v1, v14
.LBB4_3195:                             ;   in Loop: Header=BB4_3185 Depth=3
	s_or_b64 exec, exec, s[68:69]
.LBB4_3196:                             ;   in Loop: Header=BB4_3185 Depth=3
	s_or_b64 exec, exec, s[66:67]
.LBB4_3197:                             ;   in Loop: Header=BB4_3185 Depth=3
	s_or_b64 exec, exec, s[28:29]
	v_add_f32_e32 v14, v36, v15
	v_and_b32_sdwa v36, v14, s91 dst_sel:DWORD dst_unused:UNUSED_PAD src0_sel:BYTE_3 src1_sel:DWORD
	v_and_b32_e32 v32, 0x7f800000, v14
	v_mov_b32_e32 v33, v59
	v_and_b32_e32 v58, 0x7fffff, v14
	v_or_b32_e32 v7, 0x7e, v36
	v_cmp_ne_u64_e32 vcc, s[54:55], v[32:33]
	s_and_saveexec_b64 s[28:29], vcc
	s_xor_b64 s[66:67], exec, s[28:29]
	s_cbranch_execz .LBB4_3211
; %bb.3198:                             ;   in Loop: Header=BB4_3185 Depth=3
	v_and_b32_e32 v32, 0x7fffffff, v14
	v_mov_b32_e32 v33, v59
	v_cmp_gt_u64_e32 vcc, s[56:57], v[32:33]
	s_and_saveexec_b64 s[28:29], vcc
	s_xor_b64 s[68:69], exec, s[28:29]
	s_cbranch_execz .LBB4_3210
; %bb.3199:                             ;   in Loop: Header=BB4_3185 Depth=3
	v_cmp_ne_u32_e32 vcc, 0, v14
	v_mov_b32_e32 v7, 0
	s_and_saveexec_b64 s[70:71], vcc
	s_cbranch_execz .LBB4_3209
; %bb.3200:                             ;   in Loop: Header=BB4_3185 Depth=3
	v_bfe_u32 v1, v14, 23, 8
	v_sub_u32_e32 v14, 0x79, v1
	v_cmp_gt_u32_e32 vcc, s93, v1
	v_add_u32_e32 v7, 0xffffff81, v1
	v_cndmask_b32_e32 v14, 0, v14, vcc
	v_cmp_eq_u32_e32 vcc, 0, v1
	v_mov_b32_e32 v1, 0xffffff82
	v_cndmask_b32_e32 v1, v7, v1, vcc
	v_mov_b32_e32 v7, 0x78
	v_or_b32_e32 v15, 0x800000, v58
	v_cndmask_b32_e32 v7, v14, v7, vcc
	v_cndmask_b32_e32 v58, v15, v58, vcc
	v_add_u32_e32 v14, 20, v7
	v_lshlrev_b64 v[14:15], v14, -1
	v_lshrrev_b64 v[34:35], v7, v[58:59]
	v_not_b32_e32 v15, v15
	v_not_b32_e32 v14, v14
	v_add_u32_e32 v32, 19, v7
	v_lshrrev_b32_e32 v37, 23, v34
	v_and_b32_e32 v15, 0, v15
	v_and_b32_e32 v14, v58, v14
	v_lshlrev_b64 v[32:33], v32, 1
	v_add3_u32 v38, v7, v1, v37
	v_bfe_u32 v1, v34, 20, 1
	v_add_u32_e32 v1, -1, v1
	v_cmp_eq_u64_e32 vcc, v[14:15], v[32:33]
	v_cndmask_b32_e32 v1, 0, v1, vcc
	v_add_u32_e32 v1, v1, v34
	v_and_b32_e32 v1, 0xfffff, v1
	v_add_co_u32_e32 v14, vcc, v1, v34
	v_add_u32_e32 v7, 6, v38
	v_addc_co_u32_e32 v15, vcc, 0, v35, vcc
	v_cmp_ne_u32_e32 vcc, 0, v7
                                        ; implicit-def: $vgpr37
	s_and_saveexec_b64 s[28:29], vcc
	s_xor_b64 s[28:29], exec, s[28:29]
; %bb.3201:                             ;   in Loop: Header=BB4_3185 Depth=3
	v_add_u32_e32 v1, 7, v38
	v_cmp_lt_u64_e32 vcc, s[58:59], v[14:15]
	v_cndmask_b32_e32 v37, v7, v1, vcc
	v_cndmask_b32_e64 v1, 0, 1, vcc
	v_lshrrev_b64 v[14:15], v1, v[14:15]
; %bb.3202:                             ;   in Loop: Header=BB4_3185 Depth=3
	s_andn2_saveexec_b64 s[28:29], s[28:29]
; %bb.3203:                             ;   in Loop: Header=BB4_3185 Depth=3
	v_bfe_u32 v37, v14, 23, 1
; %bb.3204:                             ;   in Loop: Header=BB4_3185 Depth=3
	s_or_b64 exec, exec, s[28:29]
	v_lshrrev_b64 v[14:15], 20, v[14:15]
	v_cmp_gt_i32_e32 vcc, 16, v37
	v_cndmask_b32_e32 v15, 0, v15, vcc
	v_cndmask_b32_e32 v14, 7, v14, vcc
	v_cmp_ne_u32_e32 vcc, 0, v37
	v_cmp_ne_u64_e64 s[28:29], 0, v[14:15]
	s_or_b64 s[28:29], vcc, s[28:29]
                                        ; implicit-def: $vgpr7
	s_and_saveexec_b64 vcc, s[28:29]
	s_xor_b64 s[28:29], exec, vcc
; %bb.3205:                             ;   in Loop: Header=BB4_3185 Depth=3
	v_min_i32_e32 v1, 15, v37
	v_lshl_or_b32 v1, v1, 3, v36
	v_and_or_b32 v7, v14, 7, v1
                                        ; implicit-def: $vgpr36
; %bb.3206:                             ;   in Loop: Header=BB4_3185 Depth=3
	s_andn2_saveexec_b64 s[28:29], s[28:29]
; %bb.3207:                             ;   in Loop: Header=BB4_3185 Depth=3
	v_mov_b32_e32 v7, v36
; %bb.3208:                             ;   in Loop: Header=BB4_3185 Depth=3
	s_or_b64 exec, exec, s[28:29]
.LBB4_3209:                             ;   in Loop: Header=BB4_3185 Depth=3
	s_or_b64 exec, exec, s[70:71]
.LBB4_3210:                             ;   in Loop: Header=BB4_3185 Depth=3
	s_andn2_saveexec_b64 s[28:29], s[68:69]
	s_or_b64 exec, exec, s[28:29]
                                        ; implicit-def: $vgpr14
.LBB4_3211:                             ;   in Loop: Header=BB4_3185 Depth=3
	s_andn2_saveexec_b64 s[28:29], s[66:67]
; %bb.3212:                             ;   in Loop: Header=BB4_3185 Depth=3
	v_or_b32_sdwa v1, v14, s92 dst_sel:DWORD dst_unused:UNUSED_PAD src0_sel:BYTE_3 src1_sel:DWORD
	v_cmp_eq_u64_e32 vcc, 0, v[58:59]
	v_cndmask_b32_e32 v7, v1, v7, vcc
; %bb.3213:                             ;   in Loop: Header=BB4_3185 Depth=3
	s_or_b64 exec, exec, s[28:29]
	v_and_b32_e32 v14, 0xff, v31
	v_cmp_ne_u16_e32 vcc, 0, v14
	v_mov_b32_e32 v15, 0
	v_mov_b32_e32 v36, 0
	s_and_saveexec_b64 s[28:29], vcc
	s_cbranch_execz .LBB4_3219
; %bb.3214:                             ;   in Loop: Header=BB4_3185 Depth=3
	v_cmp_ne_u16_e32 vcc, s91, v14
	v_bfrev_b32_e32 v36, 1
	s_and_saveexec_b64 s[66:67], vcc
	s_cbranch_execz .LBB4_3218
; %bb.3215:                             ;   in Loop: Header=BB4_3185 Depth=3
	v_and_b32_e32 v1, 0x7f, v31
	v_cmp_ne_u32_e32 vcc, s92, v1
	v_mov_b32_e32 v36, 0x7f800001
	s_and_saveexec_b64 s[68:69], vcc
	s_cbranch_execz .LBB4_3217
; %bb.3216:                             ;   in Loop: Header=BB4_3185 Depth=3
	v_and_b32_e32 v34, 7, v14
	v_ffbh_u32_e32 v32, v34
	v_min_u32_e32 v36, 32, v32
	v_subrev_u32_e32 v32, 28, v36
	v_lshlrev_b64 v[32:33], v32, v[14:15]
	v_lshrrev_b32_e32 v35, 3, v1
	v_sub_u32_e32 v14, 29, v36
	v_and_b32_e32 v32, 7, v32
	v_cmp_gt_u32_e32 vcc, 8, v1
	v_cndmask_b32_e32 v1, v35, v14, vcc
	v_cndmask_b32_e32 v14, v34, v32, vcc
	v_lshlrev_b32_e32 v31, 24, v31
	v_bfrev_b32_e32 v32, 60
	v_lshlrev_b32_e32 v14, 20, v14
	v_and_b32_e32 v31, 0x80000000, v31
	v_lshl_add_u32 v1, v1, 23, v32
	v_or3_b32 v36, v31, v1, v14
.LBB4_3217:                             ;   in Loop: Header=BB4_3185 Depth=3
	s_or_b64 exec, exec, s[68:69]
.LBB4_3218:                             ;   in Loop: Header=BB4_3185 Depth=3
	s_or_b64 exec, exec, s[66:67]
.LBB4_3219:                             ;   in Loop: Header=BB4_3185 Depth=3
	s_or_b64 exec, exec, s[28:29]
	v_and_b32_e32 v14, 0xff, v20
	v_cmp_ne_u16_e32 vcc, 0, v14
	s_and_saveexec_b64 s[28:29], vcc
	s_cbranch_execz .LBB4_3225
; %bb.3220:                             ;   in Loop: Header=BB4_3185 Depth=3
	v_cmp_ne_u16_e32 vcc, s91, v14
	v_bfrev_b32_e32 v15, 1
	s_and_saveexec_b64 s[66:67], vcc
	s_cbranch_execz .LBB4_3224
; %bb.3221:                             ;   in Loop: Header=BB4_3185 Depth=3
	v_and_b32_e32 v1, 0x7f, v20
	v_cmp_ne_u32_e32 vcc, s92, v1
	v_mov_b32_e32 v15, 0x7f800001
	s_and_saveexec_b64 s[68:69], vcc
	s_cbranch_execz .LBB4_3223
; %bb.3222:                             ;   in Loop: Header=BB4_3185 Depth=3
	v_and_b32_e32 v31, 7, v14
	v_ffbh_u32_e32 v15, v31
	v_min_u32_e32 v33, 32, v15
	v_subrev_u32_e32 v15, 28, v33
	v_lshlrev_b64 v[14:15], v15, v[14:15]
	v_lshrrev_b32_e32 v32, 3, v1
	v_sub_u32_e32 v15, 29, v33
	v_and_b32_e32 v14, 7, v14
	v_cmp_gt_u32_e32 vcc, 8, v1
	v_cndmask_b32_e32 v1, v32, v15, vcc
	v_cndmask_b32_e32 v14, v31, v14, vcc
	v_lshlrev_b32_e32 v15, 24, v20
	v_bfrev_b32_e32 v20, 60
	v_lshlrev_b32_e32 v14, 20, v14
	v_and_b32_e32 v15, 0x80000000, v15
	v_lshl_add_u32 v1, v1, 23, v20
	v_or3_b32 v15, v15, v1, v14
.LBB4_3223:                             ;   in Loop: Header=BB4_3185 Depth=3
	s_or_b64 exec, exec, s[68:69]
.LBB4_3224:                             ;   in Loop: Header=BB4_3185 Depth=3
	s_or_b64 exec, exec, s[66:67]
.LBB4_3225:                             ;   in Loop: Header=BB4_3185 Depth=3
	s_or_b64 exec, exec, s[28:29]
	v_add_f32_e32 v14, v36, v15
	v_and_b32_sdwa v31, v14, s91 dst_sel:DWORD dst_unused:UNUSED_PAD src0_sel:BYTE_3 src1_sel:DWORD
	v_and_b32_e32 v32, 0x7f800000, v14
	v_mov_b32_e32 v33, v59
	v_and_b32_e32 v58, 0x7fffff, v14
	v_or_b32_e32 v20, 0x7e, v31
	v_cmp_ne_u64_e32 vcc, s[54:55], v[32:33]
	s_and_saveexec_b64 s[28:29], vcc
	s_xor_b64 s[66:67], exec, s[28:29]
	s_cbranch_execz .LBB4_3239
; %bb.3226:                             ;   in Loop: Header=BB4_3185 Depth=3
	v_and_b32_e32 v32, 0x7fffffff, v14
	v_mov_b32_e32 v33, v59
	v_cmp_gt_u64_e32 vcc, s[56:57], v[32:33]
	s_and_saveexec_b64 s[28:29], vcc
	s_xor_b64 s[68:69], exec, s[28:29]
	s_cbranch_execz .LBB4_3238
; %bb.3227:                             ;   in Loop: Header=BB4_3185 Depth=3
	v_cmp_ne_u32_e32 vcc, 0, v14
	v_mov_b32_e32 v20, 0
	s_and_saveexec_b64 s[70:71], vcc
	s_cbranch_execz .LBB4_3237
; %bb.3228:                             ;   in Loop: Header=BB4_3185 Depth=3
	v_bfe_u32 v1, v14, 23, 8
	v_sub_u32_e32 v15, 0x79, v1
	v_cmp_gt_u32_e32 vcc, s93, v1
	v_add_u32_e32 v14, 0xffffff81, v1
	v_cndmask_b32_e32 v15, 0, v15, vcc
	v_cmp_eq_u32_e32 vcc, 0, v1
	v_mov_b32_e32 v1, 0xffffff82
	v_cndmask_b32_e32 v1, v14, v1, vcc
	v_mov_b32_e32 v14, 0x78
	v_or_b32_e32 v20, 0x800000, v58
	v_cndmask_b32_e32 v36, v15, v14, vcc
	v_cndmask_b32_e32 v58, v20, v58, vcc
	v_add_u32_e32 v14, 20, v36
	v_lshlrev_b64 v[14:15], v14, -1
	v_add_u32_e32 v20, 19, v36
	v_lshrrev_b64 v[34:35], v36, v[58:59]
	v_not_b32_e32 v15, v15
	v_not_b32_e32 v14, v14
	v_lshlrev_b64 v[32:33], v20, 1
	v_lshrrev_b32_e32 v20, 23, v34
	v_and_b32_e32 v15, 0, v15
	v_and_b32_e32 v14, v58, v14
	v_add3_u32 v37, v36, v1, v20
	v_bfe_u32 v1, v34, 20, 1
	v_add_u32_e32 v1, -1, v1
	v_cmp_eq_u64_e32 vcc, v[14:15], v[32:33]
	v_cndmask_b32_e32 v1, 0, v1, vcc
	v_add_u32_e32 v1, v1, v34
	v_and_b32_e32 v1, 0xfffff, v1
	v_add_co_u32_e32 v14, vcc, v1, v34
	v_add_u32_e32 v20, 6, v37
	v_addc_co_u32_e32 v15, vcc, 0, v35, vcc
	v_cmp_ne_u32_e32 vcc, 0, v20
                                        ; implicit-def: $vgpr36
	s_and_saveexec_b64 s[28:29], vcc
	s_xor_b64 s[28:29], exec, s[28:29]
; %bb.3229:                             ;   in Loop: Header=BB4_3185 Depth=3
	v_add_u32_e32 v1, 7, v37
	v_cmp_lt_u64_e32 vcc, s[58:59], v[14:15]
	v_cndmask_b32_e32 v36, v20, v1, vcc
	v_cndmask_b32_e64 v1, 0, 1, vcc
	v_lshrrev_b64 v[14:15], v1, v[14:15]
; %bb.3230:                             ;   in Loop: Header=BB4_3185 Depth=3
	s_andn2_saveexec_b64 s[28:29], s[28:29]
; %bb.3231:                             ;   in Loop: Header=BB4_3185 Depth=3
	v_bfe_u32 v36, v14, 23, 1
; %bb.3232:                             ;   in Loop: Header=BB4_3185 Depth=3
	s_or_b64 exec, exec, s[28:29]
	v_lshrrev_b64 v[14:15], 20, v[14:15]
	v_cmp_gt_i32_e32 vcc, 16, v36
	v_cndmask_b32_e32 v15, 0, v15, vcc
	v_cndmask_b32_e32 v14, 7, v14, vcc
	v_cmp_ne_u32_e32 vcc, 0, v36
	v_cmp_ne_u64_e64 s[28:29], 0, v[14:15]
	s_or_b64 s[28:29], vcc, s[28:29]
                                        ; implicit-def: $vgpr20
	s_and_saveexec_b64 vcc, s[28:29]
	s_xor_b64 s[28:29], exec, vcc
; %bb.3233:                             ;   in Loop: Header=BB4_3185 Depth=3
	v_min_i32_e32 v1, 15, v36
	v_lshl_or_b32 v1, v1, 3, v31
	v_and_or_b32 v20, v14, 7, v1
                                        ; implicit-def: $vgpr31
; %bb.3234:                             ;   in Loop: Header=BB4_3185 Depth=3
	s_andn2_saveexec_b64 s[28:29], s[28:29]
; %bb.3235:                             ;   in Loop: Header=BB4_3185 Depth=3
	v_mov_b32_e32 v20, v31
; %bb.3236:                             ;   in Loop: Header=BB4_3185 Depth=3
	s_or_b64 exec, exec, s[28:29]
.LBB4_3237:                             ;   in Loop: Header=BB4_3185 Depth=3
	s_or_b64 exec, exec, s[70:71]
.LBB4_3238:                             ;   in Loop: Header=BB4_3185 Depth=3
	s_andn2_saveexec_b64 s[28:29], s[68:69]
	s_or_b64 exec, exec, s[28:29]
                                        ; implicit-def: $vgpr14
.LBB4_3239:                             ;   in Loop: Header=BB4_3185 Depth=3
	s_andn2_saveexec_b64 s[28:29], s[66:67]
; %bb.3240:                             ;   in Loop: Header=BB4_3185 Depth=3
	v_or_b32_sdwa v1, v14, s92 dst_sel:DWORD dst_unused:UNUSED_PAD src0_sel:BYTE_3 src1_sel:DWORD
	v_cmp_eq_u64_e32 vcc, 0, v[58:59]
	v_cndmask_b32_e32 v20, v1, v20, vcc
; %bb.3241:                             ;   in Loop: Header=BB4_3185 Depth=3
	s_or_b64 exec, exec, s[28:29]
	v_and_b32_e32 v14, 0xff, v30
	v_cmp_ne_u16_e32 vcc, 0, v14
	v_mov_b32_e32 v15, 0
	v_mov_b32_e32 v31, 0
	s_and_saveexec_b64 s[28:29], vcc
	s_cbranch_execz .LBB4_3247
; %bb.3242:                             ;   in Loop: Header=BB4_3185 Depth=3
	v_cmp_ne_u16_e32 vcc, s91, v14
	v_bfrev_b32_e32 v31, 1
	s_and_saveexec_b64 s[66:67], vcc
	s_cbranch_execz .LBB4_3246
; %bb.3243:                             ;   in Loop: Header=BB4_3185 Depth=3
	v_and_b32_e32 v1, 0x7f, v30
	v_cmp_ne_u32_e32 vcc, s92, v1
	v_mov_b32_e32 v31, 0x7f800001
	s_and_saveexec_b64 s[68:69], vcc
	s_cbranch_execz .LBB4_3245
; %bb.3244:                             ;   in Loop: Header=BB4_3185 Depth=3
	v_and_b32_e32 v31, 7, v14
	v_ffbh_u32_e32 v32, v31
	v_min_u32_e32 v35, 32, v32
	v_subrev_u32_e32 v32, 28, v35
	v_lshlrev_b64 v[32:33], v32, v[14:15]
	v_lshrrev_b32_e32 v34, 3, v1
	v_sub_u32_e32 v14, 29, v35
	v_and_b32_e32 v32, 7, v32
	v_cmp_gt_u32_e32 vcc, 8, v1
	v_cndmask_b32_e32 v1, v34, v14, vcc
	v_cndmask_b32_e32 v14, v31, v32, vcc
	v_lshlrev_b32_e32 v30, 24, v30
	v_bfrev_b32_e32 v31, 60
	v_lshlrev_b32_e32 v14, 20, v14
	v_and_b32_e32 v30, 0x80000000, v30
	v_lshl_add_u32 v1, v1, 23, v31
	v_or3_b32 v31, v30, v1, v14
.LBB4_3245:                             ;   in Loop: Header=BB4_3185 Depth=3
	s_or_b64 exec, exec, s[68:69]
.LBB4_3246:                             ;   in Loop: Header=BB4_3185 Depth=3
	s_or_b64 exec, exec, s[66:67]
.LBB4_3247:                             ;   in Loop: Header=BB4_3185 Depth=3
	s_or_b64 exec, exec, s[28:29]
	v_and_b32_e32 v14, 0xff, v23
	v_cmp_ne_u16_e32 vcc, 0, v14
	s_and_saveexec_b64 s[28:29], vcc
	s_cbranch_execz .LBB4_3253
; %bb.3248:                             ;   in Loop: Header=BB4_3185 Depth=3
	v_cmp_ne_u16_e32 vcc, s91, v14
	v_bfrev_b32_e32 v15, 1
	s_and_saveexec_b64 s[66:67], vcc
	s_cbranch_execz .LBB4_3252
; %bb.3249:                             ;   in Loop: Header=BB4_3185 Depth=3
	v_and_b32_e32 v1, 0x7f, v23
	v_cmp_ne_u32_e32 vcc, s92, v1
	v_mov_b32_e32 v15, 0x7f800001
	s_and_saveexec_b64 s[68:69], vcc
	s_cbranch_execz .LBB4_3251
; %bb.3250:                             ;   in Loop: Header=BB4_3185 Depth=3
	v_and_b32_e32 v30, 7, v14
	v_ffbh_u32_e32 v15, v30
	v_min_u32_e32 v33, 32, v15
	v_subrev_u32_e32 v15, 28, v33
	v_lshlrev_b64 v[14:15], v15, v[14:15]
	v_lshrrev_b32_e32 v32, 3, v1
	v_sub_u32_e32 v15, 29, v33
	v_and_b32_e32 v14, 7, v14
	v_cmp_gt_u32_e32 vcc, 8, v1
	v_cndmask_b32_e32 v1, v32, v15, vcc
	v_cndmask_b32_e32 v14, v30, v14, vcc
	v_lshlrev_b32_e32 v15, 24, v23
	v_bfrev_b32_e32 v23, 60
	v_lshlrev_b32_e32 v14, 20, v14
	v_and_b32_e32 v15, 0x80000000, v15
	v_lshl_add_u32 v1, v1, 23, v23
	v_or3_b32 v15, v15, v1, v14
.LBB4_3251:                             ;   in Loop: Header=BB4_3185 Depth=3
	s_or_b64 exec, exec, s[68:69]
.LBB4_3252:                             ;   in Loop: Header=BB4_3185 Depth=3
	s_or_b64 exec, exec, s[66:67]
.LBB4_3253:                             ;   in Loop: Header=BB4_3185 Depth=3
	s_or_b64 exec, exec, s[28:29]
	v_add_f32_e32 v14, v31, v15
	v_and_b32_sdwa v30, v14, s91 dst_sel:DWORD dst_unused:UNUSED_PAD src0_sel:BYTE_3 src1_sel:DWORD
	v_and_b32_e32 v32, 0x7f800000, v14
	v_mov_b32_e32 v33, v59
	v_and_b32_e32 v58, 0x7fffff, v14
	v_or_b32_e32 v23, 0x7e, v30
	v_cmp_ne_u64_e32 vcc, s[54:55], v[32:33]
	s_and_saveexec_b64 s[28:29], vcc
	s_xor_b64 s[66:67], exec, s[28:29]
	s_cbranch_execz .LBB4_3267
; %bb.3254:                             ;   in Loop: Header=BB4_3185 Depth=3
	v_and_b32_e32 v32, 0x7fffffff, v14
	v_mov_b32_e32 v33, v59
	v_cmp_gt_u64_e32 vcc, s[56:57], v[32:33]
	s_and_saveexec_b64 s[28:29], vcc
	s_xor_b64 s[68:69], exec, s[28:29]
	s_cbranch_execz .LBB4_3266
; %bb.3255:                             ;   in Loop: Header=BB4_3185 Depth=3
	v_cmp_ne_u32_e32 vcc, 0, v14
	v_mov_b32_e32 v23, 0
	s_and_saveexec_b64 s[70:71], vcc
	s_cbranch_execz .LBB4_3265
; %bb.3256:                             ;   in Loop: Header=BB4_3185 Depth=3
	v_bfe_u32 v1, v14, 23, 8
	v_sub_u32_e32 v15, 0x79, v1
	v_cmp_gt_u32_e32 vcc, s93, v1
	v_add_u32_e32 v14, 0xffffff81, v1
	v_cndmask_b32_e32 v15, 0, v15, vcc
	v_cmp_eq_u32_e32 vcc, 0, v1
	v_mov_b32_e32 v1, 0xffffff82
	v_cndmask_b32_e32 v1, v14, v1, vcc
	v_mov_b32_e32 v14, 0x78
	v_or_b32_e32 v23, 0x800000, v58
	v_cndmask_b32_e32 v31, v15, v14, vcc
	v_cndmask_b32_e32 v58, v23, v58, vcc
	v_add_u32_e32 v14, 20, v31
	v_lshlrev_b64 v[14:15], v14, -1
	v_add_u32_e32 v23, 19, v31
	v_lshrrev_b64 v[34:35], v31, v[58:59]
	v_not_b32_e32 v15, v15
	v_not_b32_e32 v14, v14
	v_lshlrev_b64 v[32:33], v23, 1
	v_lshrrev_b32_e32 v23, 23, v34
	v_and_b32_e32 v15, 0, v15
	v_and_b32_e32 v14, v58, v14
	v_add3_u32 v36, v31, v1, v23
	v_bfe_u32 v1, v34, 20, 1
	v_add_u32_e32 v1, -1, v1
	v_cmp_eq_u64_e32 vcc, v[14:15], v[32:33]
	v_cndmask_b32_e32 v1, 0, v1, vcc
	v_add_u32_e32 v1, v1, v34
	v_and_b32_e32 v1, 0xfffff, v1
	v_add_co_u32_e32 v14, vcc, v1, v34
	v_add_u32_e32 v23, 6, v36
	v_addc_co_u32_e32 v15, vcc, 0, v35, vcc
	v_cmp_ne_u32_e32 vcc, 0, v23
                                        ; implicit-def: $vgpr31
	s_and_saveexec_b64 s[28:29], vcc
	s_xor_b64 s[28:29], exec, s[28:29]
; %bb.3257:                             ;   in Loop: Header=BB4_3185 Depth=3
	v_add_u32_e32 v1, 7, v36
	v_cmp_lt_u64_e32 vcc, s[58:59], v[14:15]
	v_cndmask_b32_e32 v31, v23, v1, vcc
	v_cndmask_b32_e64 v1, 0, 1, vcc
	v_lshrrev_b64 v[14:15], v1, v[14:15]
; %bb.3258:                             ;   in Loop: Header=BB4_3185 Depth=3
	s_andn2_saveexec_b64 s[28:29], s[28:29]
; %bb.3259:                             ;   in Loop: Header=BB4_3185 Depth=3
	v_bfe_u32 v31, v14, 23, 1
; %bb.3260:                             ;   in Loop: Header=BB4_3185 Depth=3
	s_or_b64 exec, exec, s[28:29]
	v_lshrrev_b64 v[14:15], 20, v[14:15]
	v_cmp_gt_i32_e32 vcc, 16, v31
	v_cndmask_b32_e32 v15, 0, v15, vcc
	v_cndmask_b32_e32 v14, 7, v14, vcc
	v_cmp_ne_u32_e32 vcc, 0, v31
	v_cmp_ne_u64_e64 s[28:29], 0, v[14:15]
	s_or_b64 s[28:29], vcc, s[28:29]
                                        ; implicit-def: $vgpr23
	s_and_saveexec_b64 vcc, s[28:29]
	s_xor_b64 s[28:29], exec, vcc
; %bb.3261:                             ;   in Loop: Header=BB4_3185 Depth=3
	v_min_i32_e32 v1, 15, v31
	v_lshl_or_b32 v1, v1, 3, v30
	v_and_or_b32 v23, v14, 7, v1
                                        ; implicit-def: $vgpr30
; %bb.3262:                             ;   in Loop: Header=BB4_3185 Depth=3
	s_andn2_saveexec_b64 s[28:29], s[28:29]
; %bb.3263:                             ;   in Loop: Header=BB4_3185 Depth=3
	v_mov_b32_e32 v23, v30
; %bb.3264:                             ;   in Loop: Header=BB4_3185 Depth=3
	s_or_b64 exec, exec, s[28:29]
.LBB4_3265:                             ;   in Loop: Header=BB4_3185 Depth=3
	s_or_b64 exec, exec, s[70:71]
.LBB4_3266:                             ;   in Loop: Header=BB4_3185 Depth=3
	s_andn2_saveexec_b64 s[28:29], s[68:69]
	s_or_b64 exec, exec, s[28:29]
                                        ; implicit-def: $vgpr14
.LBB4_3267:                             ;   in Loop: Header=BB4_3185 Depth=3
	s_andn2_saveexec_b64 s[28:29], s[66:67]
; %bb.3268:                             ;   in Loop: Header=BB4_3185 Depth=3
	v_or_b32_sdwa v1, v14, s92 dst_sel:DWORD dst_unused:UNUSED_PAD src0_sel:BYTE_3 src1_sel:DWORD
	v_cmp_eq_u64_e32 vcc, 0, v[58:59]
	v_cndmask_b32_e32 v23, v1, v23, vcc
; %bb.3269:                             ;   in Loop: Header=BB4_3185 Depth=3
	s_or_b64 exec, exec, s[28:29]
	v_and_b32_e32 v14, 0xff, v29
	v_cmp_ne_u16_e32 vcc, 0, v14
	v_mov_b32_e32 v15, 0
	v_mov_b32_e32 v30, 0
	s_and_saveexec_b64 s[28:29], vcc
	s_cbranch_execz .LBB4_3275
; %bb.3270:                             ;   in Loop: Header=BB4_3185 Depth=3
	v_cmp_ne_u16_e32 vcc, s91, v14
	v_bfrev_b32_e32 v30, 1
	s_and_saveexec_b64 s[66:67], vcc
	s_cbranch_execz .LBB4_3274
; %bb.3271:                             ;   in Loop: Header=BB4_3185 Depth=3
	v_and_b32_e32 v1, 0x7f, v29
	v_cmp_ne_u32_e32 vcc, s92, v1
	v_mov_b32_e32 v30, 0x7f800001
	s_and_saveexec_b64 s[68:69], vcc
	s_cbranch_execz .LBB4_3273
; %bb.3272:                             ;   in Loop: Header=BB4_3185 Depth=3
	v_and_b32_e32 v32, 7, v14
	v_ffbh_u32_e32 v30, v32
	v_min_u32_e32 v34, 32, v30
	v_subrev_u32_e32 v30, 28, v34
	v_lshlrev_b64 v[30:31], v30, v[14:15]
	v_lshrrev_b32_e32 v33, 3, v1
	v_sub_u32_e32 v14, 29, v34
	v_and_b32_e32 v30, 7, v30
	v_cmp_gt_u32_e32 vcc, 8, v1
	v_cndmask_b32_e32 v1, v33, v14, vcc
	v_cndmask_b32_e32 v14, v32, v30, vcc
	v_lshlrev_b32_e32 v29, 24, v29
	v_bfrev_b32_e32 v30, 60
	v_lshlrev_b32_e32 v14, 20, v14
	v_and_b32_e32 v29, 0x80000000, v29
	v_lshl_add_u32 v1, v1, 23, v30
	v_or3_b32 v30, v29, v1, v14
.LBB4_3273:                             ;   in Loop: Header=BB4_3185 Depth=3
	s_or_b64 exec, exec, s[68:69]
.LBB4_3274:                             ;   in Loop: Header=BB4_3185 Depth=3
	s_or_b64 exec, exec, s[66:67]
.LBB4_3275:                             ;   in Loop: Header=BB4_3185 Depth=3
	s_or_b64 exec, exec, s[28:29]
	v_and_b32_e32 v14, 0xff, v26
	v_cmp_ne_u16_e32 vcc, 0, v14
	s_and_saveexec_b64 s[28:29], vcc
	s_cbranch_execz .LBB4_3281
; %bb.3276:                             ;   in Loop: Header=BB4_3185 Depth=3
	v_cmp_ne_u16_e32 vcc, s91, v14
	v_bfrev_b32_e32 v15, 1
	s_and_saveexec_b64 s[66:67], vcc
	s_cbranch_execz .LBB4_3280
; %bb.3277:                             ;   in Loop: Header=BB4_3185 Depth=3
	v_and_b32_e32 v1, 0x7f, v26
	v_cmp_ne_u32_e32 vcc, s92, v1
	v_mov_b32_e32 v15, 0x7f800001
	s_and_saveexec_b64 s[68:69], vcc
	s_cbranch_execz .LBB4_3279
; %bb.3278:                             ;   in Loop: Header=BB4_3185 Depth=3
	v_and_b32_e32 v29, 7, v14
	v_ffbh_u32_e32 v15, v29
	v_min_u32_e32 v32, 32, v15
	v_subrev_u32_e32 v15, 28, v32
	v_lshlrev_b64 v[14:15], v15, v[14:15]
	v_lshrrev_b32_e32 v31, 3, v1
	v_sub_u32_e32 v15, 29, v32
	v_and_b32_e32 v14, 7, v14
	v_cmp_gt_u32_e32 vcc, 8, v1
	v_cndmask_b32_e32 v1, v31, v15, vcc
	v_cndmask_b32_e32 v14, v29, v14, vcc
	v_lshlrev_b32_e32 v15, 24, v26
	v_bfrev_b32_e32 v26, 60
	v_lshlrev_b32_e32 v14, 20, v14
	v_and_b32_e32 v15, 0x80000000, v15
	v_lshl_add_u32 v1, v1, 23, v26
	v_or3_b32 v15, v15, v1, v14
.LBB4_3279:                             ;   in Loop: Header=BB4_3185 Depth=3
	s_or_b64 exec, exec, s[68:69]
.LBB4_3280:                             ;   in Loop: Header=BB4_3185 Depth=3
	s_or_b64 exec, exec, s[66:67]
.LBB4_3281:                             ;   in Loop: Header=BB4_3185 Depth=3
	s_or_b64 exec, exec, s[28:29]
	v_add_f32_e32 v14, v30, v15
	v_and_b32_sdwa v29, v14, s91 dst_sel:DWORD dst_unused:UNUSED_PAD src0_sel:BYTE_3 src1_sel:DWORD
	v_and_b32_e32 v30, 0x7f800000, v14
	v_mov_b32_e32 v31, v59
	v_and_b32_e32 v58, 0x7fffff, v14
	v_or_b32_e32 v26, 0x7e, v29
	v_cmp_ne_u64_e32 vcc, s[54:55], v[30:31]
	s_and_saveexec_b64 s[28:29], vcc
	s_xor_b64 s[66:67], exec, s[28:29]
	s_cbranch_execz .LBB4_3295
; %bb.3282:                             ;   in Loop: Header=BB4_3185 Depth=3
	v_and_b32_e32 v30, 0x7fffffff, v14
	v_mov_b32_e32 v31, v59
	v_cmp_gt_u64_e32 vcc, s[56:57], v[30:31]
	s_and_saveexec_b64 s[28:29], vcc
	s_xor_b64 s[68:69], exec, s[28:29]
	s_cbranch_execz .LBB4_3294
; %bb.3283:                             ;   in Loop: Header=BB4_3185 Depth=3
	v_cmp_ne_u32_e32 vcc, 0, v14
	v_mov_b32_e32 v26, 0
	s_and_saveexec_b64 s[70:71], vcc
	s_cbranch_execz .LBB4_3293
; %bb.3284:                             ;   in Loop: Header=BB4_3185 Depth=3
	v_bfe_u32 v1, v14, 23, 8
	v_sub_u32_e32 v15, 0x79, v1
	v_cmp_gt_u32_e32 vcc, s93, v1
	v_add_u32_e32 v14, 0xffffff81, v1
	v_cndmask_b32_e32 v15, 0, v15, vcc
	v_cmp_eq_u32_e32 vcc, 0, v1
	v_mov_b32_e32 v1, 0xffffff82
	v_cndmask_b32_e32 v1, v14, v1, vcc
	v_mov_b32_e32 v14, 0x78
	v_or_b32_e32 v26, 0x800000, v58
	v_cndmask_b32_e32 v30, v15, v14, vcc
	v_cndmask_b32_e32 v58, v26, v58, vcc
	v_add_u32_e32 v14, 20, v30
	v_lshlrev_b64 v[14:15], v14, -1
	v_add_u32_e32 v26, 19, v30
	v_lshrrev_b64 v[34:35], v30, v[58:59]
	v_not_b32_e32 v15, v15
	v_not_b32_e32 v14, v14
	v_lshlrev_b64 v[32:33], v26, 1
	v_lshrrev_b32_e32 v26, 23, v34
	v_and_b32_e32 v15, 0, v15
	v_and_b32_e32 v14, v58, v14
	v_add3_u32 v31, v30, v1, v26
	v_bfe_u32 v1, v34, 20, 1
	v_add_u32_e32 v1, -1, v1
	v_cmp_eq_u64_e32 vcc, v[14:15], v[32:33]
	v_cndmask_b32_e32 v1, 0, v1, vcc
	v_add_u32_e32 v1, v1, v34
	v_and_b32_e32 v1, 0xfffff, v1
	v_add_co_u32_e32 v14, vcc, v1, v34
	v_add_u32_e32 v26, 6, v31
	v_addc_co_u32_e32 v15, vcc, 0, v35, vcc
	v_cmp_ne_u32_e32 vcc, 0, v26
                                        ; implicit-def: $vgpr30
	s_and_saveexec_b64 s[28:29], vcc
	s_xor_b64 s[28:29], exec, s[28:29]
; %bb.3285:                             ;   in Loop: Header=BB4_3185 Depth=3
	v_add_u32_e32 v1, 7, v31
	v_cmp_lt_u64_e32 vcc, s[58:59], v[14:15]
	v_cndmask_b32_e32 v30, v26, v1, vcc
	v_cndmask_b32_e64 v1, 0, 1, vcc
	v_lshrrev_b64 v[14:15], v1, v[14:15]
; %bb.3286:                             ;   in Loop: Header=BB4_3185 Depth=3
	s_andn2_saveexec_b64 s[28:29], s[28:29]
; %bb.3287:                             ;   in Loop: Header=BB4_3185 Depth=3
	v_bfe_u32 v30, v14, 23, 1
; %bb.3288:                             ;   in Loop: Header=BB4_3185 Depth=3
	s_or_b64 exec, exec, s[28:29]
	v_lshrrev_b64 v[14:15], 20, v[14:15]
	v_cmp_gt_i32_e32 vcc, 16, v30
	v_cndmask_b32_e32 v15, 0, v15, vcc
	v_cndmask_b32_e32 v14, 7, v14, vcc
	v_cmp_ne_u32_e32 vcc, 0, v30
	v_cmp_ne_u64_e64 s[28:29], 0, v[14:15]
	s_or_b64 s[28:29], vcc, s[28:29]
                                        ; implicit-def: $vgpr26
	s_and_saveexec_b64 vcc, s[28:29]
	s_xor_b64 s[28:29], exec, vcc
; %bb.3289:                             ;   in Loop: Header=BB4_3185 Depth=3
	v_min_i32_e32 v1, 15, v30
	v_lshl_or_b32 v1, v1, 3, v29
	v_and_or_b32 v26, v14, 7, v1
                                        ; implicit-def: $vgpr29
; %bb.3290:                             ;   in Loop: Header=BB4_3185 Depth=3
	s_andn2_saveexec_b64 s[28:29], s[28:29]
; %bb.3291:                             ;   in Loop: Header=BB4_3185 Depth=3
	v_mov_b32_e32 v26, v29
; %bb.3292:                             ;   in Loop: Header=BB4_3185 Depth=3
	s_or_b64 exec, exec, s[28:29]
.LBB4_3293:                             ;   in Loop: Header=BB4_3185 Depth=3
	s_or_b64 exec, exec, s[70:71]
.LBB4_3294:                             ;   in Loop: Header=BB4_3185 Depth=3
	s_andn2_saveexec_b64 s[28:29], s[68:69]
	s_or_b64 exec, exec, s[28:29]
                                        ; implicit-def: $vgpr14
.LBB4_3295:                             ;   in Loop: Header=BB4_3185 Depth=3
	s_andn2_saveexec_b64 s[28:29], s[66:67]
; %bb.3296:                             ;   in Loop: Header=BB4_3185 Depth=3
	v_or_b32_sdwa v1, v14, s92 dst_sel:DWORD dst_unused:UNUSED_PAD src0_sel:BYTE_3 src1_sel:DWORD
	v_cmp_eq_u64_e32 vcc, 0, v[58:59]
	v_cndmask_b32_e32 v26, v1, v26, vcc
; %bb.3297:                             ;   in Loop: Header=BB4_3185 Depth=3
	s_or_b64 exec, exec, s[28:29]
	v_and_b32_e32 v14, 0xff, v28
	v_cmp_ne_u16_e32 vcc, 0, v14
	v_mov_b32_e32 v15, 0
	v_mov_b32_e32 v29, 0
	s_and_saveexec_b64 s[28:29], vcc
	s_cbranch_execz .LBB4_3303
; %bb.3298:                             ;   in Loop: Header=BB4_3185 Depth=3
	v_cmp_ne_u16_e32 vcc, s91, v14
	v_bfrev_b32_e32 v29, 1
	s_and_saveexec_b64 s[66:67], vcc
	s_cbranch_execz .LBB4_3302
; %bb.3299:                             ;   in Loop: Header=BB4_3185 Depth=3
	v_and_b32_e32 v1, 0x7f, v28
	v_cmp_ne_u32_e32 vcc, s92, v1
	v_mov_b32_e32 v29, 0x7f800001
	s_and_saveexec_b64 s[68:69], vcc
	s_cbranch_execz .LBB4_3301
; %bb.3300:                             ;   in Loop: Header=BB4_3185 Depth=3
	v_and_b32_e32 v29, 7, v14
	v_ffbh_u32_e32 v30, v29
	v_min_u32_e32 v33, 32, v30
	v_subrev_u32_e32 v30, 28, v33
	v_lshlrev_b64 v[30:31], v30, v[14:15]
	v_lshrrev_b32_e32 v32, 3, v1
	v_sub_u32_e32 v14, 29, v33
	v_and_b32_e32 v30, 7, v30
	v_cmp_gt_u32_e32 vcc, 8, v1
	v_cndmask_b32_e32 v1, v32, v14, vcc
	v_cndmask_b32_e32 v14, v29, v30, vcc
	v_lshlrev_b32_e32 v28, 24, v28
	v_bfrev_b32_e32 v29, 60
	v_lshlrev_b32_e32 v14, 20, v14
	v_and_b32_e32 v28, 0x80000000, v28
	v_lshl_add_u32 v1, v1, 23, v29
	v_or3_b32 v29, v28, v1, v14
.LBB4_3301:                             ;   in Loop: Header=BB4_3185 Depth=3
	s_or_b64 exec, exec, s[68:69]
.LBB4_3302:                             ;   in Loop: Header=BB4_3185 Depth=3
	s_or_b64 exec, exec, s[66:67]
.LBB4_3303:                             ;   in Loop: Header=BB4_3185 Depth=3
	s_or_b64 exec, exec, s[28:29]
	v_and_b32_e32 v14, 0xff, v27
	v_cmp_ne_u16_e32 vcc, 0, v14
	s_and_saveexec_b64 s[28:29], vcc
	s_cbranch_execz .LBB4_3309
; %bb.3304:                             ;   in Loop: Header=BB4_3185 Depth=3
	v_cmp_ne_u16_e32 vcc, s91, v14
	v_bfrev_b32_e32 v15, 1
	s_and_saveexec_b64 s[66:67], vcc
	s_cbranch_execz .LBB4_3308
; %bb.3305:                             ;   in Loop: Header=BB4_3185 Depth=3
	v_and_b32_e32 v1, 0x7f, v27
	v_cmp_ne_u32_e32 vcc, s92, v1
	v_mov_b32_e32 v15, 0x7f800001
	s_and_saveexec_b64 s[68:69], vcc
	s_cbranch_execz .LBB4_3307
; %bb.3306:                             ;   in Loop: Header=BB4_3185 Depth=3
	v_and_b32_e32 v28, 7, v14
	v_ffbh_u32_e32 v15, v28
	v_min_u32_e32 v31, 32, v15
	v_subrev_u32_e32 v15, 28, v31
	v_lshlrev_b64 v[14:15], v15, v[14:15]
	v_lshrrev_b32_e32 v30, 3, v1
	v_sub_u32_e32 v15, 29, v31
	v_and_b32_e32 v14, 7, v14
	v_cmp_gt_u32_e32 vcc, 8, v1
	v_cndmask_b32_e32 v1, v30, v15, vcc
	v_cndmask_b32_e32 v14, v28, v14, vcc
	v_lshlrev_b32_e32 v15, 24, v27
	v_bfrev_b32_e32 v27, 60
	v_lshlrev_b32_e32 v14, 20, v14
	v_and_b32_e32 v15, 0x80000000, v15
	v_lshl_add_u32 v1, v1, 23, v27
	v_or3_b32 v15, v15, v1, v14
.LBB4_3307:                             ;   in Loop: Header=BB4_3185 Depth=3
	s_or_b64 exec, exec, s[68:69]
.LBB4_3308:                             ;   in Loop: Header=BB4_3185 Depth=3
	s_or_b64 exec, exec, s[66:67]
.LBB4_3309:                             ;   in Loop: Header=BB4_3185 Depth=3
	s_or_b64 exec, exec, s[28:29]
	v_add_f32_e32 v14, v29, v15
	v_and_b32_sdwa v28, v14, s91 dst_sel:DWORD dst_unused:UNUSED_PAD src0_sel:BYTE_3 src1_sel:DWORD
	v_and_b32_e32 v30, 0x7f800000, v14
	v_mov_b32_e32 v31, v59
	v_and_b32_e32 v58, 0x7fffff, v14
	v_or_b32_e32 v27, 0x7e, v28
	v_cmp_ne_u64_e32 vcc, s[54:55], v[30:31]
	s_and_saveexec_b64 s[28:29], vcc
	s_xor_b64 s[66:67], exec, s[28:29]
	s_cbranch_execz .LBB4_3323
; %bb.3310:                             ;   in Loop: Header=BB4_3185 Depth=3
	v_and_b32_e32 v30, 0x7fffffff, v14
	v_mov_b32_e32 v31, v59
	v_cmp_gt_u64_e32 vcc, s[56:57], v[30:31]
	s_and_saveexec_b64 s[28:29], vcc
	s_xor_b64 s[68:69], exec, s[28:29]
	s_cbranch_execz .LBB4_3322
; %bb.3311:                             ;   in Loop: Header=BB4_3185 Depth=3
	v_cmp_ne_u32_e32 vcc, 0, v14
	v_mov_b32_e32 v27, 0
	s_and_saveexec_b64 s[70:71], vcc
	s_cbranch_execz .LBB4_3321
; %bb.3312:                             ;   in Loop: Header=BB4_3185 Depth=3
	v_bfe_u32 v1, v14, 23, 8
	v_sub_u32_e32 v15, 0x79, v1
	v_cmp_gt_u32_e32 vcc, s93, v1
	v_add_u32_e32 v14, 0xffffff81, v1
	v_cndmask_b32_e32 v15, 0, v15, vcc
	v_cmp_eq_u32_e32 vcc, 0, v1
	v_mov_b32_e32 v1, 0xffffff82
	v_cndmask_b32_e32 v1, v14, v1, vcc
	v_mov_b32_e32 v14, 0x78
	v_or_b32_e32 v27, 0x800000, v58
	v_cndmask_b32_e32 v29, v15, v14, vcc
	v_cndmask_b32_e32 v58, v27, v58, vcc
	v_add_u32_e32 v14, 20, v29
	v_lshlrev_b64 v[14:15], v14, -1
	v_add_u32_e32 v27, 19, v29
	v_lshrrev_b64 v[34:35], v29, v[58:59]
	v_not_b32_e32 v15, v15
	v_not_b32_e32 v14, v14
	v_lshlrev_b64 v[32:33], v27, 1
	v_lshrrev_b32_e32 v27, 23, v34
	v_and_b32_e32 v15, 0, v15
	v_and_b32_e32 v14, v58, v14
	v_add3_u32 v30, v29, v1, v27
	v_bfe_u32 v1, v34, 20, 1
	v_add_u32_e32 v1, -1, v1
	v_cmp_eq_u64_e32 vcc, v[14:15], v[32:33]
	v_cndmask_b32_e32 v1, 0, v1, vcc
	v_add_u32_e32 v1, v1, v34
	v_and_b32_e32 v1, 0xfffff, v1
	v_add_co_u32_e32 v14, vcc, v1, v34
	v_add_u32_e32 v27, 6, v30
	v_addc_co_u32_e32 v15, vcc, 0, v35, vcc
	v_cmp_ne_u32_e32 vcc, 0, v27
                                        ; implicit-def: $vgpr29
	s_and_saveexec_b64 s[28:29], vcc
	s_xor_b64 s[28:29], exec, s[28:29]
; %bb.3313:                             ;   in Loop: Header=BB4_3185 Depth=3
	v_add_u32_e32 v1, 7, v30
	v_cmp_lt_u64_e32 vcc, s[58:59], v[14:15]
	v_cndmask_b32_e32 v29, v27, v1, vcc
	v_cndmask_b32_e64 v1, 0, 1, vcc
	v_lshrrev_b64 v[14:15], v1, v[14:15]
; %bb.3314:                             ;   in Loop: Header=BB4_3185 Depth=3
	s_andn2_saveexec_b64 s[28:29], s[28:29]
; %bb.3315:                             ;   in Loop: Header=BB4_3185 Depth=3
	v_bfe_u32 v29, v14, 23, 1
; %bb.3316:                             ;   in Loop: Header=BB4_3185 Depth=3
	s_or_b64 exec, exec, s[28:29]
	v_lshrrev_b64 v[14:15], 20, v[14:15]
	v_cmp_gt_i32_e32 vcc, 16, v29
	v_cndmask_b32_e32 v15, 0, v15, vcc
	v_cndmask_b32_e32 v14, 7, v14, vcc
	v_cmp_ne_u32_e32 vcc, 0, v29
	v_cmp_ne_u64_e64 s[28:29], 0, v[14:15]
	s_or_b64 s[28:29], vcc, s[28:29]
                                        ; implicit-def: $vgpr27
	s_and_saveexec_b64 vcc, s[28:29]
	s_xor_b64 s[28:29], exec, vcc
; %bb.3317:                             ;   in Loop: Header=BB4_3185 Depth=3
	v_min_i32_e32 v1, 15, v29
	v_lshl_or_b32 v1, v1, 3, v28
	v_and_or_b32 v27, v14, 7, v1
                                        ; implicit-def: $vgpr28
; %bb.3318:                             ;   in Loop: Header=BB4_3185 Depth=3
	s_andn2_saveexec_b64 s[28:29], s[28:29]
; %bb.3319:                             ;   in Loop: Header=BB4_3185 Depth=3
	v_mov_b32_e32 v27, v28
; %bb.3320:                             ;   in Loop: Header=BB4_3185 Depth=3
	s_or_b64 exec, exec, s[28:29]
.LBB4_3321:                             ;   in Loop: Header=BB4_3185 Depth=3
	s_or_b64 exec, exec, s[70:71]
.LBB4_3322:                             ;   in Loop: Header=BB4_3185 Depth=3
	s_andn2_saveexec_b64 s[28:29], s[68:69]
	s_or_b64 exec, exec, s[28:29]
                                        ; implicit-def: $vgpr14
.LBB4_3323:                             ;   in Loop: Header=BB4_3185 Depth=3
	s_andn2_saveexec_b64 s[28:29], s[66:67]
; %bb.3324:                             ;   in Loop: Header=BB4_3185 Depth=3
	v_or_b32_sdwa v1, v14, s92 dst_sel:DWORD dst_unused:UNUSED_PAD src0_sel:BYTE_3 src1_sel:DWORD
	v_cmp_eq_u64_e32 vcc, 0, v[58:59]
	v_cndmask_b32_e32 v27, v1, v27, vcc
; %bb.3325:                             ;   in Loop: Header=BB4_3185 Depth=3
	s_or_b64 exec, exec, s[28:29]
	v_and_b32_e32 v14, 0xff, v25
	v_cmp_ne_u16_e32 vcc, 0, v14
	v_mov_b32_e32 v15, 0
	v_mov_b32_e32 v28, 0
	s_and_saveexec_b64 s[28:29], vcc
	s_cbranch_execz .LBB4_3331
; %bb.3326:                             ;   in Loop: Header=BB4_3185 Depth=3
	v_cmp_ne_u16_e32 vcc, s91, v14
	v_bfrev_b32_e32 v28, 1
	s_and_saveexec_b64 s[66:67], vcc
	s_cbranch_execz .LBB4_3330
; %bb.3327:                             ;   in Loop: Header=BB4_3185 Depth=3
	v_and_b32_e32 v1, 0x7f, v25
	v_cmp_ne_u32_e32 vcc, s92, v1
	v_mov_b32_e32 v28, 0x7f800001
	s_and_saveexec_b64 s[68:69], vcc
	s_cbranch_execz .LBB4_3329
; %bb.3328:                             ;   in Loop: Header=BB4_3185 Depth=3
	v_and_b32_e32 v30, 7, v14
	v_ffbh_u32_e32 v28, v30
	v_min_u32_e32 v32, 32, v28
	v_subrev_u32_e32 v28, 28, v32
	v_lshlrev_b64 v[28:29], v28, v[14:15]
	v_lshrrev_b32_e32 v31, 3, v1
	v_sub_u32_e32 v14, 29, v32
	v_and_b32_e32 v28, 7, v28
	v_cmp_gt_u32_e32 vcc, 8, v1
	v_cndmask_b32_e32 v1, v31, v14, vcc
	v_cndmask_b32_e32 v14, v30, v28, vcc
	v_lshlrev_b32_e32 v25, 24, v25
	v_bfrev_b32_e32 v28, 60
	v_lshlrev_b32_e32 v14, 20, v14
	v_and_b32_e32 v25, 0x80000000, v25
	v_lshl_add_u32 v1, v1, 23, v28
	v_or3_b32 v28, v25, v1, v14
.LBB4_3329:                             ;   in Loop: Header=BB4_3185 Depth=3
	s_or_b64 exec, exec, s[68:69]
.LBB4_3330:                             ;   in Loop: Header=BB4_3185 Depth=3
	s_or_b64 exec, exec, s[66:67]
.LBB4_3331:                             ;   in Loop: Header=BB4_3185 Depth=3
	s_or_b64 exec, exec, s[28:29]
	v_and_b32_e32 v14, 0xff, v24
	v_cmp_ne_u16_e32 vcc, 0, v14
	s_and_saveexec_b64 s[28:29], vcc
	s_cbranch_execz .LBB4_3337
; %bb.3332:                             ;   in Loop: Header=BB4_3185 Depth=3
	v_cmp_ne_u16_e32 vcc, s91, v14
	v_bfrev_b32_e32 v15, 1
	s_and_saveexec_b64 s[66:67], vcc
	s_cbranch_execz .LBB4_3336
; %bb.3333:                             ;   in Loop: Header=BB4_3185 Depth=3
	v_and_b32_e32 v1, 0x7f, v24
	v_cmp_ne_u32_e32 vcc, s92, v1
	v_mov_b32_e32 v15, 0x7f800001
	s_and_saveexec_b64 s[68:69], vcc
	s_cbranch_execz .LBB4_3335
; %bb.3334:                             ;   in Loop: Header=BB4_3185 Depth=3
	v_and_b32_e32 v25, 7, v14
	v_ffbh_u32_e32 v15, v25
	v_min_u32_e32 v30, 32, v15
	v_subrev_u32_e32 v15, 28, v30
	v_lshlrev_b64 v[14:15], v15, v[14:15]
	v_lshrrev_b32_e32 v29, 3, v1
	v_sub_u32_e32 v15, 29, v30
	v_and_b32_e32 v14, 7, v14
	v_cmp_gt_u32_e32 vcc, 8, v1
	v_cndmask_b32_e32 v1, v29, v15, vcc
	v_cndmask_b32_e32 v14, v25, v14, vcc
	v_lshlrev_b32_e32 v15, 24, v24
	v_bfrev_b32_e32 v24, 60
	v_lshlrev_b32_e32 v14, 20, v14
	v_and_b32_e32 v15, 0x80000000, v15
	v_lshl_add_u32 v1, v1, 23, v24
	v_or3_b32 v15, v15, v1, v14
.LBB4_3335:                             ;   in Loop: Header=BB4_3185 Depth=3
	s_or_b64 exec, exec, s[68:69]
.LBB4_3336:                             ;   in Loop: Header=BB4_3185 Depth=3
	s_or_b64 exec, exec, s[66:67]
.LBB4_3337:                             ;   in Loop: Header=BB4_3185 Depth=3
	s_or_b64 exec, exec, s[28:29]
	v_add_f32_e32 v14, v28, v15
	v_and_b32_sdwa v25, v14, s91 dst_sel:DWORD dst_unused:UNUSED_PAD src0_sel:BYTE_3 src1_sel:DWORD
	v_and_b32_e32 v28, 0x7f800000, v14
	v_mov_b32_e32 v29, v59
	v_and_b32_e32 v58, 0x7fffff, v14
	v_or_b32_e32 v24, 0x7e, v25
	v_cmp_ne_u64_e32 vcc, s[54:55], v[28:29]
	s_and_saveexec_b64 s[28:29], vcc
	s_xor_b64 s[66:67], exec, s[28:29]
	s_cbranch_execz .LBB4_3351
; %bb.3338:                             ;   in Loop: Header=BB4_3185 Depth=3
	v_and_b32_e32 v28, 0x7fffffff, v14
	v_mov_b32_e32 v29, v59
	v_cmp_gt_u64_e32 vcc, s[56:57], v[28:29]
	s_and_saveexec_b64 s[28:29], vcc
	s_xor_b64 s[68:69], exec, s[28:29]
	s_cbranch_execz .LBB4_3350
; %bb.3339:                             ;   in Loop: Header=BB4_3185 Depth=3
	v_cmp_ne_u32_e32 vcc, 0, v14
	v_mov_b32_e32 v24, 0
	s_and_saveexec_b64 s[70:71], vcc
	s_cbranch_execz .LBB4_3349
; %bb.3340:                             ;   in Loop: Header=BB4_3185 Depth=3
	v_bfe_u32 v1, v14, 23, 8
	v_sub_u32_e32 v15, 0x79, v1
	v_cmp_gt_u32_e32 vcc, s93, v1
	v_add_u32_e32 v14, 0xffffff81, v1
	v_cndmask_b32_e32 v15, 0, v15, vcc
	v_cmp_eq_u32_e32 vcc, 0, v1
	v_mov_b32_e32 v1, 0xffffff82
	v_cndmask_b32_e32 v1, v14, v1, vcc
	v_mov_b32_e32 v14, 0x78
	v_or_b32_e32 v24, 0x800000, v58
	v_cndmask_b32_e32 v28, v15, v14, vcc
	v_cndmask_b32_e32 v58, v24, v58, vcc
	v_add_u32_e32 v14, 20, v28
	v_lshlrev_b64 v[14:15], v14, -1
	v_add_u32_e32 v24, 19, v28
	v_lshrrev_b64 v[32:33], v28, v[58:59]
	v_not_b32_e32 v15, v15
	v_not_b32_e32 v14, v14
	v_lshlrev_b64 v[30:31], v24, 1
	v_lshrrev_b32_e32 v24, 23, v32
	v_and_b32_e32 v15, 0, v15
	v_and_b32_e32 v14, v58, v14
	v_add3_u32 v29, v28, v1, v24
	v_bfe_u32 v1, v32, 20, 1
	v_add_u32_e32 v1, -1, v1
	v_cmp_eq_u64_e32 vcc, v[14:15], v[30:31]
	v_cndmask_b32_e32 v1, 0, v1, vcc
	v_add_u32_e32 v1, v1, v32
	v_and_b32_e32 v1, 0xfffff, v1
	v_add_co_u32_e32 v14, vcc, v1, v32
	v_add_u32_e32 v24, 6, v29
	v_addc_co_u32_e32 v15, vcc, 0, v33, vcc
	v_cmp_ne_u32_e32 vcc, 0, v24
                                        ; implicit-def: $vgpr28
	s_and_saveexec_b64 s[28:29], vcc
	s_xor_b64 s[28:29], exec, s[28:29]
; %bb.3341:                             ;   in Loop: Header=BB4_3185 Depth=3
	v_add_u32_e32 v1, 7, v29
	v_cmp_lt_u64_e32 vcc, s[58:59], v[14:15]
	v_cndmask_b32_e32 v28, v24, v1, vcc
	v_cndmask_b32_e64 v1, 0, 1, vcc
	v_lshrrev_b64 v[14:15], v1, v[14:15]
; %bb.3342:                             ;   in Loop: Header=BB4_3185 Depth=3
	s_andn2_saveexec_b64 s[28:29], s[28:29]
; %bb.3343:                             ;   in Loop: Header=BB4_3185 Depth=3
	v_bfe_u32 v28, v14, 23, 1
; %bb.3344:                             ;   in Loop: Header=BB4_3185 Depth=3
	s_or_b64 exec, exec, s[28:29]
	v_lshrrev_b64 v[14:15], 20, v[14:15]
	v_cmp_gt_i32_e32 vcc, 16, v28
	v_cndmask_b32_e32 v15, 0, v15, vcc
	v_cndmask_b32_e32 v14, 7, v14, vcc
	v_cmp_ne_u32_e32 vcc, 0, v28
	v_cmp_ne_u64_e64 s[28:29], 0, v[14:15]
	s_or_b64 s[28:29], vcc, s[28:29]
                                        ; implicit-def: $vgpr24
	s_and_saveexec_b64 vcc, s[28:29]
	s_xor_b64 s[28:29], exec, vcc
; %bb.3345:                             ;   in Loop: Header=BB4_3185 Depth=3
	v_min_i32_e32 v1, 15, v28
	v_lshl_or_b32 v1, v1, 3, v25
	v_and_or_b32 v24, v14, 7, v1
                                        ; implicit-def: $vgpr25
; %bb.3346:                             ;   in Loop: Header=BB4_3185 Depth=3
	s_andn2_saveexec_b64 s[28:29], s[28:29]
; %bb.3347:                             ;   in Loop: Header=BB4_3185 Depth=3
	v_mov_b32_e32 v24, v25
; %bb.3348:                             ;   in Loop: Header=BB4_3185 Depth=3
	s_or_b64 exec, exec, s[28:29]
.LBB4_3349:                             ;   in Loop: Header=BB4_3185 Depth=3
	s_or_b64 exec, exec, s[70:71]
.LBB4_3350:                             ;   in Loop: Header=BB4_3185 Depth=3
	s_andn2_saveexec_b64 s[28:29], s[68:69]
	s_or_b64 exec, exec, s[28:29]
                                        ; implicit-def: $vgpr14
.LBB4_3351:                             ;   in Loop: Header=BB4_3185 Depth=3
	s_andn2_saveexec_b64 s[28:29], s[66:67]
; %bb.3352:                             ;   in Loop: Header=BB4_3185 Depth=3
	v_or_b32_sdwa v1, v14, s92 dst_sel:DWORD dst_unused:UNUSED_PAD src0_sel:BYTE_3 src1_sel:DWORD
	v_cmp_eq_u64_e32 vcc, 0, v[58:59]
	v_cndmask_b32_e32 v24, v1, v24, vcc
; %bb.3353:                             ;   in Loop: Header=BB4_3185 Depth=3
	s_or_b64 exec, exec, s[28:29]
	v_and_b32_e32 v14, 0xff, v22
	v_cmp_ne_u16_e32 vcc, 0, v14
	v_mov_b32_e32 v15, 0
	v_mov_b32_e32 v25, 0
	s_and_saveexec_b64 s[28:29], vcc
	s_cbranch_execz .LBB4_3359
; %bb.3354:                             ;   in Loop: Header=BB4_3185 Depth=3
	v_cmp_ne_u16_e32 vcc, s91, v14
	v_bfrev_b32_e32 v25, 1
	s_and_saveexec_b64 s[66:67], vcc
	s_cbranch_execz .LBB4_3358
; %bb.3355:                             ;   in Loop: Header=BB4_3185 Depth=3
	v_and_b32_e32 v1, 0x7f, v22
	v_cmp_ne_u32_e32 vcc, s92, v1
	v_mov_b32_e32 v25, 0x7f800001
	s_and_saveexec_b64 s[68:69], vcc
	s_cbranch_execz .LBB4_3357
; %bb.3356:                             ;   in Loop: Header=BB4_3185 Depth=3
	v_and_b32_e32 v25, 7, v14
	v_ffbh_u32_e32 v28, v25
	v_min_u32_e32 v31, 32, v28
	v_subrev_u32_e32 v28, 28, v31
	v_lshlrev_b64 v[28:29], v28, v[14:15]
	v_lshrrev_b32_e32 v30, 3, v1
	v_sub_u32_e32 v14, 29, v31
	v_and_b32_e32 v28, 7, v28
	v_cmp_gt_u32_e32 vcc, 8, v1
	v_cndmask_b32_e32 v1, v30, v14, vcc
	v_cndmask_b32_e32 v14, v25, v28, vcc
	v_lshlrev_b32_e32 v22, 24, v22
	v_bfrev_b32_e32 v25, 60
	v_lshlrev_b32_e32 v14, 20, v14
	v_and_b32_e32 v22, 0x80000000, v22
	v_lshl_add_u32 v1, v1, 23, v25
	v_or3_b32 v25, v22, v1, v14
.LBB4_3357:                             ;   in Loop: Header=BB4_3185 Depth=3
	s_or_b64 exec, exec, s[68:69]
.LBB4_3358:                             ;   in Loop: Header=BB4_3185 Depth=3
	s_or_b64 exec, exec, s[66:67]
.LBB4_3359:                             ;   in Loop: Header=BB4_3185 Depth=3
	s_or_b64 exec, exec, s[28:29]
	v_and_b32_e32 v14, 0xff, v21
	v_cmp_ne_u16_e32 vcc, 0, v14
	s_and_saveexec_b64 s[28:29], vcc
	s_cbranch_execz .LBB4_3365
; %bb.3360:                             ;   in Loop: Header=BB4_3185 Depth=3
	v_cmp_ne_u16_e32 vcc, s91, v14
	v_bfrev_b32_e32 v15, 1
	s_and_saveexec_b64 s[66:67], vcc
	s_cbranch_execz .LBB4_3364
; %bb.3361:                             ;   in Loop: Header=BB4_3185 Depth=3
	v_and_b32_e32 v1, 0x7f, v21
	v_cmp_ne_u32_e32 vcc, s92, v1
	v_mov_b32_e32 v15, 0x7f800001
	s_and_saveexec_b64 s[68:69], vcc
	s_cbranch_execz .LBB4_3363
; %bb.3362:                             ;   in Loop: Header=BB4_3185 Depth=3
	v_and_b32_e32 v22, 7, v14
	v_ffbh_u32_e32 v15, v22
	v_min_u32_e32 v29, 32, v15
	v_subrev_u32_e32 v15, 28, v29
	v_lshlrev_b64 v[14:15], v15, v[14:15]
	v_lshrrev_b32_e32 v28, 3, v1
	v_sub_u32_e32 v15, 29, v29
	v_and_b32_e32 v14, 7, v14
	v_cmp_gt_u32_e32 vcc, 8, v1
	v_cndmask_b32_e32 v1, v28, v15, vcc
	v_cndmask_b32_e32 v14, v22, v14, vcc
	v_lshlrev_b32_e32 v15, 24, v21
	v_bfrev_b32_e32 v21, 60
	v_lshlrev_b32_e32 v14, 20, v14
	v_and_b32_e32 v15, 0x80000000, v15
	v_lshl_add_u32 v1, v1, 23, v21
	v_or3_b32 v15, v15, v1, v14
.LBB4_3363:                             ;   in Loop: Header=BB4_3185 Depth=3
	s_or_b64 exec, exec, s[68:69]
.LBB4_3364:                             ;   in Loop: Header=BB4_3185 Depth=3
	s_or_b64 exec, exec, s[66:67]
.LBB4_3365:                             ;   in Loop: Header=BB4_3185 Depth=3
	s_or_b64 exec, exec, s[28:29]
	v_add_f32_e32 v14, v25, v15
	v_and_b32_sdwa v22, v14, s91 dst_sel:DWORD dst_unused:UNUSED_PAD src0_sel:BYTE_3 src1_sel:DWORD
	v_and_b32_e32 v28, 0x7f800000, v14
	v_mov_b32_e32 v29, v59
	v_and_b32_e32 v58, 0x7fffff, v14
	v_or_b32_e32 v21, 0x7e, v22
	v_cmp_ne_u64_e32 vcc, s[54:55], v[28:29]
	s_and_saveexec_b64 s[28:29], vcc
	s_xor_b64 s[66:67], exec, s[28:29]
	s_cbranch_execz .LBB4_3379
; %bb.3366:                             ;   in Loop: Header=BB4_3185 Depth=3
	v_and_b32_e32 v28, 0x7fffffff, v14
	v_mov_b32_e32 v29, v59
	v_cmp_gt_u64_e32 vcc, s[56:57], v[28:29]
	s_and_saveexec_b64 s[28:29], vcc
	s_xor_b64 s[68:69], exec, s[28:29]
	s_cbranch_execz .LBB4_3378
; %bb.3367:                             ;   in Loop: Header=BB4_3185 Depth=3
	v_cmp_ne_u32_e32 vcc, 0, v14
	v_mov_b32_e32 v21, 0
	s_and_saveexec_b64 s[70:71], vcc
	s_cbranch_execz .LBB4_3377
; %bb.3368:                             ;   in Loop: Header=BB4_3185 Depth=3
	v_bfe_u32 v1, v14, 23, 8
	v_sub_u32_e32 v15, 0x79, v1
	v_cmp_gt_u32_e32 vcc, s93, v1
	v_add_u32_e32 v14, 0xffffff81, v1
	v_cndmask_b32_e32 v15, 0, v15, vcc
	v_cmp_eq_u32_e32 vcc, 0, v1
	v_mov_b32_e32 v1, 0xffffff82
	v_cndmask_b32_e32 v1, v14, v1, vcc
	v_mov_b32_e32 v14, 0x78
	v_or_b32_e32 v21, 0x800000, v58
	v_cndmask_b32_e32 v25, v15, v14, vcc
	v_cndmask_b32_e32 v58, v21, v58, vcc
	v_add_u32_e32 v14, 20, v25
	v_lshlrev_b64 v[14:15], v14, -1
	v_add_u32_e32 v21, 19, v25
	v_lshrrev_b64 v[32:33], v25, v[58:59]
	v_not_b32_e32 v15, v15
	v_not_b32_e32 v14, v14
	v_lshlrev_b64 v[30:31], v21, 1
	v_lshrrev_b32_e32 v21, 23, v32
	v_and_b32_e32 v15, 0, v15
	v_and_b32_e32 v14, v58, v14
	v_add3_u32 v28, v25, v1, v21
	v_bfe_u32 v1, v32, 20, 1
	v_add_u32_e32 v1, -1, v1
	v_cmp_eq_u64_e32 vcc, v[14:15], v[30:31]
	v_cndmask_b32_e32 v1, 0, v1, vcc
	v_add_u32_e32 v1, v1, v32
	v_and_b32_e32 v1, 0xfffff, v1
	v_add_co_u32_e32 v14, vcc, v1, v32
	v_add_u32_e32 v21, 6, v28
	v_addc_co_u32_e32 v15, vcc, 0, v33, vcc
	v_cmp_ne_u32_e32 vcc, 0, v21
                                        ; implicit-def: $vgpr25
	s_and_saveexec_b64 s[28:29], vcc
	s_xor_b64 s[28:29], exec, s[28:29]
; %bb.3369:                             ;   in Loop: Header=BB4_3185 Depth=3
	v_add_u32_e32 v1, 7, v28
	v_cmp_lt_u64_e32 vcc, s[58:59], v[14:15]
	v_cndmask_b32_e32 v25, v21, v1, vcc
	v_cndmask_b32_e64 v1, 0, 1, vcc
	v_lshrrev_b64 v[14:15], v1, v[14:15]
; %bb.3370:                             ;   in Loop: Header=BB4_3185 Depth=3
	s_andn2_saveexec_b64 s[28:29], s[28:29]
; %bb.3371:                             ;   in Loop: Header=BB4_3185 Depth=3
	v_bfe_u32 v25, v14, 23, 1
; %bb.3372:                             ;   in Loop: Header=BB4_3185 Depth=3
	s_or_b64 exec, exec, s[28:29]
	v_lshrrev_b64 v[14:15], 20, v[14:15]
	v_cmp_gt_i32_e32 vcc, 16, v25
	v_cndmask_b32_e32 v15, 0, v15, vcc
	v_cndmask_b32_e32 v14, 7, v14, vcc
	v_cmp_ne_u32_e32 vcc, 0, v25
	v_cmp_ne_u64_e64 s[28:29], 0, v[14:15]
	s_or_b64 s[28:29], vcc, s[28:29]
                                        ; implicit-def: $vgpr21
	s_and_saveexec_b64 vcc, s[28:29]
	s_xor_b64 s[28:29], exec, vcc
; %bb.3373:                             ;   in Loop: Header=BB4_3185 Depth=3
	v_min_i32_e32 v1, 15, v25
	v_lshl_or_b32 v1, v1, 3, v22
	v_and_or_b32 v21, v14, 7, v1
                                        ; implicit-def: $vgpr22
; %bb.3374:                             ;   in Loop: Header=BB4_3185 Depth=3
	s_andn2_saveexec_b64 s[28:29], s[28:29]
; %bb.3375:                             ;   in Loop: Header=BB4_3185 Depth=3
	v_mov_b32_e32 v21, v22
; %bb.3376:                             ;   in Loop: Header=BB4_3185 Depth=3
	s_or_b64 exec, exec, s[28:29]
.LBB4_3377:                             ;   in Loop: Header=BB4_3185 Depth=3
	s_or_b64 exec, exec, s[70:71]
.LBB4_3378:                             ;   in Loop: Header=BB4_3185 Depth=3
	s_andn2_saveexec_b64 s[28:29], s[68:69]
	s_or_b64 exec, exec, s[28:29]
                                        ; implicit-def: $vgpr14
.LBB4_3379:                             ;   in Loop: Header=BB4_3185 Depth=3
	s_andn2_saveexec_b64 s[28:29], s[66:67]
; %bb.3380:                             ;   in Loop: Header=BB4_3185 Depth=3
	v_or_b32_sdwa v1, v14, s92 dst_sel:DWORD dst_unused:UNUSED_PAD src0_sel:BYTE_3 src1_sel:DWORD
	v_cmp_eq_u64_e32 vcc, 0, v[58:59]
	v_cndmask_b32_e32 v21, v1, v21, vcc
; %bb.3381:                             ;   in Loop: Header=BB4_3185 Depth=3
	s_or_b64 exec, exec, s[28:29]
	v_and_b32_e32 v14, 0xff, v19
	v_cmp_ne_u16_e32 vcc, 0, v14
	v_mov_b32_e32 v15, 0
	v_mov_b32_e32 v22, 0
	s_and_saveexec_b64 s[28:29], vcc
	s_cbranch_execz .LBB4_3387
; %bb.3382:                             ;   in Loop: Header=BB4_3185 Depth=3
	v_cmp_ne_u16_e32 vcc, s91, v14
	v_bfrev_b32_e32 v22, 1
	s_and_saveexec_b64 s[66:67], vcc
	s_cbranch_execz .LBB4_3386
; %bb.3383:                             ;   in Loop: Header=BB4_3185 Depth=3
	v_and_b32_e32 v1, 0x7f, v19
	v_cmp_ne_u32_e32 vcc, s92, v1
	v_mov_b32_e32 v22, 0x7f800001
	s_and_saveexec_b64 s[68:69], vcc
	s_cbranch_execz .LBB4_3385
; %bb.3384:                             ;   in Loop: Header=BB4_3185 Depth=3
	v_and_b32_e32 v22, 7, v14
	v_ffbh_u32_e32 v28, v22
	v_min_u32_e32 v30, 32, v28
	v_subrev_u32_e32 v28, 28, v30
	v_lshlrev_b64 v[28:29], v28, v[14:15]
	v_lshrrev_b32_e32 v25, 3, v1
	v_sub_u32_e32 v14, 29, v30
	v_and_b32_e32 v28, 7, v28
	v_cmp_gt_u32_e32 vcc, 8, v1
	v_cndmask_b32_e32 v1, v25, v14, vcc
	v_cndmask_b32_e32 v14, v22, v28, vcc
	v_lshlrev_b32_e32 v19, 24, v19
	v_bfrev_b32_e32 v22, 60
	v_lshlrev_b32_e32 v14, 20, v14
	v_and_b32_e32 v19, 0x80000000, v19
	v_lshl_add_u32 v1, v1, 23, v22
	v_or3_b32 v22, v19, v1, v14
.LBB4_3385:                             ;   in Loop: Header=BB4_3185 Depth=3
	s_or_b64 exec, exec, s[68:69]
.LBB4_3386:                             ;   in Loop: Header=BB4_3185 Depth=3
	s_or_b64 exec, exec, s[66:67]
.LBB4_3387:                             ;   in Loop: Header=BB4_3185 Depth=3
	s_or_b64 exec, exec, s[28:29]
	v_and_b32_e32 v14, 0xff, v18
	v_cmp_ne_u16_e32 vcc, 0, v14
	s_and_saveexec_b64 s[28:29], vcc
	s_cbranch_execz .LBB4_3393
; %bb.3388:                             ;   in Loop: Header=BB4_3185 Depth=3
	v_cmp_ne_u16_e32 vcc, s91, v14
	v_bfrev_b32_e32 v15, 1
	s_and_saveexec_b64 s[66:67], vcc
	s_cbranch_execz .LBB4_3392
; %bb.3389:                             ;   in Loop: Header=BB4_3185 Depth=3
	v_and_b32_e32 v1, 0x7f, v18
	v_cmp_ne_u32_e32 vcc, s92, v1
	v_mov_b32_e32 v15, 0x7f800001
	s_and_saveexec_b64 s[68:69], vcc
	s_cbranch_execz .LBB4_3391
; %bb.3390:                             ;   in Loop: Header=BB4_3185 Depth=3
	v_and_b32_e32 v19, 7, v14
	v_ffbh_u32_e32 v15, v19
	v_min_u32_e32 v28, 32, v15
	v_subrev_u32_e32 v15, 28, v28
	v_lshlrev_b64 v[14:15], v15, v[14:15]
	v_lshrrev_b32_e32 v25, 3, v1
	v_sub_u32_e32 v15, 29, v28
	v_and_b32_e32 v14, 7, v14
	v_cmp_gt_u32_e32 vcc, 8, v1
	v_cndmask_b32_e32 v1, v25, v15, vcc
	v_cndmask_b32_e32 v14, v19, v14, vcc
	v_lshlrev_b32_e32 v15, 24, v18
	v_bfrev_b32_e32 v18, 60
	v_lshlrev_b32_e32 v14, 20, v14
	v_and_b32_e32 v15, 0x80000000, v15
	v_lshl_add_u32 v1, v1, 23, v18
	v_or3_b32 v15, v15, v1, v14
.LBB4_3391:                             ;   in Loop: Header=BB4_3185 Depth=3
	s_or_b64 exec, exec, s[68:69]
.LBB4_3392:                             ;   in Loop: Header=BB4_3185 Depth=3
	s_or_b64 exec, exec, s[66:67]
.LBB4_3393:                             ;   in Loop: Header=BB4_3185 Depth=3
	s_or_b64 exec, exec, s[28:29]
	v_add_f32_e32 v14, v22, v15
	v_and_b32_sdwa v18, v14, s91 dst_sel:DWORD dst_unused:UNUSED_PAD src0_sel:BYTE_3 src1_sel:DWORD
	v_and_b32_e32 v28, 0x7f800000, v14
	v_mov_b32_e32 v29, v59
	v_and_b32_e32 v58, 0x7fffff, v14
	v_or_b32_e32 v15, 0x7e, v18
	v_cmp_ne_u64_e32 vcc, s[54:55], v[28:29]
	s_and_saveexec_b64 s[28:29], vcc
	s_xor_b64 s[66:67], exec, s[28:29]
	s_cbranch_execz .LBB4_3407
; %bb.3394:                             ;   in Loop: Header=BB4_3185 Depth=3
	v_and_b32_e32 v28, 0x7fffffff, v14
	v_mov_b32_e32 v29, v59
	v_cmp_gt_u64_e32 vcc, s[56:57], v[28:29]
	s_and_saveexec_b64 s[28:29], vcc
	s_xor_b64 s[68:69], exec, s[28:29]
	s_cbranch_execz .LBB4_3406
; %bb.3395:                             ;   in Loop: Header=BB4_3185 Depth=3
	v_cmp_ne_u32_e32 vcc, 0, v14
	v_mov_b32_e32 v15, 0
	s_and_saveexec_b64 s[70:71], vcc
	s_cbranch_execz .LBB4_3405
; %bb.3396:                             ;   in Loop: Header=BB4_3185 Depth=3
	v_bfe_u32 v1, v14, 23, 8
	v_sub_u32_e32 v15, 0x79, v1
	v_cmp_gt_u32_e32 vcc, s93, v1
	v_add_u32_e32 v14, 0xffffff81, v1
	v_cndmask_b32_e32 v15, 0, v15, vcc
	v_cmp_eq_u32_e32 vcc, 0, v1
	v_mov_b32_e32 v1, 0xffffff82
	v_cndmask_b32_e32 v1, v14, v1, vcc
	v_mov_b32_e32 v14, 0x78
	v_or_b32_e32 v19, 0x800000, v58
	v_cndmask_b32_e32 v22, v15, v14, vcc
	v_cndmask_b32_e32 v58, v19, v58, vcc
	v_add_u32_e32 v14, 20, v22
	v_lshlrev_b64 v[14:15], v14, -1
	v_add_u32_e32 v19, 19, v22
	v_lshrrev_b64 v[30:31], v22, v[58:59]
	v_not_b32_e32 v15, v15
	v_not_b32_e32 v14, v14
	v_lshlrev_b64 v[28:29], v19, 1
	v_lshrrev_b32_e32 v19, 23, v30
	v_and_b32_e32 v15, 0, v15
	v_and_b32_e32 v14, v58, v14
	v_add3_u32 v25, v22, v1, v19
	v_bfe_u32 v1, v30, 20, 1
	v_add_u32_e32 v1, -1, v1
	v_cmp_eq_u64_e32 vcc, v[14:15], v[28:29]
	v_cndmask_b32_e32 v1, 0, v1, vcc
	v_add_u32_e32 v1, v1, v30
	v_and_b32_e32 v1, 0xfffff, v1
	v_add_co_u32_e32 v14, vcc, v1, v30
	v_add_u32_e32 v22, 6, v25
	v_addc_co_u32_e32 v15, vcc, 0, v31, vcc
	v_cmp_ne_u32_e32 vcc, 0, v22
                                        ; implicit-def: $vgpr19
	s_and_saveexec_b64 s[28:29], vcc
	s_xor_b64 s[28:29], exec, s[28:29]
; %bb.3397:                             ;   in Loop: Header=BB4_3185 Depth=3
	v_add_u32_e32 v1, 7, v25
	v_cmp_lt_u64_e32 vcc, s[58:59], v[14:15]
	v_cndmask_b32_e32 v19, v22, v1, vcc
	v_cndmask_b32_e64 v1, 0, 1, vcc
	v_lshrrev_b64 v[14:15], v1, v[14:15]
; %bb.3398:                             ;   in Loop: Header=BB4_3185 Depth=3
	s_andn2_saveexec_b64 s[28:29], s[28:29]
; %bb.3399:                             ;   in Loop: Header=BB4_3185 Depth=3
	v_bfe_u32 v19, v14, 23, 1
; %bb.3400:                             ;   in Loop: Header=BB4_3185 Depth=3
	s_or_b64 exec, exec, s[28:29]
	v_lshrrev_b64 v[14:15], 20, v[14:15]
	v_cmp_gt_i32_e32 vcc, 16, v19
	v_cndmask_b32_e32 v15, 0, v15, vcc
	v_cndmask_b32_e32 v14, 7, v14, vcc
	v_cmp_ne_u32_e32 vcc, 0, v19
	v_cmp_ne_u64_e64 s[28:29], 0, v[14:15]
	s_or_b64 s[28:29], vcc, s[28:29]
                                        ; implicit-def: $vgpr15
	s_and_saveexec_b64 vcc, s[28:29]
	s_xor_b64 s[28:29], exec, vcc
; %bb.3401:                             ;   in Loop: Header=BB4_3185 Depth=3
	v_min_i32_e32 v1, 15, v19
	v_lshl_or_b32 v1, v1, 3, v18
	v_and_or_b32 v15, v14, 7, v1
                                        ; implicit-def: $vgpr18
; %bb.3402:                             ;   in Loop: Header=BB4_3185 Depth=3
	s_andn2_saveexec_b64 s[28:29], s[28:29]
; %bb.3403:                             ;   in Loop: Header=BB4_3185 Depth=3
	v_mov_b32_e32 v15, v18
; %bb.3404:                             ;   in Loop: Header=BB4_3185 Depth=3
	s_or_b64 exec, exec, s[28:29]
.LBB4_3405:                             ;   in Loop: Header=BB4_3185 Depth=3
	s_or_b64 exec, exec, s[70:71]
.LBB4_3406:                             ;   in Loop: Header=BB4_3185 Depth=3
	s_andn2_saveexec_b64 s[28:29], s[68:69]
	s_or_b64 exec, exec, s[28:29]
                                        ; implicit-def: $vgpr14
.LBB4_3407:                             ;   in Loop: Header=BB4_3185 Depth=3
	s_andn2_saveexec_b64 s[28:29], s[66:67]
	s_cbranch_execz .LBB4_3184
; %bb.3408:                             ;   in Loop: Header=BB4_3185 Depth=3
	v_or_b32_sdwa v1, v14, s92 dst_sel:DWORD dst_unused:UNUSED_PAD src0_sel:BYTE_3 src1_sel:DWORD
	v_cmp_eq_u64_e32 vcc, 0, v[58:59]
	v_cndmask_b32_e32 v15, v1, v15, vcc
	s_branch .LBB4_3184
.LBB4_3409:                             ;   in Loop: Header=BB4_1895 Depth=2
	s_or_b64 exec, exec, s[36:37]
.LBB4_3410:                             ;   in Loop: Header=BB4_1895 Depth=2
	s_or_b64 exec, exec, s[30:31]
	v_lshlrev_b32_e32 v1, 9, v6
	v_cmp_ne_u32_e32 vcc, v16, v1
	s_and_saveexec_b64 s[36:37], vcc
	s_cbranch_execz .LBB4_3444
; %bb.3411:                             ;   in Loop: Header=BB4_1895 Depth=2
	v_add_u32_e32 v3, v17, v3
	v_and_b32_e32 v3, 0xffffffc0, v3
	v_sub_u32_e32 v3, v17, v3
	v_lshlrev_b32_e32 v2, 6, v2
	v_sub_u32_e32 v2, v3, v2
	v_add_u32_e32 v1, v1, v2
	v_sub_u32_e32 v2, v16, v1
	v_cmp_lt_i32_e32 vcc, 0, v2
	s_and_b64 exec, exec, vcc
	s_cbranch_execz .LBB4_3444
; %bb.3412:                             ;   in Loop: Header=BB4_1895 Depth=2
	s_trap 2
	ds_read_b128 v[4:7], v0
	v_add_u32_e32 v0, v1, v0
	v_ashrrev_i32_e32 v1, 31, v0
	s_mov_b64 s[66:67], 0
	s_waitcnt lgkmcnt(0)
	v_add_co_u32_e32 v4, vcc, v4, v0
	v_addc_co_u32_e32 v5, vcc, v5, v1, vcc
	v_add_co_u32_e32 v8, vcc, v6, v0
	v_addc_co_u32_e32 v9, vcc, v7, v1, vcc
	v_pk_mov_b32 v[10:11], v[4:5], v[4:5] op_sel:[0,1]
	v_pk_mov_b32 v[12:13], v[8:9], v[8:9] op_sel:[0,1]
.LBB4_3413:                             ;   Parent Loop BB4_47 Depth=1
                                        ;     Parent Loop BB4_1895 Depth=2
                                        ; =>    This Loop Header: Depth=3
                                        ;         Child Loop BB4_3442 Depth 4
	flat_load_ubyte v7, v[10:11] glc slc
	flat_load_ubyte v3, v[12:13] glc slc
	v_mov_b32_e32 v0, 0
	v_mov_b32_e32 v6, 0
	s_waitcnt vmcnt(0) lgkmcnt(0)
	v_cmp_ne_u16_e32 vcc, 0, v7
	s_and_saveexec_b64 s[28:29], vcc
	s_cbranch_execz .LBB4_3419
; %bb.3414:                             ;   in Loop: Header=BB4_3413 Depth=3
	v_cmp_ne_u16_e32 vcc, s91, v7
	v_bfrev_b32_e32 v6, 1
	s_and_saveexec_b64 s[30:31], vcc
	s_cbranch_execz .LBB4_3418
; %bb.3415:                             ;   in Loop: Header=BB4_3413 Depth=3
	v_and_b32_e32 v14, 0xffff, v7
	v_and_b32_e32 v1, 0x7f, v14
	v_cmp_ne_u32_e32 vcc, s92, v1
	v_mov_b32_e32 v6, 0x7f800001
	s_and_saveexec_b64 s[68:69], vcc
	s_cbranch_execz .LBB4_3417
; %bb.3416:                             ;   in Loop: Header=BB4_3413 Depth=3
	v_and_b32_e32 v6, 7, v14
	v_ffbh_u32_e32 v15, v6
	v_min_u32_e32 v17, 32, v15
	v_subrev_u32_e32 v15, 28, v17
	v_lshlrev_b64 v[14:15], v15, v[14:15]
	v_lshrrev_b32_e32 v16, 3, v1
	v_sub_u32_e32 v15, 29, v17
	v_and_b32_e32 v14, 7, v14
	v_cmp_gt_u32_e32 vcc, 8, v1
	v_cndmask_b32_e32 v1, v16, v15, vcc
	v_cndmask_b32_e32 v6, v6, v14, vcc
	v_lshlrev_b32_e32 v7, 24, v7
	v_bfrev_b32_e32 v14, 60
	v_lshlrev_b32_e32 v6, 20, v6
	v_and_b32_e32 v7, 0x80000000, v7
	v_lshl_add_u32 v1, v1, 23, v14
	v_or3_b32 v6, v7, v1, v6
.LBB4_3417:                             ;   in Loop: Header=BB4_3413 Depth=3
	s_or_b64 exec, exec, s[68:69]
.LBB4_3418:                             ;   in Loop: Header=BB4_3413 Depth=3
	s_or_b64 exec, exec, s[30:31]
.LBB4_3419:                             ;   in Loop: Header=BB4_3413 Depth=3
	s_or_b64 exec, exec, s[28:29]
	v_and_b32_e32 v14, 0xff, v3
	v_cmp_ne_u16_e32 vcc, 0, v14
	s_and_saveexec_b64 s[28:29], vcc
	s_cbranch_execz .LBB4_3425
; %bb.3420:                             ;   in Loop: Header=BB4_3413 Depth=3
	v_cmp_ne_u16_e32 vcc, s91, v14
	v_bfrev_b32_e32 v0, 1
	s_and_saveexec_b64 s[30:31], vcc
	s_cbranch_execz .LBB4_3424
; %bb.3421:                             ;   in Loop: Header=BB4_3413 Depth=3
	v_and_b32_e32 v1, 0x7f, v3
	v_cmp_ne_u32_e32 vcc, s92, v1
	v_mov_b32_e32 v0, 0x7f800001
	s_and_saveexec_b64 s[68:69], vcc
	s_cbranch_execz .LBB4_3423
; %bb.3422:                             ;   in Loop: Header=BB4_3413 Depth=3
	v_and_b32_e32 v0, 7, v14
	v_ffbh_u32_e32 v15, v0
	v_min_u32_e32 v16, 32, v15
	v_subrev_u32_e32 v15, 28, v16
	v_lshlrev_b64 v[14:15], v15, v[14:15]
	v_lshrrev_b32_e32 v7, 3, v1
	v_sub_u32_e32 v15, 29, v16
	v_and_b32_e32 v14, 7, v14
	v_cmp_gt_u32_e32 vcc, 8, v1
	v_lshlrev_b32_e32 v3, 24, v3
	v_cndmask_b32_e32 v1, v7, v15, vcc
	v_cndmask_b32_e32 v0, v0, v14, vcc
	v_bfrev_b32_e32 v7, 60
	v_and_b32_e32 v3, 0x80000000, v3
	v_lshlrev_b32_e32 v0, 20, v0
	v_lshl_add_u32 v1, v1, 23, v7
	v_or3_b32 v0, v3, v1, v0
.LBB4_3423:                             ;   in Loop: Header=BB4_3413 Depth=3
	s_or_b64 exec, exec, s[68:69]
.LBB4_3424:                             ;   in Loop: Header=BB4_3413 Depth=3
	s_or_b64 exec, exec, s[30:31]
.LBB4_3425:                             ;   in Loop: Header=BB4_3413 Depth=3
	s_or_b64 exec, exec, s[28:29]
	v_add_f32_e32 v6, v6, v0
	v_and_b32_sdwa v3, v6, s91 dst_sel:DWORD dst_unused:UNUSED_PAD src0_sel:BYTE_3 src1_sel:DWORD
	v_and_b32_e32 v14, 0x7f800000, v6
	v_mov_b32_e32 v15, v59
	v_and_b32_e32 v58, 0x7fffff, v6
	v_or_b32_e32 v0, 0x7e, v3
	v_cmp_ne_u64_e32 vcc, s[54:55], v[14:15]
	s_and_saveexec_b64 s[28:29], vcc
	s_xor_b64 s[30:31], exec, s[28:29]
	s_cbranch_execz .LBB4_3439
; %bb.3426:                             ;   in Loop: Header=BB4_3413 Depth=3
	v_and_b32_e32 v14, 0x7fffffff, v6
	v_mov_b32_e32 v15, v59
	v_cmp_gt_u64_e32 vcc, s[56:57], v[14:15]
	s_and_saveexec_b64 s[28:29], vcc
	s_xor_b64 s[68:69], exec, s[28:29]
	s_cbranch_execz .LBB4_3438
; %bb.3427:                             ;   in Loop: Header=BB4_3413 Depth=3
	v_cmp_ne_u32_e32 vcc, 0, v6
	v_mov_b32_e32 v0, 0
	s_and_saveexec_b64 s[70:71], vcc
	s_cbranch_execz .LBB4_3437
; %bb.3428:                             ;   in Loop: Header=BB4_3413 Depth=3
	v_bfe_u32 v0, v6, 23, 8
	v_sub_u32_e32 v6, 0x79, v0
	v_cmp_gt_u32_e32 vcc, s93, v0
	v_add_u32_e32 v1, 0xffffff81, v0
	v_cndmask_b32_e32 v6, 0, v6, vcc
	v_cmp_eq_u32_e32 vcc, 0, v0
	v_mov_b32_e32 v0, 0xffffff82
	v_cndmask_b32_e32 v20, v1, v0, vcc
	v_mov_b32_e32 v0, 0x78
	v_cndmask_b32_e32 v6, v6, v0, vcc
	v_add_u32_e32 v0, 20, v6
	v_or_b32_e32 v7, 0x800000, v58
	v_lshlrev_b64 v[0:1], v0, -1
	v_cndmask_b32_e32 v58, v7, v58, vcc
	v_not_b32_e32 v0, v0
	v_not_b32_e32 v1, v1
	v_and_b32_e32 v14, v58, v0
	v_add_u32_e32 v0, 19, v6
	v_lshrrev_b64 v[18:19], v6, v[58:59]
	v_and_b32_e32 v15, 0, v1
	v_lshlrev_b64 v[16:17], v0, 1
	v_bfe_u32 v1, v18, 20, 1
	v_add_u32_e32 v1, -1, v1
	v_cmp_eq_u64_e32 vcc, v[14:15], v[16:17]
	v_cndmask_b32_e32 v1, 0, v1, vcc
	v_add_u32_e32 v1, v1, v18
	v_lshrrev_b32_e32 v0, 23, v18
	v_and_b32_e32 v1, 0xfffff, v1
	v_add3_u32 v7, v6, v20, v0
	v_add_co_u32_e32 v14, vcc, v1, v18
	v_add_u32_e32 v0, 6, v7
	v_addc_co_u32_e32 v15, vcc, 0, v19, vcc
	v_cmp_ne_u32_e32 vcc, 0, v0
                                        ; implicit-def: $vgpr6
	s_and_saveexec_b64 s[28:29], vcc
	s_xor_b64 s[28:29], exec, s[28:29]
; %bb.3429:                             ;   in Loop: Header=BB4_3413 Depth=3
	v_add_u32_e32 v1, 7, v7
	v_cmp_lt_u64_e32 vcc, s[58:59], v[14:15]
	v_cndmask_b32_e32 v6, v0, v1, vcc
	v_cndmask_b32_e64 v0, 0, 1, vcc
	v_lshrrev_b64 v[14:15], v0, v[14:15]
; %bb.3430:                             ;   in Loop: Header=BB4_3413 Depth=3
	s_andn2_saveexec_b64 s[28:29], s[28:29]
; %bb.3431:                             ;   in Loop: Header=BB4_3413 Depth=3
	v_bfe_u32 v6, v14, 23, 1
; %bb.3432:                             ;   in Loop: Header=BB4_3413 Depth=3
	s_or_b64 exec, exec, s[28:29]
	v_lshrrev_b64 v[0:1], 20, v[14:15]
	v_cmp_gt_i32_e32 vcc, 16, v6
	v_cndmask_b32_e32 v15, 0, v1, vcc
	v_cndmask_b32_e32 v14, 7, v0, vcc
	v_cmp_ne_u32_e32 vcc, 0, v6
	v_cmp_ne_u64_e64 s[28:29], 0, v[14:15]
	s_or_b64 s[28:29], vcc, s[28:29]
                                        ; implicit-def: $vgpr0
	s_and_saveexec_b64 vcc, s[28:29]
	s_xor_b64 s[28:29], exec, vcc
; %bb.3433:                             ;   in Loop: Header=BB4_3413 Depth=3
	v_min_i32_e32 v0, 15, v6
	v_lshl_or_b32 v0, v0, 3, v3
	v_and_or_b32 v0, v14, 7, v0
                                        ; implicit-def: $vgpr3
; %bb.3434:                             ;   in Loop: Header=BB4_3413 Depth=3
	s_andn2_saveexec_b64 s[28:29], s[28:29]
; %bb.3435:                             ;   in Loop: Header=BB4_3413 Depth=3
	v_mov_b32_e32 v0, v3
; %bb.3436:                             ;   in Loop: Header=BB4_3413 Depth=3
	s_or_b64 exec, exec, s[28:29]
.LBB4_3437:                             ;   in Loop: Header=BB4_3413 Depth=3
	s_or_b64 exec, exec, s[70:71]
.LBB4_3438:                             ;   in Loop: Header=BB4_3413 Depth=3
	s_andn2_saveexec_b64 s[28:29], s[68:69]
	s_or_b64 exec, exec, s[28:29]
                                        ; implicit-def: $vgpr6
.LBB4_3439:                             ;   in Loop: Header=BB4_3413 Depth=3
	s_andn2_saveexec_b64 s[28:29], s[30:31]
; %bb.3440:                             ;   in Loop: Header=BB4_3413 Depth=3
	v_or_b32_sdwa v1, v6, s92 dst_sel:DWORD dst_unused:UNUSED_PAD src0_sel:BYTE_3 src1_sel:DWORD
	v_cmp_eq_u64_e32 vcc, 0, v[58:59]
	v_cndmask_b32_e32 v0, v1, v0, vcc
; %bb.3441:                             ;   in Loop: Header=BB4_3413 Depth=3
	s_or_b64 exec, exec, s[28:29]
	s_mov_b64 s[70:71], 0
	s_mov_b64 s[68:69], -1
.LBB4_3442:                             ;   Parent Loop BB4_47 Depth=1
                                        ;     Parent Loop BB4_1895 Depth=2
                                        ;       Parent Loop BB4_3413 Depth=3
                                        ; =>      This Inner Loop Header: Depth=4
	s_cmp_eq_u32 s70, 1
	s_cselect_b64 vcc, -1, 0
	v_cndmask_b32_e32 v6, v4, v8, vcc
	v_cndmask_b32_e32 v7, v5, v9, vcc
	v_add_co_u32_e64 v1, s[28:29], 64, v6
	s_cmp_eq_u32 s70, 0
	v_addc_co_u32_e64 v3, s[28:29], 0, v7, s[28:29]
	s_cselect_b64 s[28:29], -1, 0
	s_and_b64 s[30:31], exec, s[68:69]
	s_mov_b64 s[70:71], 1
	s_mov_b64 s[68:69], 0
	v_cndmask_b32_e32 v9, v9, v3, vcc
	v_cndmask_b32_e32 v8, v8, v1, vcc
	v_cndmask_b32_e64 v5, v5, v3, s[28:29]
	v_cndmask_b32_e64 v4, v4, v1, s[28:29]
	s_mov_b64 vcc, s[30:31]
	flat_store_byte v[6:7], v0 glc slc
	s_cbranch_vccnz .LBB4_3442
; %bb.3443:                             ;   in Loop: Header=BB4_3413 Depth=3
	v_accvgpr_read_b32 v0, a34
	v_add_co_u32_e32 v10, vcc, v10, v0
	v_accvgpr_read_b32 v1, a35
	v_addc_co_u32_e32 v11, vcc, v11, v1, vcc
	v_add_co_u32_e32 v12, vcc, v12, v0
	v_addc_co_u32_e32 v13, vcc, v13, v1, vcc
	v_accvgpr_read_b32 v0, a28
	v_add_co_u32_e32 v4, vcc, v4, v0
	v_accvgpr_read_b32 v1, a27
	v_addc_co_u32_e32 v5, vcc, v5, v1, vcc
	v_sub_u32_e32 v2, v2, v41
	v_cmp_gt_i32_e32 vcc, 1, v2
	s_or_b64 s[66:67], vcc, s[66:67]
	v_add_co_u32_e32 v8, vcc, v8, v0
	v_addc_co_u32_e32 v9, vcc, v9, v1, vcc
	s_andn2_b64 exec, exec, s[66:67]
	s_cbranch_execnz .LBB4_3413
.LBB4_3444:                             ;   in Loop: Header=BB4_1895 Depth=2
	s_or_b64 exec, exec, s[36:37]
	s_or_b64 exec, exec, s[34:35]
	s_branch .LBB4_1968
.LBB4_3445:                             ;   in Loop: Header=BB4_1895 Depth=2
	s_mov_b64 s[30:31], -1
	s_and_saveexec_b64 s[28:29], s[22:23]
	s_cbranch_execz .LBB4_3447
; %bb.3446:                             ;   in Loop: Header=BB4_1895 Depth=2
	ds_read_b32 v0, v0 offset:720
	s_waitcnt lgkmcnt(0)
	v_and_b32_e32 v0, 15, v0
	v_cmp_eq_u32_e32 vcc, 0, v0
	s_orn2_b64 s[30:31], vcc, exec
.LBB4_3447:                             ;   in Loop: Header=BB4_1895 Depth=2
	s_or_b64 exec, exec, s[28:29]
	s_and_saveexec_b64 s[28:29], s[18:19]
	s_cbranch_execz .LBB4_3449
; %bb.3448:                             ;   in Loop: Header=BB4_1895 Depth=2
	ds_read_b32 v0, v0 offset:784
	s_waitcnt lgkmcnt(0)
	v_and_b32_e32 v0, 15, v0
	v_cmp_eq_u32_e32 vcc, 0, v0
	s_and_b64 vcc, s[30:31], vcc
	s_andn2_b64 s[30:31], s[30:31], exec
	s_and_b64 vcc, vcc, exec
	s_or_b64 s[30:31], s[30:31], vcc
.LBB4_3449:                             ;   in Loop: Header=BB4_1895 Depth=2
	s_or_b64 exec, exec, s[28:29]
	s_xor_b64 vcc, s[30:31], -1
	v_cndmask_b32_e64 v0, 0, 1, vcc
	;;#ASMSTART
	;;#ASMEND
	buffer_load_dword v14, off, s[0:3], s33 offset:168 ; 4-byte Folded Reload
	s_mov_b64 s[28:29], -1
	v_cmp_ne_u32_e32 vcc, 0, v0
	v_mov_b32_e32 v0, 0
	v_mov_b32_e32 v15, v40
	v_accvgpr_read_b32 v4, a29
	s_cbranch_vccz .LBB4_3452
; %bb.3450:                             ;   in Loop: Header=BB4_1895 Depth=2
	s_and_saveexec_b64 s[30:31], s[28:29]
	s_cbranch_execnz .LBB4_4617
.LBB4_3451:                             ;   in Loop: Header=BB4_1895 Depth=2
	s_or_b64 exec, exec, s[30:31]
	s_and_saveexec_b64 s[28:29], s[10:11]
	s_cbranch_execnz .LBB4_1969
	s_branch .LBB4_2759
.LBB4_3452:                             ;   in Loop: Header=BB4_1895 Depth=2
	buffer_load_dword v1, off, s[0:3], s33 offset:168 ; 4-byte Folded Reload
	s_waitcnt vmcnt(0)
	v_ashrrev_i32_e32 v0, 31, v1
	v_lshrrev_b32_e32 v0, 21, v0
	v_add_u32_e32 v0, v1, v0
	v_ashrrev_i32_e32 v1, 11, v0
	v_accvgpr_read_b32 v0, a29
	v_sub_u32_e32 v27, v1, v0
	v_cmp_lt_i32_e32 vcc, 0, v27
	s_and_saveexec_b64 s[30:31], vcc
	s_cbranch_execz .LBB4_4224
; %bb.3453:                             ;   in Loop: Header=BB4_1895 Depth=2
	v_accvgpr_write_b32 a55, v1
	s_trap 2
	ds_read_b128 v[0:3], v0
	v_accvgpr_read_b32 v6, a42
	v_accvgpr_read_b32 v7, a43
	s_mov_b64 s[34:35], 0
	s_waitcnt lgkmcnt(0)
	ds_read_b64 v[4:5], v0
	v_add_co_u32_e32 v24, vcc, v0, v6
	v_addc_co_u32_e32 v25, vcc, v1, v7, vcc
	v_add_co_u32_e32 v28, vcc, v2, v6
	v_addc_co_u32_e32 v29, vcc, v3, v7, vcc
	s_waitcnt lgkmcnt(0)
	v_add_co_u32_e32 v40, vcc, v4, v6
	v_addc_co_u32_e32 v41, vcc, v5, v7, vcc
	s_branch .LBB4_3455
.LBB4_3454:                             ;   in Loop: Header=BB4_3455 Depth=3
	s_or_b64 exec, exec, s[28:29]
	v_lshlrev_b32_e32 v1, 8, v26
	v_perm_b32 v1, v1, v30, s94
	v_lshl_or_b32 v1, v36, 16, v1
	v_lshl_or_b32 v37, v17, 24, v1
	v_and_b32_e32 v1, 0xff, v6
	v_lshlrev_b32_e32 v6, 8, v57
	v_lshlrev_b32_e32 v5, 24, v7
	;; [unrolled: 1-line block ×3, first 2 shown]
	v_perm_b32 v6, v6, v38, s94
	v_or3_b32 v36, v5, v1, v6
	v_and_b32_e32 v1, 0xff, v39
	v_lshlrev_b32_e32 v6, 8, v21
	v_lshlrev_b32_e32 v5, 24, v52
	v_lshlrev_b32_e32 v1, 16, v1
	v_perm_b32 v6, v6, v20, s94
	v_or3_b32 v38, v5, v1, v6
	v_lshlrev_b32_e32 v1, 8, v3
	v_perm_b32 v1, v1, v43, s94
	v_lshl_or_b32 v1, v53, 16, v1
	v_lshl_or_b32 v39, v2, 24, v1
	v_lshlrev_b32_e32 v1, 8, v16
	v_perm_b32 v0, v1, v0, s94
	v_lshl_or_b32 v0, v42, 16, v0
	v_lshl_or_b32 v1, v9, 24, v0
	v_and_b32_e32 v0, 0xff, v22
	v_lshlrev_b32_e32 v3, 8, v19
	v_lshlrev_b32_e32 v2, 24, v23
	;; [unrolled: 1-line block ×3, first 2 shown]
	v_perm_b32 v3, v3, v18, s94
	v_or3_b32 v0, v2, v0, v3
	v_and_b32_e32 v2, 0xff, v54
	v_lshlrev_b32_e32 v5, 8, v13
	v_lshlrev_b32_e32 v3, 24, v56
	;; [unrolled: 1-line block ×3, first 2 shown]
	v_perm_b32 v5, v5, v12, s94
	v_or3_b32 v2, v3, v2, v5
	v_lshlrev_b32_e32 v3, 8, v8
	v_perm_b32 v3, v3, v46, s94
	v_lshl_or_b32 v3, v31, 16, v3
	v_lshl_or_b32 v3, v4, 24, v3
	global_store_dwordx4 v[40:41], v[36:39], off glc slc
	global_store_dwordx4 v[40:41], v[0:3], off offset:1024 glc slc
	s_nop 0
	v_accvgpr_read_b32 v1, a31
	v_add_co_u32_e32 v24, vcc, v24, v1
	v_accvgpr_read_b32 v2, a32
	v_addc_co_u32_e32 v25, vcc, v25, v2, vcc
	v_add_co_u32_e32 v28, vcc, v28, v1
	v_accvgpr_read_b32 v0, a22
	v_addc_co_u32_e32 v29, vcc, v29, v2, vcc
	v_sub_u32_e32 v27, v27, v0
	v_cmp_gt_i32_e32 vcc, 1, v27
	s_or_b64 s[34:35], vcc, s[34:35]
	v_add_co_u32_e32 v40, vcc, v40, v1
	v_addc_co_u32_e32 v41, vcc, v41, v2, vcc
	s_andn2_b64 exec, exec, s[34:35]
	s_cbranch_execz .LBB4_4223
.LBB4_3455:                             ;   Parent Loop BB4_47 Depth=1
                                        ;     Parent Loop BB4_1895 Depth=2
                                        ; =>    This Inner Loop Header: Depth=3
	global_load_dwordx4 v[20:23], v[24:25], off glc slc
	global_load_dwordx4 v[12:15], v[24:25], off offset:1024 glc slc
	global_load_dwordx4 v[16:19], v[28:29], off glc slc
	global_load_dwordx4 v[8:11], v[28:29], off offset:1024 glc slc
	v_mov_b32_e32 v0, 0
	v_mov_b32_e32 v2, 0
	s_waitcnt vmcnt(3)
	v_cmp_ne_u16_sdwa vcc, v20, v59 src0_sel:BYTE_0 src1_sel:DWORD
	s_and_saveexec_b64 s[28:29], vcc
	s_cbranch_execz .LBB4_3461
; %bb.3456:                             ;   in Loop: Header=BB4_3455 Depth=3
	v_cmp_ne_u16_sdwa vcc, v20, s91 src0_sel:BYTE_0 src1_sel:DWORD
	v_bfrev_b32_e32 v2, 1
	s_and_saveexec_b64 s[36:37], vcc
	s_cbranch_execz .LBB4_3460
; %bb.3457:                             ;   in Loop: Header=BB4_3455 Depth=3
	v_and_b32_e32 v1, 0x7f, v20
	v_cmp_ne_u32_e32 vcc, s92, v1
	v_mov_b32_e32 v2, 0x7f800001
	s_and_saveexec_b64 s[66:67], vcc
	s_cbranch_execz .LBB4_3459
; %bb.3458:                             ;   in Loop: Header=BB4_3455 Depth=3
	v_and_b32_e32 v2, 7, v20
	v_ffbh_u32_e32 v2, v2
	v_min_u32_e32 v2, 32, v2
	v_lshrrev_b32_e32 v3, 3, v1
	v_subrev_u32_e32 v4, 28, v2
	v_sub_u32_e32 v2, 29, v2
	v_cmp_gt_u32_e32 vcc, 8, v1
	v_cndmask_b32_e32 v1, v3, v2, vcc
	v_cndmask_b32_e32 v2, 0, v4, vcc
	v_lshlrev_b64 v[2:3], v2, v[20:21]
	v_lshlrev_b32_e32 v2, 20, v2
	v_lshlrev_b32_e32 v3, 24, v20
	v_bfrev_b32_e32 v4, 60
	v_and_b32_e32 v2, 0x700000, v2
	v_and_b32_e32 v3, 0x80000000, v3
	v_lshl_add_u32 v1, v1, 23, v4
	v_or3_b32 v2, v3, v1, v2
.LBB4_3459:                             ;   in Loop: Header=BB4_3455 Depth=3
	s_or_b64 exec, exec, s[66:67]
.LBB4_3460:                             ;   in Loop: Header=BB4_3455 Depth=3
	s_or_b64 exec, exec, s[36:37]
.LBB4_3461:                             ;   in Loop: Header=BB4_3455 Depth=3
	s_or_b64 exec, exec, s[28:29]
	s_waitcnt vmcnt(1)
	v_cmp_ne_u16_sdwa vcc, v16, v59 src0_sel:BYTE_0 src1_sel:DWORD
	s_and_saveexec_b64 s[28:29], vcc
	s_cbranch_execz .LBB4_3467
; %bb.3462:                             ;   in Loop: Header=BB4_3455 Depth=3
	v_cmp_ne_u16_sdwa vcc, v16, s91 src0_sel:BYTE_0 src1_sel:DWORD
	v_bfrev_b32_e32 v0, 1
	s_and_saveexec_b64 s[36:37], vcc
	s_cbranch_execz .LBB4_3466
; %bb.3463:                             ;   in Loop: Header=BB4_3455 Depth=3
	v_and_b32_e32 v1, 0x7f, v16
	v_cmp_ne_u32_e32 vcc, s92, v1
	v_mov_b32_e32 v0, 0x7f800001
	s_and_saveexec_b64 s[66:67], vcc
	s_cbranch_execz .LBB4_3465
; %bb.3464:                             ;   in Loop: Header=BB4_3455 Depth=3
	v_and_b32_e32 v0, 7, v16
	v_ffbh_u32_e32 v0, v0
	v_min_u32_e32 v0, 32, v0
	v_lshrrev_b32_e32 v3, 3, v1
	v_subrev_u32_e32 v4, 28, v0
	v_sub_u32_e32 v0, 29, v0
	v_cmp_gt_u32_e32 vcc, 8, v1
	v_cndmask_b32_e32 v3, v3, v0, vcc
	v_cndmask_b32_e32 v0, 0, v4, vcc
	v_lshlrev_b64 v[0:1], v0, v[16:17]
	v_lshlrev_b32_e32 v0, 20, v0
	v_lshlrev_b32_e32 v1, 24, v16
	v_bfrev_b32_e32 v4, 60
	v_and_b32_e32 v0, 0x700000, v0
	v_and_b32_e32 v1, 0x80000000, v1
	v_lshl_add_u32 v3, v3, 23, v4
	v_or3_b32 v0, v1, v3, v0
.LBB4_3465:                             ;   in Loop: Header=BB4_3455 Depth=3
	s_or_b64 exec, exec, s[66:67]
.LBB4_3466:                             ;   in Loop: Header=BB4_3455 Depth=3
	s_or_b64 exec, exec, s[36:37]
.LBB4_3467:                             ;   in Loop: Header=BB4_3455 Depth=3
	s_or_b64 exec, exec, s[28:29]
	v_add_f32_e32 v2, v2, v0
	v_and_b32_sdwa v0, v2, s91 dst_sel:DWORD dst_unused:UNUSED_PAD src0_sel:BYTE_3 src1_sel:DWORD
	v_and_b32_e32 v4, 0x7f800000, v2
	v_mov_b32_e32 v5, v59
	v_and_b32_e32 v58, 0x7fffff, v2
	v_or_b32_e32 v38, 0x7e, v0
	v_cmp_ne_u64_e32 vcc, s[54:55], v[4:5]
	s_and_saveexec_b64 s[28:29], vcc
	s_xor_b64 s[36:37], exec, s[28:29]
	s_cbranch_execz .LBB4_3477
; %bb.3468:                             ;   in Loop: Header=BB4_3455 Depth=3
	v_and_b32_e32 v4, 0x7fffffff, v2
	v_mov_b32_e32 v5, v59
	v_cmp_gt_u64_e32 vcc, s[56:57], v[4:5]
	s_and_saveexec_b64 s[66:67], vcc
	s_cbranch_execz .LBB4_3476
; %bb.3469:                             ;   in Loop: Header=BB4_3455 Depth=3
	v_cmp_ne_u32_e32 vcc, 0, v2
	v_mov_b32_e32 v38, 0
	s_and_saveexec_b64 s[68:69], vcc
	s_cbranch_execz .LBB4_3475
; %bb.3470:                             ;   in Loop: Header=BB4_3455 Depth=3
	v_bfe_u32 v1, v2, 23, 8
	v_sub_u32_e32 v3, 0x79, v1
	v_cmp_gt_u32_e32 vcc, s93, v1
	v_add_u32_e32 v2, 0xffffff81, v1
	v_cndmask_b32_e32 v3, 0, v3, vcc
	v_cmp_eq_u32_e32 vcc, 0, v1
	v_mov_b32_e32 v1, 0xffffff82
	v_cndmask_b32_e32 v1, v2, v1, vcc
	v_mov_b32_e32 v2, 0x78
	v_cndmask_b32_e32 v6, v3, v2, vcc
	v_add_u32_e32 v2, 20, v6
	v_or_b32_e32 v4, 0x800000, v58
	v_lshlrev_b64 v[2:3], v2, -1
	v_cndmask_b32_e32 v58, v4, v58, vcc
	v_not_b32_e32 v2, v2
	v_and_b32_e32 v4, v58, v2
	v_add_u32_e32 v2, 19, v6
	v_lshrrev_b64 v[32:33], v6, v[58:59]
	v_not_b32_e32 v3, v3
	v_lshlrev_b64 v[30:31], v2, 1
	v_lshrrev_b32_e32 v2, 23, v32
	v_and_b32_e32 v5, 0, v3
	v_add3_u32 v6, v6, v1, v2
	v_bfe_u32 v1, v32, 20, 1
	v_add_u32_e32 v1, -1, v1
	v_cmp_eq_u64_e32 vcc, v[4:5], v[30:31]
	v_cndmask_b32_e32 v1, 0, v1, vcc
	v_add_u32_e32 v1, v1, v32
	v_and_b32_e32 v1, 0xfffff, v1
	v_add_co_u32_e32 v4, vcc, v1, v32
	v_add_u32_e32 v3, 6, v6
	v_addc_co_u32_e32 v5, vcc, 0, v33, vcc
	v_cmp_ne_u32_e32 vcc, 0, v3
                                        ; implicit-def: $vgpr2
	s_and_saveexec_b64 s[28:29], vcc
	s_xor_b64 s[28:29], exec, s[28:29]
; %bb.3471:                             ;   in Loop: Header=BB4_3455 Depth=3
	v_add_u32_e32 v1, 7, v6
	v_cmp_lt_u64_e32 vcc, s[58:59], v[4:5]
	v_cndmask_b32_e32 v2, v3, v1, vcc
	v_cndmask_b32_e64 v1, 0, 1, vcc
	v_lshrrev_b64 v[4:5], v1, v[4:5]
; %bb.3472:                             ;   in Loop: Header=BB4_3455 Depth=3
	s_andn2_saveexec_b64 s[28:29], s[28:29]
; %bb.3473:                             ;   in Loop: Header=BB4_3455 Depth=3
	v_bfe_u32 v2, v4, 23, 1
; %bb.3474:                             ;   in Loop: Header=BB4_3455 Depth=3
	s_or_b64 exec, exec, s[28:29]
	v_lshrrev_b64 v[4:5], 20, v[4:5]
	v_cmp_gt_i32_e32 vcc, 16, v2
	v_cndmask_b32_e32 v5, 0, v5, vcc
	v_cndmask_b32_e32 v4, 7, v4, vcc
	v_min_i32_e32 v1, 15, v2
	v_cmp_eq_u32_e32 vcc, 0, v2
	v_cmp_eq_u64_e64 s[28:29], 0, v[4:5]
	v_lshlrev_b32_e32 v1, 3, v1
	v_and_or_b32 v1, v4, 7, v1
	s_and_b64 s[28:29], vcc, s[28:29]
	v_cndmask_b32_e64 v1, v1, 0, s[28:29]
	v_or_b32_e32 v38, v1, v0
.LBB4_3475:                             ;   in Loop: Header=BB4_3455 Depth=3
	s_or_b64 exec, exec, s[68:69]
.LBB4_3476:                             ;   in Loop: Header=BB4_3455 Depth=3
	s_or_b64 exec, exec, s[66:67]
                                        ; implicit-def: $vgpr2
.LBB4_3477:                             ;   in Loop: Header=BB4_3455 Depth=3
	s_andn2_saveexec_b64 s[28:29], s[36:37]
; %bb.3478:                             ;   in Loop: Header=BB4_3455 Depth=3
	v_or_b32_sdwa v0, v2, s92 dst_sel:DWORD dst_unused:UNUSED_PAD src0_sel:BYTE_3 src1_sel:DWORD
	v_cmp_eq_u64_e32 vcc, 0, v[58:59]
	v_cndmask_b32_e32 v38, v0, v38, vcc
; %bb.3479:                             ;   in Loop: Header=BB4_3455 Depth=3
	s_or_b64 exec, exec, s[28:29]
	v_lshrrev_b16_e32 v4, 8, v20
	v_cmp_ne_u16_e32 vcc, 0, v4
	v_mov_b32_e32 v0, 0
	v_mov_b32_e32 v2, 0
	s_and_saveexec_b64 s[28:29], vcc
	s_cbranch_execz .LBB4_3485
; %bb.3480:                             ;   in Loop: Header=BB4_3455 Depth=3
	v_cmp_ne_u16_e32 vcc, s91, v4
	v_bfrev_b32_e32 v2, 1
	s_and_saveexec_b64 s[36:37], vcc
	s_cbranch_execz .LBB4_3484
; %bb.3481:                             ;   in Loop: Header=BB4_3455 Depth=3
	v_and_b32_e32 v1, 0x7f, v4
	v_cmp_ne_u32_e32 vcc, s92, v1
	v_mov_b32_e32 v2, 0x7f800001
	s_and_saveexec_b64 s[66:67], vcc
	s_cbranch_execz .LBB4_3483
; %bb.3482:                             ;   in Loop: Header=BB4_3455 Depth=3
	v_and_b32_e32 v5, 7, v4
	v_ffbh_u32_e32 v2, v5
	v_min_u32_e32 v7, 32, v2
	v_subrev_u32_e32 v2, 28, v7
	v_lshlrev_b64 v[2:3], v2, v[4:5]
	v_lshrrev_b32_e32 v6, 3, v1
	v_sub_u32_e32 v3, 29, v7
	v_and_b32_e32 v2, 7, v2
	v_cmp_gt_u32_e32 vcc, 8, v1
	v_cndmask_b32_e32 v1, v6, v3, vcc
	v_cndmask_b32_e32 v2, v5, v2, vcc
	v_lshlrev_b32_e32 v3, 16, v20
	v_bfrev_b32_e32 v4, 60
	v_lshlrev_b32_e32 v2, 20, v2
	v_and_b32_e32 v3, 0x80000000, v3
	v_lshl_add_u32 v1, v1, 23, v4
	v_or3_b32 v2, v3, v1, v2
.LBB4_3483:                             ;   in Loop: Header=BB4_3455 Depth=3
	s_or_b64 exec, exec, s[66:67]
.LBB4_3484:                             ;   in Loop: Header=BB4_3455 Depth=3
	s_or_b64 exec, exec, s[36:37]
.LBB4_3485:                             ;   in Loop: Header=BB4_3455 Depth=3
	s_or_b64 exec, exec, s[28:29]
	v_lshrrev_b16_e32 v4, 8, v16
	v_cmp_ne_u16_e32 vcc, 0, v4
	s_and_saveexec_b64 s[28:29], vcc
	s_cbranch_execz .LBB4_3491
; %bb.3486:                             ;   in Loop: Header=BB4_3455 Depth=3
	v_cmp_ne_u16_e32 vcc, s91, v4
	v_bfrev_b32_e32 v0, 1
	s_and_saveexec_b64 s[36:37], vcc
	s_cbranch_execz .LBB4_3490
; %bb.3487:                             ;   in Loop: Header=BB4_3455 Depth=3
	v_and_b32_e32 v1, 0x7f, v4
	v_cmp_ne_u32_e32 vcc, s92, v1
	v_mov_b32_e32 v0, 0x7f800001
	s_and_saveexec_b64 s[66:67], vcc
	s_cbranch_execz .LBB4_3489
; %bb.3488:                             ;   in Loop: Header=BB4_3455 Depth=3
	v_and_b32_e32 v0, 7, v4
	v_ffbh_u32_e32 v5, v0
	v_min_u32_e32 v6, 32, v5
	v_subrev_u32_e32 v5, 28, v6
	v_lshlrev_b64 v[4:5], v5, v[4:5]
	v_lshrrev_b32_e32 v3, 3, v1
	v_sub_u32_e32 v5, 29, v6
	v_and_b32_e32 v4, 7, v4
	v_cmp_gt_u32_e32 vcc, 8, v1
	v_cndmask_b32_e32 v1, v3, v5, vcc
	v_cndmask_b32_e32 v0, v0, v4, vcc
	v_lshlrev_b32_e32 v3, 16, v16
	v_bfrev_b32_e32 v4, 60
	v_lshlrev_b32_e32 v0, 20, v0
	v_and_b32_e32 v3, 0x80000000, v3
	v_lshl_add_u32 v1, v1, 23, v4
	v_or3_b32 v0, v3, v1, v0
.LBB4_3489:                             ;   in Loop: Header=BB4_3455 Depth=3
	s_or_b64 exec, exec, s[66:67]
.LBB4_3490:                             ;   in Loop: Header=BB4_3455 Depth=3
	s_or_b64 exec, exec, s[36:37]
.LBB4_3491:                             ;   in Loop: Header=BB4_3455 Depth=3
	s_or_b64 exec, exec, s[28:29]
	v_add_f32_e32 v2, v2, v0
	v_and_b32_sdwa v0, v2, s91 dst_sel:DWORD dst_unused:UNUSED_PAD src0_sel:BYTE_3 src1_sel:DWORD
	v_and_b32_e32 v4, 0x7f800000, v2
	v_mov_b32_e32 v5, v59
	v_and_b32_e32 v58, 0x7fffff, v2
	v_or_b32_e32 v57, 0x7e, v0
	v_cmp_ne_u64_e32 vcc, s[54:55], v[4:5]
	s_and_saveexec_b64 s[28:29], vcc
	s_xor_b64 s[36:37], exec, s[28:29]
	s_cbranch_execz .LBB4_3501
; %bb.3492:                             ;   in Loop: Header=BB4_3455 Depth=3
	v_and_b32_e32 v4, 0x7fffffff, v2
	v_mov_b32_e32 v5, v59
	v_cmp_gt_u64_e32 vcc, s[56:57], v[4:5]
	s_and_saveexec_b64 s[66:67], vcc
	s_cbranch_execz .LBB4_3500
; %bb.3493:                             ;   in Loop: Header=BB4_3455 Depth=3
	v_cmp_ne_u32_e32 vcc, 0, v2
	v_mov_b32_e32 v57, 0
	s_and_saveexec_b64 s[68:69], vcc
	s_cbranch_execz .LBB4_3499
; %bb.3494:                             ;   in Loop: Header=BB4_3455 Depth=3
	v_bfe_u32 v1, v2, 23, 8
	v_sub_u32_e32 v3, 0x79, v1
	v_cmp_gt_u32_e32 vcc, s93, v1
	v_add_u32_e32 v2, 0xffffff81, v1
	v_cndmask_b32_e32 v3, 0, v3, vcc
	v_cmp_eq_u32_e32 vcc, 0, v1
	v_mov_b32_e32 v1, 0xffffff82
	v_cndmask_b32_e32 v1, v2, v1, vcc
	v_mov_b32_e32 v2, 0x78
	v_cndmask_b32_e32 v6, v3, v2, vcc
	v_add_u32_e32 v2, 20, v6
	v_or_b32_e32 v4, 0x800000, v58
	v_lshlrev_b64 v[2:3], v2, -1
	v_cndmask_b32_e32 v58, v4, v58, vcc
	v_not_b32_e32 v2, v2
	v_and_b32_e32 v4, v58, v2
	v_add_u32_e32 v2, 19, v6
	v_lshrrev_b64 v[32:33], v6, v[58:59]
	v_not_b32_e32 v3, v3
	v_lshlrev_b64 v[30:31], v2, 1
	v_lshrrev_b32_e32 v2, 23, v32
	v_and_b32_e32 v5, 0, v3
	v_add3_u32 v6, v6, v1, v2
	v_bfe_u32 v1, v32, 20, 1
	v_add_u32_e32 v1, -1, v1
	v_cmp_eq_u64_e32 vcc, v[4:5], v[30:31]
	v_cndmask_b32_e32 v1, 0, v1, vcc
	v_add_u32_e32 v1, v1, v32
	v_and_b32_e32 v1, 0xfffff, v1
	v_add_co_u32_e32 v4, vcc, v1, v32
	v_add_u32_e32 v3, 6, v6
	v_addc_co_u32_e32 v5, vcc, 0, v33, vcc
	v_cmp_ne_u32_e32 vcc, 0, v3
                                        ; implicit-def: $vgpr2
	s_and_saveexec_b64 s[28:29], vcc
	s_xor_b64 s[28:29], exec, s[28:29]
; %bb.3495:                             ;   in Loop: Header=BB4_3455 Depth=3
	v_add_u32_e32 v1, 7, v6
	v_cmp_lt_u64_e32 vcc, s[58:59], v[4:5]
	v_cndmask_b32_e32 v2, v3, v1, vcc
	v_cndmask_b32_e64 v1, 0, 1, vcc
	v_lshrrev_b64 v[4:5], v1, v[4:5]
; %bb.3496:                             ;   in Loop: Header=BB4_3455 Depth=3
	s_andn2_saveexec_b64 s[28:29], s[28:29]
; %bb.3497:                             ;   in Loop: Header=BB4_3455 Depth=3
	v_bfe_u32 v2, v4, 23, 1
; %bb.3498:                             ;   in Loop: Header=BB4_3455 Depth=3
	s_or_b64 exec, exec, s[28:29]
	v_lshrrev_b64 v[4:5], 20, v[4:5]
	v_cmp_gt_i32_e32 vcc, 16, v2
	v_cndmask_b32_e32 v5, 0, v5, vcc
	v_cndmask_b32_e32 v4, 7, v4, vcc
	v_min_i32_e32 v1, 15, v2
	v_cmp_eq_u32_e32 vcc, 0, v2
	v_cmp_eq_u64_e64 s[28:29], 0, v[4:5]
	v_lshlrev_b32_e32 v1, 3, v1
	v_and_or_b32 v1, v4, 7, v1
	s_and_b64 s[28:29], vcc, s[28:29]
	v_cndmask_b32_e64 v1, v1, 0, s[28:29]
	v_or_b32_e32 v57, v1, v0
.LBB4_3499:                             ;   in Loop: Header=BB4_3455 Depth=3
	s_or_b64 exec, exec, s[68:69]
.LBB4_3500:                             ;   in Loop: Header=BB4_3455 Depth=3
	s_or_b64 exec, exec, s[66:67]
                                        ; implicit-def: $vgpr2
.LBB4_3501:                             ;   in Loop: Header=BB4_3455 Depth=3
	s_andn2_saveexec_b64 s[28:29], s[36:37]
; %bb.3502:                             ;   in Loop: Header=BB4_3455 Depth=3
	v_or_b32_sdwa v0, v2, s92 dst_sel:DWORD dst_unused:UNUSED_PAD src0_sel:BYTE_3 src1_sel:DWORD
	v_cmp_eq_u64_e32 vcc, 0, v[58:59]
	v_cndmask_b32_e32 v57, v0, v57, vcc
; %bb.3503:                             ;   in Loop: Header=BB4_3455 Depth=3
	s_or_b64 exec, exec, s[28:29]
	v_lshrrev_b32_e32 v4, 16, v20
	v_cmp_ne_u16_sdwa vcc, v4, v59 src0_sel:BYTE_0 src1_sel:DWORD
	v_mov_b32_e32 v0, 0
	v_mov_b32_e32 v2, 0
	s_and_saveexec_b64 s[28:29], vcc
	s_cbranch_execz .LBB4_3509
; %bb.3504:                             ;   in Loop: Header=BB4_3455 Depth=3
	v_cmp_ne_u16_sdwa vcc, v4, s91 src0_sel:BYTE_0 src1_sel:DWORD
	v_bfrev_b32_e32 v2, 1
	s_and_saveexec_b64 s[36:37], vcc
	s_cbranch_execz .LBB4_3508
; %bb.3505:                             ;   in Loop: Header=BB4_3455 Depth=3
	v_bfe_u32 v1, v20, 16, 7
	v_cmp_ne_u32_e32 vcc, s92, v1
	v_mov_b32_e32 v2, 0x7f800001
	s_and_saveexec_b64 s[66:67], vcc
	s_cbranch_execz .LBB4_3507
; %bb.3506:                             ;   in Loop: Header=BB4_3455 Depth=3
	v_and_b32_e32 v5, 7, v4
	v_ffbh_u32_e32 v2, v5
	v_min_u32_e32 v7, 32, v2
	v_subrev_u32_e32 v2, 28, v7
	v_lshlrev_b64 v[2:3], v2, v[4:5]
	v_lshrrev_b32_e32 v6, 3, v1
	v_sub_u32_e32 v3, 29, v7
	v_and_b32_e32 v2, 7, v2
	v_cmp_gt_u32_e32 vcc, 8, v1
	v_cndmask_b32_e32 v1, v6, v3, vcc
	v_cndmask_b32_e32 v2, v5, v2, vcc
	v_lshlrev_b32_e32 v3, 24, v4
	v_bfrev_b32_e32 v4, 60
	v_lshlrev_b32_e32 v2, 20, v2
	v_and_b32_e32 v3, 0x80000000, v3
	v_lshl_add_u32 v1, v1, 23, v4
	v_or3_b32 v2, v3, v1, v2
.LBB4_3507:                             ;   in Loop: Header=BB4_3455 Depth=3
	s_or_b64 exec, exec, s[66:67]
.LBB4_3508:                             ;   in Loop: Header=BB4_3455 Depth=3
	s_or_b64 exec, exec, s[36:37]
.LBB4_3509:                             ;   in Loop: Header=BB4_3455 Depth=3
	s_or_b64 exec, exec, s[28:29]
	v_lshrrev_b32_e32 v4, 16, v16
	v_cmp_ne_u16_sdwa vcc, v4, v59 src0_sel:BYTE_0 src1_sel:DWORD
	s_and_saveexec_b64 s[28:29], vcc
	s_cbranch_execz .LBB4_3515
; %bb.3510:                             ;   in Loop: Header=BB4_3455 Depth=3
	v_cmp_ne_u16_sdwa vcc, v4, s91 src0_sel:BYTE_0 src1_sel:DWORD
	v_bfrev_b32_e32 v0, 1
	s_and_saveexec_b64 s[36:37], vcc
	s_cbranch_execz .LBB4_3514
; %bb.3511:                             ;   in Loop: Header=BB4_3455 Depth=3
	v_bfe_u32 v1, v16, 16, 7
	v_cmp_ne_u32_e32 vcc, s92, v1
	v_mov_b32_e32 v0, 0x7f800001
	s_and_saveexec_b64 s[66:67], vcc
	s_cbranch_execz .LBB4_3513
; %bb.3512:                             ;   in Loop: Header=BB4_3455 Depth=3
	v_and_b32_e32 v0, 7, v4
	v_ffbh_u32_e32 v5, v0
	v_min_u32_e32 v6, 32, v5
	v_subrev_u32_e32 v5, 28, v6
	v_lshlrev_b64 v[4:5], v5, v[4:5]
	v_lshrrev_b32_e32 v3, 3, v1
	v_sub_u32_e32 v5, 29, v6
	v_and_b32_e32 v4, 7, v4
	v_cmp_gt_u32_e32 vcc, 8, v1
	v_cndmask_b32_e32 v1, v3, v5, vcc
	v_cndmask_b32_e32 v0, v0, v4, vcc
	v_lshlrev_b32_e32 v3, 8, v16
	v_bfrev_b32_e32 v4, 60
	v_lshlrev_b32_e32 v0, 20, v0
	v_and_b32_e32 v3, 0x80000000, v3
	v_lshl_add_u32 v1, v1, 23, v4
	v_or3_b32 v0, v3, v1, v0
.LBB4_3513:                             ;   in Loop: Header=BB4_3455 Depth=3
	s_or_b64 exec, exec, s[66:67]
.LBB4_3514:                             ;   in Loop: Header=BB4_3455 Depth=3
	s_or_b64 exec, exec, s[36:37]
.LBB4_3515:                             ;   in Loop: Header=BB4_3455 Depth=3
	s_or_b64 exec, exec, s[28:29]
	v_add_f32_e32 v2, v2, v0
	v_and_b32_sdwa v0, v2, s91 dst_sel:DWORD dst_unused:UNUSED_PAD src0_sel:BYTE_3 src1_sel:DWORD
	v_and_b32_e32 v4, 0x7f800000, v2
	v_mov_b32_e32 v5, v59
	v_and_b32_e32 v58, 0x7fffff, v2
	v_or_b32_e32 v6, 0x7e, v0
	v_cmp_ne_u64_e32 vcc, s[54:55], v[4:5]
	s_and_saveexec_b64 s[28:29], vcc
	s_xor_b64 s[36:37], exec, s[28:29]
	s_cbranch_execz .LBB4_3525
; %bb.3516:                             ;   in Loop: Header=BB4_3455 Depth=3
	v_and_b32_e32 v4, 0x7fffffff, v2
	v_mov_b32_e32 v5, v59
	v_cmp_gt_u64_e32 vcc, s[56:57], v[4:5]
	s_and_saveexec_b64 s[66:67], vcc
	s_cbranch_execz .LBB4_3524
; %bb.3517:                             ;   in Loop: Header=BB4_3455 Depth=3
	v_cmp_ne_u32_e32 vcc, 0, v2
	v_mov_b32_e32 v6, 0
	s_and_saveexec_b64 s[68:69], vcc
	s_cbranch_execz .LBB4_3523
; %bb.3518:                             ;   in Loop: Header=BB4_3455 Depth=3
	v_bfe_u32 v1, v2, 23, 8
	v_sub_u32_e32 v3, 0x79, v1
	v_cmp_gt_u32_e32 vcc, s93, v1
	v_add_u32_e32 v2, 0xffffff81, v1
	v_cndmask_b32_e32 v3, 0, v3, vcc
	v_cmp_eq_u32_e32 vcc, 0, v1
	v_mov_b32_e32 v1, 0xffffff82
	v_cndmask_b32_e32 v1, v2, v1, vcc
	v_mov_b32_e32 v2, 0x78
	v_cndmask_b32_e32 v6, v3, v2, vcc
	v_add_u32_e32 v2, 20, v6
	v_or_b32_e32 v4, 0x800000, v58
	v_lshlrev_b64 v[2:3], v2, -1
	v_cndmask_b32_e32 v58, v4, v58, vcc
	v_not_b32_e32 v2, v2
	v_and_b32_e32 v4, v58, v2
	v_add_u32_e32 v2, 19, v6
	v_lshrrev_b64 v[32:33], v6, v[58:59]
	v_not_b32_e32 v3, v3
	v_lshlrev_b64 v[30:31], v2, 1
	v_lshrrev_b32_e32 v2, 23, v32
	v_and_b32_e32 v5, 0, v3
	v_add3_u32 v6, v6, v1, v2
	v_bfe_u32 v1, v32, 20, 1
	v_add_u32_e32 v1, -1, v1
	v_cmp_eq_u64_e32 vcc, v[4:5], v[30:31]
	v_cndmask_b32_e32 v1, 0, v1, vcc
	v_add_u32_e32 v1, v1, v32
	v_and_b32_e32 v1, 0xfffff, v1
	v_add_co_u32_e32 v4, vcc, v1, v32
	v_add_u32_e32 v3, 6, v6
	v_addc_co_u32_e32 v5, vcc, 0, v33, vcc
	v_cmp_ne_u32_e32 vcc, 0, v3
                                        ; implicit-def: $vgpr2
	s_and_saveexec_b64 s[28:29], vcc
	s_xor_b64 s[28:29], exec, s[28:29]
; %bb.3519:                             ;   in Loop: Header=BB4_3455 Depth=3
	v_add_u32_e32 v1, 7, v6
	v_cmp_lt_u64_e32 vcc, s[58:59], v[4:5]
	v_cndmask_b32_e32 v2, v3, v1, vcc
	v_cndmask_b32_e64 v1, 0, 1, vcc
	v_lshrrev_b64 v[4:5], v1, v[4:5]
; %bb.3520:                             ;   in Loop: Header=BB4_3455 Depth=3
	s_andn2_saveexec_b64 s[28:29], s[28:29]
; %bb.3521:                             ;   in Loop: Header=BB4_3455 Depth=3
	v_bfe_u32 v2, v4, 23, 1
; %bb.3522:                             ;   in Loop: Header=BB4_3455 Depth=3
	s_or_b64 exec, exec, s[28:29]
	v_lshrrev_b64 v[4:5], 20, v[4:5]
	v_cmp_gt_i32_e32 vcc, 16, v2
	v_cndmask_b32_e32 v5, 0, v5, vcc
	v_cndmask_b32_e32 v4, 7, v4, vcc
	v_min_i32_e32 v1, 15, v2
	v_cmp_eq_u32_e32 vcc, 0, v2
	v_cmp_eq_u64_e64 s[28:29], 0, v[4:5]
	v_lshlrev_b32_e32 v1, 3, v1
	v_and_or_b32 v1, v4, 7, v1
	s_and_b64 s[28:29], vcc, s[28:29]
	v_cndmask_b32_e64 v1, v1, 0, s[28:29]
	v_or_b32_e32 v6, v1, v0
.LBB4_3523:                             ;   in Loop: Header=BB4_3455 Depth=3
	s_or_b64 exec, exec, s[68:69]
.LBB4_3524:                             ;   in Loop: Header=BB4_3455 Depth=3
	s_or_b64 exec, exec, s[66:67]
                                        ; implicit-def: $vgpr2
.LBB4_3525:                             ;   in Loop: Header=BB4_3455 Depth=3
	s_andn2_saveexec_b64 s[28:29], s[36:37]
; %bb.3526:                             ;   in Loop: Header=BB4_3455 Depth=3
	v_or_b32_sdwa v0, v2, s92 dst_sel:DWORD dst_unused:UNUSED_PAD src0_sel:BYTE_3 src1_sel:DWORD
	v_cmp_eq_u64_e32 vcc, 0, v[58:59]
	v_cndmask_b32_e32 v6, v0, v6, vcc
; %bb.3527:                             ;   in Loop: Header=BB4_3455 Depth=3
	s_or_b64 exec, exec, s[28:29]
	v_cmp_lt_u32_e32 vcc, s45, v20
	v_mov_b32_e32 v0, 0
	v_mov_b32_e32 v2, 0
	s_and_saveexec_b64 s[28:29], vcc
	s_cbranch_execz .LBB4_3533
; %bb.3528:                             ;   in Loop: Header=BB4_3455 Depth=3
	v_lshrrev_b32_e32 v4, 24, v20
	v_cmp_ne_u32_e32 vcc, s91, v4
	v_bfrev_b32_e32 v2, 1
	s_and_saveexec_b64 s[36:37], vcc
	s_cbranch_execz .LBB4_3532
; %bb.3529:                             ;   in Loop: Header=BB4_3455 Depth=3
	v_bfe_u32 v1, v20, 24, 7
	v_cmp_ne_u32_e32 vcc, s92, v1
	v_mov_b32_e32 v2, 0x7f800001
	s_and_saveexec_b64 s[66:67], vcc
	s_cbranch_execz .LBB4_3531
; %bb.3530:                             ;   in Loop: Header=BB4_3455 Depth=3
	v_and_b32_e32 v5, 7, v4
	v_ffbh_u32_e32 v2, v5
	v_min_u32_e32 v26, 32, v2
	v_subrev_u32_e32 v2, 28, v26
	v_lshlrev_b64 v[2:3], v2, v[4:5]
	v_lshrrev_b32_e32 v7, 3, v1
	v_sub_u32_e32 v3, 29, v26
	v_and_b32_e32 v2, 7, v2
	v_cmp_gt_u32_e32 vcc, 8, v1
	v_cndmask_b32_e32 v1, v7, v3, vcc
	v_cndmask_b32_e32 v2, v5, v2, vcc
	v_lshlrev_b32_e32 v3, 24, v4
	v_bfrev_b32_e32 v4, 60
	v_lshlrev_b32_e32 v2, 20, v2
	v_and_b32_e32 v3, 0x80000000, v3
	v_lshl_add_u32 v1, v1, 23, v4
	v_or3_b32 v2, v3, v1, v2
.LBB4_3531:                             ;   in Loop: Header=BB4_3455 Depth=3
	s_or_b64 exec, exec, s[66:67]
.LBB4_3532:                             ;   in Loop: Header=BB4_3455 Depth=3
	s_or_b64 exec, exec, s[36:37]
.LBB4_3533:                             ;   in Loop: Header=BB4_3455 Depth=3
	s_or_b64 exec, exec, s[28:29]
	v_cmp_lt_u32_e32 vcc, s45, v16
	s_and_saveexec_b64 s[28:29], vcc
	s_cbranch_execz .LBB4_3539
; %bb.3534:                             ;   in Loop: Header=BB4_3455 Depth=3
	v_lshrrev_b32_e32 v4, 24, v16
	v_cmp_ne_u32_e32 vcc, s91, v4
	v_bfrev_b32_e32 v0, 1
	s_and_saveexec_b64 s[36:37], vcc
	s_cbranch_execz .LBB4_3538
; %bb.3535:                             ;   in Loop: Header=BB4_3455 Depth=3
	v_bfe_u32 v1, v16, 24, 7
	v_cmp_ne_u32_e32 vcc, s92, v1
	v_mov_b32_e32 v0, 0x7f800001
	s_and_saveexec_b64 s[66:67], vcc
	s_cbranch_execz .LBB4_3537
; %bb.3536:                             ;   in Loop: Header=BB4_3455 Depth=3
	v_and_b32_e32 v0, 7, v4
	v_ffbh_u32_e32 v5, v0
	v_min_u32_e32 v5, 32, v5
	v_subrev_u32_e32 v7, 28, v5
	v_lshlrev_b64 v[30:31], v7, v[4:5]
	v_lshrrev_b32_e32 v3, 3, v1
	v_sub_u32_e32 v5, 29, v5
	v_and_b32_e32 v7, 7, v30
	v_cmp_gt_u32_e32 vcc, 8, v1
	v_cndmask_b32_e32 v1, v3, v5, vcc
	v_cndmask_b32_e32 v0, v0, v7, vcc
	v_lshlrev_b32_e32 v3, 24, v4
	v_bfrev_b32_e32 v4, 60
	v_lshlrev_b32_e32 v0, 20, v0
	v_and_b32_e32 v3, 0x80000000, v3
	v_lshl_add_u32 v1, v1, 23, v4
	v_or3_b32 v0, v3, v1, v0
.LBB4_3537:                             ;   in Loop: Header=BB4_3455 Depth=3
	s_or_b64 exec, exec, s[66:67]
.LBB4_3538:                             ;   in Loop: Header=BB4_3455 Depth=3
	s_or_b64 exec, exec, s[36:37]
.LBB4_3539:                             ;   in Loop: Header=BB4_3455 Depth=3
	s_or_b64 exec, exec, s[28:29]
	v_add_f32_e32 v2, v2, v0
	v_and_b32_sdwa v0, v2, s91 dst_sel:DWORD dst_unused:UNUSED_PAD src0_sel:BYTE_3 src1_sel:DWORD
	v_and_b32_e32 v4, 0x7f800000, v2
	v_mov_b32_e32 v5, v59
	v_and_b32_e32 v58, 0x7fffff, v2
	v_or_b32_e32 v7, 0x7e, v0
	v_cmp_ne_u64_e32 vcc, s[54:55], v[4:5]
	s_and_saveexec_b64 s[28:29], vcc
	s_xor_b64 s[36:37], exec, s[28:29]
	s_cbranch_execz .LBB4_3549
; %bb.3540:                             ;   in Loop: Header=BB4_3455 Depth=3
	v_and_b32_e32 v4, 0x7fffffff, v2
	v_mov_b32_e32 v5, v59
	v_cmp_gt_u64_e32 vcc, s[56:57], v[4:5]
	s_and_saveexec_b64 s[66:67], vcc
	s_cbranch_execz .LBB4_3548
; %bb.3541:                             ;   in Loop: Header=BB4_3455 Depth=3
	v_cmp_ne_u32_e32 vcc, 0, v2
	v_mov_b32_e32 v7, 0
	s_and_saveexec_b64 s[68:69], vcc
	s_cbranch_execz .LBB4_3547
; %bb.3542:                             ;   in Loop: Header=BB4_3455 Depth=3
	v_bfe_u32 v1, v2, 23, 8
	v_sub_u32_e32 v3, 0x79, v1
	v_cmp_gt_u32_e32 vcc, s93, v1
	v_add_u32_e32 v2, 0xffffff81, v1
	v_cndmask_b32_e32 v3, 0, v3, vcc
	v_cmp_eq_u32_e32 vcc, 0, v1
	v_mov_b32_e32 v1, 0xffffff82
	v_cndmask_b32_e32 v1, v2, v1, vcc
	v_mov_b32_e32 v2, 0x78
	v_cndmask_b32_e32 v7, v3, v2, vcc
	v_add_u32_e32 v2, 20, v7
	v_or_b32_e32 v4, 0x800000, v58
	v_lshlrev_b64 v[2:3], v2, -1
	v_cndmask_b32_e32 v58, v4, v58, vcc
	v_not_b32_e32 v2, v2
	v_and_b32_e32 v4, v58, v2
	v_add_u32_e32 v2, 19, v7
	v_lshrrev_b64 v[32:33], v7, v[58:59]
	v_not_b32_e32 v3, v3
	v_lshlrev_b64 v[30:31], v2, 1
	v_lshrrev_b32_e32 v2, 23, v32
	v_and_b32_e32 v5, 0, v3
	v_add3_u32 v7, v7, v1, v2
	v_bfe_u32 v1, v32, 20, 1
	v_add_u32_e32 v1, -1, v1
	v_cmp_eq_u64_e32 vcc, v[4:5], v[30:31]
	v_cndmask_b32_e32 v1, 0, v1, vcc
	v_add_u32_e32 v1, v1, v32
	v_and_b32_e32 v1, 0xfffff, v1
	v_add_co_u32_e32 v4, vcc, v1, v32
	v_add_u32_e32 v3, 6, v7
	v_addc_co_u32_e32 v5, vcc, 0, v33, vcc
	v_cmp_ne_u32_e32 vcc, 0, v3
                                        ; implicit-def: $vgpr2
	s_and_saveexec_b64 s[28:29], vcc
	s_xor_b64 s[28:29], exec, s[28:29]
; %bb.3543:                             ;   in Loop: Header=BB4_3455 Depth=3
	v_add_u32_e32 v1, 7, v7
	v_cmp_lt_u64_e32 vcc, s[58:59], v[4:5]
	v_cndmask_b32_e32 v2, v3, v1, vcc
	v_cndmask_b32_e64 v1, 0, 1, vcc
	v_lshrrev_b64 v[4:5], v1, v[4:5]
; %bb.3544:                             ;   in Loop: Header=BB4_3455 Depth=3
	s_andn2_saveexec_b64 s[28:29], s[28:29]
; %bb.3545:                             ;   in Loop: Header=BB4_3455 Depth=3
	v_bfe_u32 v2, v4, 23, 1
; %bb.3546:                             ;   in Loop: Header=BB4_3455 Depth=3
	s_or_b64 exec, exec, s[28:29]
	v_lshrrev_b64 v[4:5], 20, v[4:5]
	v_cmp_gt_i32_e32 vcc, 16, v2
	v_cndmask_b32_e32 v5, 0, v5, vcc
	v_cndmask_b32_e32 v4, 7, v4, vcc
	v_min_i32_e32 v1, 15, v2
	v_cmp_eq_u32_e32 vcc, 0, v2
	v_cmp_eq_u64_e64 s[28:29], 0, v[4:5]
	v_lshlrev_b32_e32 v1, 3, v1
	v_and_or_b32 v1, v4, 7, v1
	s_and_b64 s[28:29], vcc, s[28:29]
	v_cndmask_b32_e64 v1, v1, 0, s[28:29]
	v_or_b32_e32 v7, v1, v0
.LBB4_3547:                             ;   in Loop: Header=BB4_3455 Depth=3
	s_or_b64 exec, exec, s[68:69]
.LBB4_3548:                             ;   in Loop: Header=BB4_3455 Depth=3
	s_or_b64 exec, exec, s[66:67]
                                        ; implicit-def: $vgpr2
.LBB4_3549:                             ;   in Loop: Header=BB4_3455 Depth=3
	s_andn2_saveexec_b64 s[28:29], s[36:37]
; %bb.3550:                             ;   in Loop: Header=BB4_3455 Depth=3
	v_or_b32_sdwa v0, v2, s92 dst_sel:DWORD dst_unused:UNUSED_PAD src0_sel:BYTE_3 src1_sel:DWORD
	v_cmp_eq_u64_e32 vcc, 0, v[58:59]
	v_cndmask_b32_e32 v7, v0, v7, vcc
; %bb.3551:                             ;   in Loop: Header=BB4_3455 Depth=3
	s_or_b64 exec, exec, s[28:29]
	v_mov_b32_e32 v58, v21
	v_cmp_ne_u16_sdwa vcc, v21, v59 src0_sel:BYTE_0 src1_sel:DWORD
	v_mov_b32_e32 v2, 0
	v_mov_b32_e32 v0, 0
	s_and_saveexec_b64 s[28:29], vcc
	s_cbranch_execz .LBB4_3557
; %bb.3552:                             ;   in Loop: Header=BB4_3455 Depth=3
	v_cmp_ne_u16_sdwa vcc, v21, s91 src0_sel:BYTE_0 src1_sel:DWORD
	v_bfrev_b32_e32 v0, 1
	s_and_saveexec_b64 s[36:37], vcc
	s_cbranch_execz .LBB4_3556
; %bb.3553:                             ;   in Loop: Header=BB4_3455 Depth=3
	v_and_b32_e32 v1, 0x7f, v21
	v_cmp_ne_u32_e32 vcc, s92, v1
	v_mov_b32_e32 v0, 0x7f800001
	s_and_saveexec_b64 s[66:67], vcc
	s_cbranch_execz .LBB4_3555
; %bb.3554:                             ;   in Loop: Header=BB4_3455 Depth=3
	v_and_b32_e32 v0, 7, v21
	v_ffbh_u32_e32 v0, v0
	v_min_u32_e32 v0, 32, v0
	v_lshrrev_b32_e32 v3, 3, v1
	v_subrev_u32_e32 v4, 28, v0
	v_sub_u32_e32 v0, 29, v0
	v_cmp_gt_u32_e32 vcc, 8, v1
	v_cndmask_b32_e32 v3, v3, v0, vcc
	v_cndmask_b32_e32 v0, 0, v4, vcc
	v_lshlrev_b64 v[0:1], v0, v[58:59]
	v_lshlrev_b32_e32 v0, 20, v0
	v_lshlrev_b32_e32 v1, 24, v58
	v_bfrev_b32_e32 v4, 60
	v_and_b32_e32 v0, 0x700000, v0
	v_and_b32_e32 v1, 0x80000000, v1
	v_lshl_add_u32 v3, v3, 23, v4
	v_or3_b32 v0, v1, v3, v0
.LBB4_3555:                             ;   in Loop: Header=BB4_3455 Depth=3
	s_or_b64 exec, exec, s[66:67]
.LBB4_3556:                             ;   in Loop: Header=BB4_3455 Depth=3
	s_or_b64 exec, exec, s[36:37]
.LBB4_3557:                             ;   in Loop: Header=BB4_3455 Depth=3
	s_or_b64 exec, exec, s[28:29]
	v_cmp_ne_u16_sdwa vcc, v17, v59 src0_sel:BYTE_0 src1_sel:DWORD
	s_and_saveexec_b64 s[28:29], vcc
	s_cbranch_execz .LBB4_3563
; %bb.3558:                             ;   in Loop: Header=BB4_3455 Depth=3
	v_cmp_ne_u16_sdwa vcc, v17, s91 src0_sel:BYTE_0 src1_sel:DWORD
	v_bfrev_b32_e32 v2, 1
	s_and_saveexec_b64 s[36:37], vcc
	s_cbranch_execz .LBB4_3562
; %bb.3559:                             ;   in Loop: Header=BB4_3455 Depth=3
	v_and_b32_e32 v1, 0x7f, v17
	v_cmp_ne_u32_e32 vcc, s92, v1
	v_mov_b32_e32 v2, 0x7f800001
	s_and_saveexec_b64 s[66:67], vcc
	s_cbranch_execz .LBB4_3561
; %bb.3560:                             ;   in Loop: Header=BB4_3455 Depth=3
	v_and_b32_e32 v4, 7, v17
	v_ffbh_u32_e32 v4, v4
	v_min_u32_e32 v4, 32, v4
	v_lshrrev_b32_e32 v5, 3, v1
	v_subrev_u32_e32 v26, 28, v4
	v_sub_u32_e32 v4, 29, v4
	v_cmp_gt_u32_e32 vcc, 8, v1
	v_mov_b32_e32 v2, v17
	v_mov_b32_e32 v3, v59
	v_cndmask_b32_e32 v1, v5, v4, vcc
	v_cndmask_b32_e32 v4, 0, v26, vcc
	v_lshlrev_b64 v[4:5], v4, v[2:3]
	v_lshlrev_b32_e32 v3, 20, v4
	v_lshlrev_b32_e32 v2, 24, v2
	v_bfrev_b32_e32 v4, 60
	v_and_b32_e32 v3, 0x700000, v3
	v_and_b32_e32 v2, 0x80000000, v2
	v_lshl_add_u32 v1, v1, 23, v4
	v_or3_b32 v2, v2, v1, v3
.LBB4_3561:                             ;   in Loop: Header=BB4_3455 Depth=3
	s_or_b64 exec, exec, s[66:67]
.LBB4_3562:                             ;   in Loop: Header=BB4_3455 Depth=3
	s_or_b64 exec, exec, s[36:37]
.LBB4_3563:                             ;   in Loop: Header=BB4_3455 Depth=3
	s_or_b64 exec, exec, s[28:29]
	v_add_f32_e32 v2, v0, v2
	v_and_b32_sdwa v0, v2, s91 dst_sel:DWORD dst_unused:UNUSED_PAD src0_sel:BYTE_3 src1_sel:DWORD
	v_and_b32_e32 v32, 0x7f800000, v2
	v_mov_b32_e32 v33, v59
	v_and_b32_e32 v4, 0x7fffff, v2
	v_mov_b32_e32 v5, v59
	v_or_b32_e32 v30, 0x7e, v0
	v_cmp_ne_u64_e32 vcc, s[54:55], v[32:33]
	s_and_saveexec_b64 s[28:29], vcc
	s_xor_b64 s[36:37], exec, s[28:29]
	s_cbranch_execz .LBB4_3573
; %bb.3564:                             ;   in Loop: Header=BB4_3455 Depth=3
	v_and_b32_e32 v32, 0x7fffffff, v2
	v_mov_b32_e32 v33, v59
	v_cmp_gt_u64_e32 vcc, s[56:57], v[32:33]
	s_and_saveexec_b64 s[66:67], vcc
	s_cbranch_execz .LBB4_3572
; %bb.3565:                             ;   in Loop: Header=BB4_3455 Depth=3
	v_cmp_ne_u32_e32 vcc, 0, v2
	v_mov_b32_e32 v30, 0
	s_and_saveexec_b64 s[68:69], vcc
	s_cbranch_execz .LBB4_3571
; %bb.3566:                             ;   in Loop: Header=BB4_3455 Depth=3
	v_bfe_u32 v1, v2, 23, 8
	v_sub_u32_e32 v3, 0x79, v1
	v_cmp_gt_u32_e32 vcc, s93, v1
	v_add_u32_e32 v2, 0xffffff81, v1
	v_cndmask_b32_e32 v3, 0, v3, vcc
	v_cmp_eq_u32_e32 vcc, 0, v1
	v_mov_b32_e32 v1, 0xffffff82
	v_cndmask_b32_e32 v1, v2, v1, vcc
	v_mov_b32_e32 v2, 0x78
	v_cndmask_b32_e32 v34, v3, v2, vcc
	v_add_u32_e32 v2, 20, v34
	v_or_b32_e32 v26, 0x800000, v4
	v_lshlrev_b64 v[2:3], v2, -1
	v_cndmask_b32_e32 v4, v26, v4, vcc
	v_not_b32_e32 v2, v2
	v_and_b32_e32 v30, v4, v2
	v_add_u32_e32 v2, 19, v34
	v_lshrrev_b64 v[4:5], v34, v[4:5]
	v_not_b32_e32 v3, v3
	v_lshlrev_b64 v[32:33], v2, 1
	v_lshrrev_b32_e32 v2, 23, v4
	v_and_b32_e32 v31, 0, v3
	v_add3_u32 v26, v34, v1, v2
	v_bfe_u32 v1, v4, 20, 1
	v_add_u32_e32 v1, -1, v1
	v_cmp_eq_u64_e32 vcc, v[30:31], v[32:33]
	v_cndmask_b32_e32 v1, 0, v1, vcc
	v_add_u32_e32 v1, v1, v4
	v_and_b32_e32 v1, 0xfffff, v1
	v_add_co_u32_e32 v4, vcc, v1, v4
	v_add_u32_e32 v3, 6, v26
	v_addc_co_u32_e32 v5, vcc, 0, v5, vcc
	v_cmp_ne_u32_e32 vcc, 0, v3
                                        ; implicit-def: $vgpr2
	s_and_saveexec_b64 s[28:29], vcc
	s_xor_b64 s[28:29], exec, s[28:29]
; %bb.3567:                             ;   in Loop: Header=BB4_3455 Depth=3
	v_add_u32_e32 v1, 7, v26
	v_cmp_lt_u64_e32 vcc, s[58:59], v[4:5]
	v_cndmask_b32_e32 v2, v3, v1, vcc
	v_cndmask_b32_e64 v1, 0, 1, vcc
	v_lshrrev_b64 v[4:5], v1, v[4:5]
; %bb.3568:                             ;   in Loop: Header=BB4_3455 Depth=3
	s_andn2_saveexec_b64 s[28:29], s[28:29]
; %bb.3569:                             ;   in Loop: Header=BB4_3455 Depth=3
	v_bfe_u32 v2, v4, 23, 1
; %bb.3570:                             ;   in Loop: Header=BB4_3455 Depth=3
	s_or_b64 exec, exec, s[28:29]
	v_lshrrev_b64 v[4:5], 20, v[4:5]
	v_cmp_gt_i32_e32 vcc, 16, v2
	v_cndmask_b32_e32 v5, 0, v5, vcc
	v_cndmask_b32_e32 v4, 7, v4, vcc
	v_min_i32_e32 v1, 15, v2
	v_cmp_eq_u32_e32 vcc, 0, v2
	v_cmp_eq_u64_e64 s[28:29], 0, v[4:5]
	v_lshlrev_b32_e32 v1, 3, v1
	v_and_or_b32 v1, v4, 7, v1
	s_and_b64 s[28:29], vcc, s[28:29]
	v_cndmask_b32_e64 v1, v1, 0, s[28:29]
	v_or_b32_e32 v30, v1, v0
.LBB4_3571:                             ;   in Loop: Header=BB4_3455 Depth=3
	s_or_b64 exec, exec, s[68:69]
.LBB4_3572:                             ;   in Loop: Header=BB4_3455 Depth=3
	s_or_b64 exec, exec, s[66:67]
                                        ; implicit-def: $vgpr2
                                        ; implicit-def: $vgpr4_vgpr5
.LBB4_3573:                             ;   in Loop: Header=BB4_3455 Depth=3
	s_andn2_saveexec_b64 s[28:29], s[36:37]
; %bb.3574:                             ;   in Loop: Header=BB4_3455 Depth=3
	v_or_b32_sdwa v0, v2, s92 dst_sel:DWORD dst_unused:UNUSED_PAD src0_sel:BYTE_3 src1_sel:DWORD
	v_cmp_eq_u64_e32 vcc, 0, v[4:5]
	v_cndmask_b32_e32 v30, v0, v30, vcc
; %bb.3575:                             ;   in Loop: Header=BB4_3455 Depth=3
	s_or_b64 exec, exec, s[28:29]
	v_lshrrev_b16_e32 v4, 8, v58
	v_cmp_ne_u16_e32 vcc, 0, v4
	v_mov_b32_e32 v0, 0
	v_mov_b32_e32 v2, 0
	s_and_saveexec_b64 s[28:29], vcc
	s_cbranch_execz .LBB4_3581
; %bb.3576:                             ;   in Loop: Header=BB4_3455 Depth=3
	v_cmp_ne_u16_e32 vcc, s91, v4
	v_bfrev_b32_e32 v2, 1
	s_and_saveexec_b64 s[36:37], vcc
	s_cbranch_execz .LBB4_3580
; %bb.3577:                             ;   in Loop: Header=BB4_3455 Depth=3
	v_and_b32_e32 v1, 0x7f, v4
	v_cmp_ne_u32_e32 vcc, s92, v1
	v_mov_b32_e32 v2, 0x7f800001
	s_and_saveexec_b64 s[66:67], vcc
	s_cbranch_execz .LBB4_3579
; %bb.3578:                             ;   in Loop: Header=BB4_3455 Depth=3
	v_and_b32_e32 v5, 7, v4
	v_ffbh_u32_e32 v2, v5
	v_min_u32_e32 v31, 32, v2
	v_subrev_u32_e32 v2, 28, v31
	v_lshlrev_b64 v[2:3], v2, v[4:5]
	v_lshrrev_b32_e32 v26, 3, v1
	v_sub_u32_e32 v3, 29, v31
	v_and_b32_e32 v2, 7, v2
	v_cmp_gt_u32_e32 vcc, 8, v1
	v_cndmask_b32_e32 v1, v26, v3, vcc
	v_cndmask_b32_e32 v2, v5, v2, vcc
	v_lshlrev_b32_e32 v3, 16, v58
	v_bfrev_b32_e32 v4, 60
	v_lshlrev_b32_e32 v2, 20, v2
	v_and_b32_e32 v3, 0x80000000, v3
	v_lshl_add_u32 v1, v1, 23, v4
	v_or3_b32 v2, v3, v1, v2
.LBB4_3579:                             ;   in Loop: Header=BB4_3455 Depth=3
	s_or_b64 exec, exec, s[66:67]
.LBB4_3580:                             ;   in Loop: Header=BB4_3455 Depth=3
	s_or_b64 exec, exec, s[36:37]
.LBB4_3581:                             ;   in Loop: Header=BB4_3455 Depth=3
	s_or_b64 exec, exec, s[28:29]
	v_mov_b32_e32 v4, v17
	v_lshrrev_b16_e32 v52, 8, v4
	v_cmp_ne_u16_e32 vcc, 0, v52
	s_and_saveexec_b64 s[28:29], vcc
	s_cbranch_execz .LBB4_3587
; %bb.3582:                             ;   in Loop: Header=BB4_3455 Depth=3
	v_cmp_ne_u16_e32 vcc, s91, v52
	v_bfrev_b32_e32 v0, 1
	s_and_saveexec_b64 s[36:37], vcc
	s_cbranch_execz .LBB4_3586
; %bb.3583:                             ;   in Loop: Header=BB4_3455 Depth=3
	v_and_b32_e32 v1, 0x7f, v52
	v_cmp_ne_u32_e32 vcc, s92, v1
	v_mov_b32_e32 v0, 0x7f800001
	s_and_saveexec_b64 s[66:67], vcc
	s_cbranch_execz .LBB4_3585
; %bb.3584:                             ;   in Loop: Header=BB4_3455 Depth=3
	v_and_b32_e32 v0, 7, v52
	v_ffbh_u32_e32 v5, v0
	v_min_u32_e32 v5, 32, v5
	v_subrev_u32_e32 v26, 28, v5
	v_lshlrev_b64 v[32:33], v26, v[52:53]
	v_lshrrev_b32_e32 v3, 3, v1
	v_sub_u32_e32 v5, 29, v5
	v_and_b32_e32 v26, 7, v32
	v_cmp_gt_u32_e32 vcc, 8, v1
	v_cndmask_b32_e32 v1, v3, v5, vcc
	v_cndmask_b32_e32 v0, v0, v26, vcc
	v_lshlrev_b32_e32 v3, 16, v4
	v_bfrev_b32_e32 v4, 60
	v_lshlrev_b32_e32 v0, 20, v0
	v_and_b32_e32 v3, 0x80000000, v3
	v_lshl_add_u32 v1, v1, 23, v4
	v_or3_b32 v0, v3, v1, v0
.LBB4_3585:                             ;   in Loop: Header=BB4_3455 Depth=3
	s_or_b64 exec, exec, s[66:67]
.LBB4_3586:                             ;   in Loop: Header=BB4_3455 Depth=3
	s_or_b64 exec, exec, s[36:37]
.LBB4_3587:                             ;   in Loop: Header=BB4_3455 Depth=3
	s_or_b64 exec, exec, s[28:29]
	v_add_f32_e32 v2, v2, v0
	v_and_b32_sdwa v0, v2, s91 dst_sel:DWORD dst_unused:UNUSED_PAD src0_sel:BYTE_3 src1_sel:DWORD
	v_and_b32_e32 v4, 0x7f800000, v2
	v_mov_b32_e32 v5, v59
	v_and_b32_e32 v58, 0x7fffff, v2
	v_or_b32_e32 v26, 0x7e, v0
	v_cmp_ne_u64_e32 vcc, s[54:55], v[4:5]
	s_and_saveexec_b64 s[28:29], vcc
	s_xor_b64 s[36:37], exec, s[28:29]
	s_cbranch_execz .LBB4_3597
; %bb.3588:                             ;   in Loop: Header=BB4_3455 Depth=3
	v_and_b32_e32 v4, 0x7fffffff, v2
	v_mov_b32_e32 v5, v59
	v_cmp_gt_u64_e32 vcc, s[56:57], v[4:5]
	s_and_saveexec_b64 s[66:67], vcc
	s_cbranch_execz .LBB4_3596
; %bb.3589:                             ;   in Loop: Header=BB4_3455 Depth=3
	v_cmp_ne_u32_e32 vcc, 0, v2
	v_mov_b32_e32 v26, 0
	s_and_saveexec_b64 s[68:69], vcc
	s_cbranch_execz .LBB4_3595
; %bb.3590:                             ;   in Loop: Header=BB4_3455 Depth=3
	v_bfe_u32 v1, v2, 23, 8
	v_sub_u32_e32 v3, 0x79, v1
	v_cmp_gt_u32_e32 vcc, s93, v1
	v_add_u32_e32 v2, 0xffffff81, v1
	v_cndmask_b32_e32 v3, 0, v3, vcc
	v_cmp_eq_u32_e32 vcc, 0, v1
	v_mov_b32_e32 v1, 0xffffff82
	v_cndmask_b32_e32 v1, v2, v1, vcc
	v_mov_b32_e32 v2, 0x78
	v_cndmask_b32_e32 v26, v3, v2, vcc
	v_add_u32_e32 v2, 20, v26
	v_or_b32_e32 v4, 0x800000, v58
	v_lshlrev_b64 v[2:3], v2, -1
	v_cndmask_b32_e32 v58, v4, v58, vcc
	v_not_b32_e32 v2, v2
	v_and_b32_e32 v4, v58, v2
	v_add_u32_e32 v2, 19, v26
	v_lshrrev_b64 v[34:35], v26, v[58:59]
	v_not_b32_e32 v3, v3
	v_lshlrev_b64 v[32:33], v2, 1
	v_lshrrev_b32_e32 v2, 23, v34
	v_and_b32_e32 v5, 0, v3
	v_add3_u32 v26, v26, v1, v2
	v_bfe_u32 v1, v34, 20, 1
	v_add_u32_e32 v1, -1, v1
	v_cmp_eq_u64_e32 vcc, v[4:5], v[32:33]
	v_cndmask_b32_e32 v1, 0, v1, vcc
	v_add_u32_e32 v1, v1, v34
	v_and_b32_e32 v1, 0xfffff, v1
	v_add_co_u32_e32 v4, vcc, v1, v34
	v_add_u32_e32 v3, 6, v26
	v_addc_co_u32_e32 v5, vcc, 0, v35, vcc
	v_cmp_ne_u32_e32 vcc, 0, v3
                                        ; implicit-def: $vgpr2
	s_and_saveexec_b64 s[28:29], vcc
	s_xor_b64 s[28:29], exec, s[28:29]
; %bb.3591:                             ;   in Loop: Header=BB4_3455 Depth=3
	v_add_u32_e32 v1, 7, v26
	v_cmp_lt_u64_e32 vcc, s[58:59], v[4:5]
	v_cndmask_b32_e32 v2, v3, v1, vcc
	v_cndmask_b32_e64 v1, 0, 1, vcc
	v_lshrrev_b64 v[4:5], v1, v[4:5]
; %bb.3592:                             ;   in Loop: Header=BB4_3455 Depth=3
	s_andn2_saveexec_b64 s[28:29], s[28:29]
; %bb.3593:                             ;   in Loop: Header=BB4_3455 Depth=3
	v_bfe_u32 v2, v4, 23, 1
; %bb.3594:                             ;   in Loop: Header=BB4_3455 Depth=3
	s_or_b64 exec, exec, s[28:29]
	v_lshrrev_b64 v[4:5], 20, v[4:5]
	v_cmp_gt_i32_e32 vcc, 16, v2
	v_cndmask_b32_e32 v5, 0, v5, vcc
	v_cndmask_b32_e32 v4, 7, v4, vcc
	v_min_i32_e32 v1, 15, v2
	v_cmp_eq_u32_e32 vcc, 0, v2
	v_cmp_eq_u64_e64 s[28:29], 0, v[4:5]
	v_lshlrev_b32_e32 v1, 3, v1
	v_and_or_b32 v1, v4, 7, v1
	s_and_b64 s[28:29], vcc, s[28:29]
	v_cndmask_b32_e64 v1, v1, 0, s[28:29]
	v_or_b32_e32 v26, v1, v0
.LBB4_3595:                             ;   in Loop: Header=BB4_3455 Depth=3
	s_or_b64 exec, exec, s[68:69]
.LBB4_3596:                             ;   in Loop: Header=BB4_3455 Depth=3
	s_or_b64 exec, exec, s[66:67]
                                        ; implicit-def: $vgpr2
.LBB4_3597:                             ;   in Loop: Header=BB4_3455 Depth=3
	s_andn2_saveexec_b64 s[28:29], s[36:37]
; %bb.3598:                             ;   in Loop: Header=BB4_3455 Depth=3
	v_or_b32_sdwa v0, v2, s92 dst_sel:DWORD dst_unused:UNUSED_PAD src0_sel:BYTE_3 src1_sel:DWORD
	v_cmp_eq_u64_e32 vcc, 0, v[58:59]
	v_cndmask_b32_e32 v26, v0, v26, vcc
; %bb.3599:                             ;   in Loop: Header=BB4_3455 Depth=3
	s_or_b64 exec, exec, s[28:29]
	v_lshrrev_b32_e32 v4, 16, v21
	v_cmp_ne_u16_sdwa vcc, v4, v59 src0_sel:BYTE_0 src1_sel:DWORD
	v_mov_b32_e32 v0, 0
	v_mov_b32_e32 v2, 0
	s_and_saveexec_b64 s[28:29], vcc
	s_cbranch_execz .LBB4_3605
; %bb.3600:                             ;   in Loop: Header=BB4_3455 Depth=3
	v_cmp_ne_u16_sdwa vcc, v4, s91 src0_sel:BYTE_0 src1_sel:DWORD
	v_bfrev_b32_e32 v2, 1
	s_and_saveexec_b64 s[36:37], vcc
	s_cbranch_execz .LBB4_3604
; %bb.3601:                             ;   in Loop: Header=BB4_3455 Depth=3
	v_bfe_u32 v1, v21, 16, 7
	v_cmp_ne_u32_e32 vcc, s92, v1
	v_mov_b32_e32 v2, 0x7f800001
	s_and_saveexec_b64 s[66:67], vcc
	s_cbranch_execz .LBB4_3603
; %bb.3602:                             ;   in Loop: Header=BB4_3455 Depth=3
	v_and_b32_e32 v5, 7, v4
	v_ffbh_u32_e32 v2, v5
	v_min_u32_e32 v32, 32, v2
	v_subrev_u32_e32 v2, 28, v32
	v_lshlrev_b64 v[2:3], v2, v[4:5]
	v_lshrrev_b32_e32 v31, 3, v1
	v_sub_u32_e32 v3, 29, v32
	v_and_b32_e32 v2, 7, v2
	v_cmp_gt_u32_e32 vcc, 8, v1
	v_cndmask_b32_e32 v1, v31, v3, vcc
	v_cndmask_b32_e32 v2, v5, v2, vcc
	v_lshlrev_b32_e32 v3, 24, v4
	v_bfrev_b32_e32 v4, 60
	v_lshlrev_b32_e32 v2, 20, v2
	v_and_b32_e32 v3, 0x80000000, v3
	v_lshl_add_u32 v1, v1, 23, v4
	v_or3_b32 v2, v3, v1, v2
.LBB4_3603:                             ;   in Loop: Header=BB4_3455 Depth=3
	s_or_b64 exec, exec, s[66:67]
.LBB4_3604:                             ;   in Loop: Header=BB4_3455 Depth=3
	s_or_b64 exec, exec, s[36:37]
.LBB4_3605:                             ;   in Loop: Header=BB4_3455 Depth=3
	s_or_b64 exec, exec, s[28:29]
	v_lshrrev_b32_e32 v4, 16, v17
	v_cmp_ne_u16_sdwa vcc, v4, v59 src0_sel:BYTE_0 src1_sel:DWORD
	s_and_saveexec_b64 s[28:29], vcc
	s_cbranch_execz .LBB4_3611
; %bb.3606:                             ;   in Loop: Header=BB4_3455 Depth=3
	v_cmp_ne_u16_sdwa vcc, v4, s91 src0_sel:BYTE_0 src1_sel:DWORD
	v_bfrev_b32_e32 v0, 1
	s_and_saveexec_b64 s[36:37], vcc
	s_cbranch_execz .LBB4_3610
; %bb.3607:                             ;   in Loop: Header=BB4_3455 Depth=3
	v_bfe_u32 v1, v17, 16, 7
	v_cmp_ne_u32_e32 vcc, s92, v1
	v_mov_b32_e32 v0, 0x7f800001
	s_and_saveexec_b64 s[66:67], vcc
	s_cbranch_execz .LBB4_3609
; %bb.3608:                             ;   in Loop: Header=BB4_3455 Depth=3
	v_and_b32_e32 v0, 7, v4
	v_ffbh_u32_e32 v5, v0
	v_min_u32_e32 v31, 32, v5
	v_subrev_u32_e32 v5, 28, v31
	v_lshlrev_b64 v[4:5], v5, v[4:5]
	v_lshrrev_b32_e32 v3, 3, v1
	v_sub_u32_e32 v5, 29, v31
	v_and_b32_e32 v4, 7, v4
	v_cmp_gt_u32_e32 vcc, 8, v1
	v_cndmask_b32_e32 v1, v3, v5, vcc
	v_cndmask_b32_e32 v0, v0, v4, vcc
	v_lshlrev_b32_e32 v3, 8, v17
	v_bfrev_b32_e32 v4, 60
	v_lshlrev_b32_e32 v0, 20, v0
	v_and_b32_e32 v3, 0x80000000, v3
	v_lshl_add_u32 v1, v1, 23, v4
	v_or3_b32 v0, v3, v1, v0
.LBB4_3609:                             ;   in Loop: Header=BB4_3455 Depth=3
	s_or_b64 exec, exec, s[66:67]
.LBB4_3610:                             ;   in Loop: Header=BB4_3455 Depth=3
	s_or_b64 exec, exec, s[36:37]
.LBB4_3611:                             ;   in Loop: Header=BB4_3455 Depth=3
	s_or_b64 exec, exec, s[28:29]
	v_add_f32_e32 v2, v2, v0
	v_and_b32_sdwa v0, v2, s91 dst_sel:DWORD dst_unused:UNUSED_PAD src0_sel:BYTE_3 src1_sel:DWORD
	v_and_b32_e32 v4, 0x7f800000, v2
	v_mov_b32_e32 v5, v59
	v_and_b32_e32 v58, 0x7fffff, v2
	v_or_b32_e32 v36, 0x7e, v0
	v_cmp_ne_u64_e32 vcc, s[54:55], v[4:5]
	s_and_saveexec_b64 s[28:29], vcc
	s_xor_b64 s[36:37], exec, s[28:29]
	s_cbranch_execz .LBB4_3621
; %bb.3612:                             ;   in Loop: Header=BB4_3455 Depth=3
	v_and_b32_e32 v4, 0x7fffffff, v2
	v_mov_b32_e32 v5, v59
	v_cmp_gt_u64_e32 vcc, s[56:57], v[4:5]
	s_and_saveexec_b64 s[66:67], vcc
	s_cbranch_execz .LBB4_3620
; %bb.3613:                             ;   in Loop: Header=BB4_3455 Depth=3
	v_cmp_ne_u32_e32 vcc, 0, v2
	v_mov_b32_e32 v36, 0
	s_and_saveexec_b64 s[68:69], vcc
	s_cbranch_execz .LBB4_3619
; %bb.3614:                             ;   in Loop: Header=BB4_3455 Depth=3
	v_bfe_u32 v1, v2, 23, 8
	v_sub_u32_e32 v3, 0x79, v1
	v_cmp_gt_u32_e32 vcc, s93, v1
	v_add_u32_e32 v2, 0xffffff81, v1
	v_cndmask_b32_e32 v3, 0, v3, vcc
	v_cmp_eq_u32_e32 vcc, 0, v1
	v_mov_b32_e32 v1, 0xffffff82
	v_cndmask_b32_e32 v1, v2, v1, vcc
	v_mov_b32_e32 v2, 0x78
	v_cndmask_b32_e32 v31, v3, v2, vcc
	v_add_u32_e32 v2, 20, v31
	v_or_b32_e32 v4, 0x800000, v58
	v_lshlrev_b64 v[2:3], v2, -1
	v_cndmask_b32_e32 v58, v4, v58, vcc
	v_not_b32_e32 v2, v2
	v_and_b32_e32 v4, v58, v2
	v_add_u32_e32 v2, 19, v31
	v_lshrrev_b64 v[34:35], v31, v[58:59]
	v_not_b32_e32 v3, v3
	v_lshlrev_b64 v[32:33], v2, 1
	v_lshrrev_b32_e32 v2, 23, v34
	v_and_b32_e32 v5, 0, v3
	v_add3_u32 v31, v31, v1, v2
	v_bfe_u32 v1, v34, 20, 1
	v_add_u32_e32 v1, -1, v1
	v_cmp_eq_u64_e32 vcc, v[4:5], v[32:33]
	v_cndmask_b32_e32 v1, 0, v1, vcc
	v_add_u32_e32 v1, v1, v34
	v_and_b32_e32 v1, 0xfffff, v1
	v_add_co_u32_e32 v4, vcc, v1, v34
	v_add_u32_e32 v3, 6, v31
	v_addc_co_u32_e32 v5, vcc, 0, v35, vcc
	v_cmp_ne_u32_e32 vcc, 0, v3
                                        ; implicit-def: $vgpr2
	s_and_saveexec_b64 s[28:29], vcc
	s_xor_b64 s[28:29], exec, s[28:29]
; %bb.3615:                             ;   in Loop: Header=BB4_3455 Depth=3
	v_add_u32_e32 v1, 7, v31
	v_cmp_lt_u64_e32 vcc, s[58:59], v[4:5]
	v_cndmask_b32_e32 v2, v3, v1, vcc
	v_cndmask_b32_e64 v1, 0, 1, vcc
	v_lshrrev_b64 v[4:5], v1, v[4:5]
; %bb.3616:                             ;   in Loop: Header=BB4_3455 Depth=3
	s_andn2_saveexec_b64 s[28:29], s[28:29]
; %bb.3617:                             ;   in Loop: Header=BB4_3455 Depth=3
	v_bfe_u32 v2, v4, 23, 1
; %bb.3618:                             ;   in Loop: Header=BB4_3455 Depth=3
	s_or_b64 exec, exec, s[28:29]
	v_lshrrev_b64 v[4:5], 20, v[4:5]
	v_cmp_gt_i32_e32 vcc, 16, v2
	v_min_i32_e32 v1, 15, v2
	v_cndmask_b32_e32 v5, 0, v5, vcc
	v_cndmask_b32_e32 v4, 7, v4, vcc
	v_lshlrev_b32_e32 v1, 3, v1
	v_cmp_eq_u32_e32 vcc, 0, v2
	v_cmp_eq_u64_e64 s[28:29], 0, v[4:5]
	v_and_b32_e32 v1, 0xf8, v1
	v_and_or_b32 v1, v4, 7, v1
	s_and_b64 s[28:29], vcc, s[28:29]
	v_cndmask_b32_e64 v1, v1, 0, s[28:29]
	v_or_b32_e32 v36, v1, v0
.LBB4_3619:                             ;   in Loop: Header=BB4_3455 Depth=3
	s_or_b64 exec, exec, s[68:69]
.LBB4_3620:                             ;   in Loop: Header=BB4_3455 Depth=3
	s_or_b64 exec, exec, s[66:67]
                                        ; implicit-def: $vgpr2
.LBB4_3621:                             ;   in Loop: Header=BB4_3455 Depth=3
	s_andn2_saveexec_b64 s[28:29], s[36:37]
; %bb.3622:                             ;   in Loop: Header=BB4_3455 Depth=3
	v_or_b32_sdwa v0, v2, s92 dst_sel:DWORD dst_unused:UNUSED_PAD src0_sel:BYTE_3 src1_sel:DWORD
	v_cmp_eq_u64_e32 vcc, 0, v[58:59]
	v_cndmask_b32_e32 v36, v0, v36, vcc
; %bb.3623:                             ;   in Loop: Header=BB4_3455 Depth=3
	s_or_b64 exec, exec, s[28:29]
	v_cmp_lt_u64_e32 vcc, s[44:45], v[20:21]
	v_mov_b32_e32 v0, 0
	v_mov_b32_e32 v2, 0
	s_and_saveexec_b64 s[28:29], vcc
	s_cbranch_execz .LBB4_3629
; %bb.3624:                             ;   in Loop: Header=BB4_3455 Depth=3
	v_lshrrev_b32_e32 v4, 24, v21
	v_cmp_ne_u32_e32 vcc, s91, v4
	v_bfrev_b32_e32 v2, 1
	s_and_saveexec_b64 s[36:37], vcc
	s_cbranch_execz .LBB4_3628
; %bb.3625:                             ;   in Loop: Header=BB4_3455 Depth=3
	v_bfe_u32 v1, v21, 24, 7
	v_cmp_ne_u32_e32 vcc, s92, v1
	v_mov_b32_e32 v2, 0x7f800001
	s_and_saveexec_b64 s[66:67], vcc
	s_cbranch_execz .LBB4_3627
; %bb.3626:                             ;   in Loop: Header=BB4_3455 Depth=3
	v_and_b32_e32 v5, 7, v4
	v_ffbh_u32_e32 v2, v5
	v_min_u32_e32 v21, 32, v2
	v_subrev_u32_e32 v2, 28, v21
	v_lshlrev_b64 v[2:3], v2, v[4:5]
	v_lshrrev_b32_e32 v20, 3, v1
	v_sub_u32_e32 v3, 29, v21
	v_and_b32_e32 v2, 7, v2
	v_cmp_gt_u32_e32 vcc, 8, v1
	v_cndmask_b32_e32 v1, v20, v3, vcc
	v_cndmask_b32_e32 v2, v5, v2, vcc
	v_lshlrev_b32_e32 v3, 24, v4
	v_bfrev_b32_e32 v4, 60
	v_lshlrev_b32_e32 v2, 20, v2
	v_and_b32_e32 v3, 0x80000000, v3
	v_lshl_add_u32 v1, v1, 23, v4
	v_or3_b32 v2, v3, v1, v2
.LBB4_3627:                             ;   in Loop: Header=BB4_3455 Depth=3
	s_or_b64 exec, exec, s[66:67]
.LBB4_3628:                             ;   in Loop: Header=BB4_3455 Depth=3
	s_or_b64 exec, exec, s[36:37]
.LBB4_3629:                             ;   in Loop: Header=BB4_3455 Depth=3
	s_or_b64 exec, exec, s[28:29]
	v_cmp_lt_u64_e32 vcc, s[44:45], v[16:17]
	s_and_saveexec_b64 s[28:29], vcc
	s_cbranch_execz .LBB4_3635
; %bb.3630:                             ;   in Loop: Header=BB4_3455 Depth=3
	v_lshrrev_b32_e32 v4, 24, v17
	v_cmp_ne_u32_e32 vcc, s91, v4
	v_bfrev_b32_e32 v0, 1
	s_and_saveexec_b64 s[36:37], vcc
	s_cbranch_execz .LBB4_3634
; %bb.3631:                             ;   in Loop: Header=BB4_3455 Depth=3
	v_bfe_u32 v1, v17, 24, 7
	v_cmp_ne_u32_e32 vcc, s92, v1
	v_mov_b32_e32 v0, 0x7f800001
	s_and_saveexec_b64 s[66:67], vcc
	s_cbranch_execz .LBB4_3633
; %bb.3632:                             ;   in Loop: Header=BB4_3455 Depth=3
	v_and_b32_e32 v0, 7, v4
	v_ffbh_u32_e32 v5, v0
	v_min_u32_e32 v5, 32, v5
	v_subrev_u32_e32 v16, 28, v5
	v_lshlrev_b64 v[16:17], v16, v[4:5]
	v_lshrrev_b32_e32 v3, 3, v1
	v_sub_u32_e32 v5, 29, v5
	v_and_b32_e32 v16, 7, v16
	v_cmp_gt_u32_e32 vcc, 8, v1
	v_cndmask_b32_e32 v1, v3, v5, vcc
	v_cndmask_b32_e32 v0, v0, v16, vcc
	v_lshlrev_b32_e32 v3, 24, v4
	v_bfrev_b32_e32 v4, 60
	v_lshlrev_b32_e32 v0, 20, v0
	v_and_b32_e32 v3, 0x80000000, v3
	v_lshl_add_u32 v1, v1, 23, v4
	v_or3_b32 v0, v3, v1, v0
.LBB4_3633:                             ;   in Loop: Header=BB4_3455 Depth=3
	s_or_b64 exec, exec, s[66:67]
.LBB4_3634:                             ;   in Loop: Header=BB4_3455 Depth=3
	s_or_b64 exec, exec, s[36:37]
.LBB4_3635:                             ;   in Loop: Header=BB4_3455 Depth=3
	s_or_b64 exec, exec, s[28:29]
	v_add_f32_e32 v2, v2, v0
	v_and_b32_sdwa v0, v2, s91 dst_sel:DWORD dst_unused:UNUSED_PAD src0_sel:BYTE_3 src1_sel:DWORD
	v_and_b32_e32 v4, 0x7f800000, v2
	v_mov_b32_e32 v5, v59
	v_and_b32_e32 v58, 0x7fffff, v2
	v_or_b32_e32 v17, 0x7e, v0
	v_cmp_ne_u64_e32 vcc, s[54:55], v[4:5]
	s_and_saveexec_b64 s[28:29], vcc
	s_xor_b64 s[36:37], exec, s[28:29]
	s_cbranch_execz .LBB4_3645
; %bb.3636:                             ;   in Loop: Header=BB4_3455 Depth=3
	v_and_b32_e32 v4, 0x7fffffff, v2
	v_mov_b32_e32 v5, v59
	v_cmp_gt_u64_e32 vcc, s[56:57], v[4:5]
	s_and_saveexec_b64 s[66:67], vcc
	s_cbranch_execz .LBB4_3644
; %bb.3637:                             ;   in Loop: Header=BB4_3455 Depth=3
	v_cmp_ne_u32_e32 vcc, 0, v2
	v_mov_b32_e32 v17, 0
	s_and_saveexec_b64 s[68:69], vcc
	s_cbranch_execz .LBB4_3643
; %bb.3638:                             ;   in Loop: Header=BB4_3455 Depth=3
	v_bfe_u32 v1, v2, 23, 8
	v_sub_u32_e32 v3, 0x79, v1
	v_cmp_gt_u32_e32 vcc, s93, v1
	v_add_u32_e32 v2, 0xffffff81, v1
	v_cndmask_b32_e32 v3, 0, v3, vcc
	v_cmp_eq_u32_e32 vcc, 0, v1
	v_mov_b32_e32 v1, 0xffffff82
	v_cndmask_b32_e32 v1, v2, v1, vcc
	v_mov_b32_e32 v2, 0x78
	v_cndmask_b32_e32 v16, v3, v2, vcc
	v_add_u32_e32 v2, 20, v16
	v_or_b32_e32 v4, 0x800000, v58
	v_lshlrev_b64 v[2:3], v2, -1
	v_cndmask_b32_e32 v58, v4, v58, vcc
	v_not_b32_e32 v2, v2
	v_and_b32_e32 v4, v58, v2
	v_add_u32_e32 v2, 19, v16
	v_lshrrev_b64 v[32:33], v16, v[58:59]
	v_not_b32_e32 v3, v3
	v_lshlrev_b64 v[20:21], v2, 1
	v_lshrrev_b32_e32 v2, 23, v32
	v_and_b32_e32 v5, 0, v3
	v_add3_u32 v16, v16, v1, v2
	v_bfe_u32 v1, v32, 20, 1
	v_add_u32_e32 v1, -1, v1
	v_cmp_eq_u64_e32 vcc, v[4:5], v[20:21]
	v_cndmask_b32_e32 v1, 0, v1, vcc
	v_add_u32_e32 v1, v1, v32
	v_and_b32_e32 v1, 0xfffff, v1
	v_add_co_u32_e32 v4, vcc, v1, v32
	v_add_u32_e32 v3, 6, v16
	v_addc_co_u32_e32 v5, vcc, 0, v33, vcc
	v_cmp_ne_u32_e32 vcc, 0, v3
                                        ; implicit-def: $vgpr2
	s_and_saveexec_b64 s[28:29], vcc
	s_xor_b64 s[28:29], exec, s[28:29]
; %bb.3639:                             ;   in Loop: Header=BB4_3455 Depth=3
	v_add_u32_e32 v1, 7, v16
	v_cmp_lt_u64_e32 vcc, s[58:59], v[4:5]
	v_cndmask_b32_e32 v2, v3, v1, vcc
	v_cndmask_b32_e64 v1, 0, 1, vcc
	v_lshrrev_b64 v[4:5], v1, v[4:5]
; %bb.3640:                             ;   in Loop: Header=BB4_3455 Depth=3
	s_andn2_saveexec_b64 s[28:29], s[28:29]
; %bb.3641:                             ;   in Loop: Header=BB4_3455 Depth=3
	v_bfe_u32 v2, v4, 23, 1
; %bb.3642:                             ;   in Loop: Header=BB4_3455 Depth=3
	s_or_b64 exec, exec, s[28:29]
	v_lshrrev_b64 v[4:5], 20, v[4:5]
	v_cmp_gt_i32_e32 vcc, 16, v2
	v_min_i32_e32 v1, 15, v2
	v_cndmask_b32_e32 v5, 0, v5, vcc
	v_cndmask_b32_e32 v4, 7, v4, vcc
	v_lshlrev_b32_e32 v1, 3, v1
	v_cmp_eq_u32_e32 vcc, 0, v2
	v_cmp_eq_u64_e64 s[28:29], 0, v[4:5]
	v_and_b32_e32 v1, 0xf8, v1
	v_and_or_b32 v1, v4, 7, v1
	s_and_b64 s[28:29], vcc, s[28:29]
	v_cndmask_b32_e64 v1, v1, 0, s[28:29]
	v_or_b32_e32 v17, v1, v0
.LBB4_3643:                             ;   in Loop: Header=BB4_3455 Depth=3
	s_or_b64 exec, exec, s[68:69]
.LBB4_3644:                             ;   in Loop: Header=BB4_3455 Depth=3
	s_or_b64 exec, exec, s[66:67]
                                        ; implicit-def: $vgpr2
.LBB4_3645:                             ;   in Loop: Header=BB4_3455 Depth=3
	s_andn2_saveexec_b64 s[28:29], s[36:37]
; %bb.3646:                             ;   in Loop: Header=BB4_3455 Depth=3
	v_or_b32_sdwa v0, v2, s92 dst_sel:DWORD dst_unused:UNUSED_PAD src0_sel:BYTE_3 src1_sel:DWORD
	v_cmp_eq_u64_e32 vcc, 0, v[58:59]
	v_cndmask_b32_e32 v17, v0, v17, vcc
; %bb.3647:                             ;   in Loop: Header=BB4_3455 Depth=3
	s_or_b64 exec, exec, s[28:29]
	v_cmp_ne_u16_sdwa vcc, v22, v59 src0_sel:BYTE_0 src1_sel:DWORD
	v_mov_b32_e32 v0, 0
	v_mov_b32_e32 v2, 0
	s_and_saveexec_b64 s[28:29], vcc
	s_cbranch_execz .LBB4_3653
; %bb.3648:                             ;   in Loop: Header=BB4_3455 Depth=3
	v_cmp_ne_u16_sdwa vcc, v22, s91 src0_sel:BYTE_0 src1_sel:DWORD
	v_bfrev_b32_e32 v2, 1
	s_and_saveexec_b64 s[36:37], vcc
	s_cbranch_execz .LBB4_3652
; %bb.3649:                             ;   in Loop: Header=BB4_3455 Depth=3
	v_and_b32_e32 v1, 0x7f, v22
	v_cmp_ne_u32_e32 vcc, s92, v1
	v_mov_b32_e32 v2, 0x7f800001
	s_and_saveexec_b64 s[66:67], vcc
	s_cbranch_execz .LBB4_3651
; %bb.3650:                             ;   in Loop: Header=BB4_3455 Depth=3
	v_and_b32_e32 v2, 7, v22
	v_ffbh_u32_e32 v2, v2
	v_min_u32_e32 v2, 32, v2
	v_lshrrev_b32_e32 v3, 3, v1
	v_subrev_u32_e32 v4, 28, v2
	v_sub_u32_e32 v2, 29, v2
	v_cmp_gt_u32_e32 vcc, 8, v1
	v_cndmask_b32_e32 v1, v3, v2, vcc
	v_cndmask_b32_e32 v2, 0, v4, vcc
	v_lshlrev_b64 v[2:3], v2, v[22:23]
	v_lshlrev_b32_e32 v2, 20, v2
	v_lshlrev_b32_e32 v3, 24, v22
	v_bfrev_b32_e32 v4, 60
	v_and_b32_e32 v2, 0x700000, v2
	v_and_b32_e32 v3, 0x80000000, v3
	v_lshl_add_u32 v1, v1, 23, v4
	v_or3_b32 v2, v3, v1, v2
.LBB4_3651:                             ;   in Loop: Header=BB4_3455 Depth=3
	s_or_b64 exec, exec, s[66:67]
.LBB4_3652:                             ;   in Loop: Header=BB4_3455 Depth=3
	s_or_b64 exec, exec, s[36:37]
.LBB4_3653:                             ;   in Loop: Header=BB4_3455 Depth=3
	s_or_b64 exec, exec, s[28:29]
	v_cmp_ne_u16_sdwa vcc, v18, v59 src0_sel:BYTE_0 src1_sel:DWORD
	s_and_saveexec_b64 s[28:29], vcc
	s_cbranch_execz .LBB4_3659
; %bb.3654:                             ;   in Loop: Header=BB4_3455 Depth=3
	v_cmp_ne_u16_sdwa vcc, v18, s91 src0_sel:BYTE_0 src1_sel:DWORD
	v_bfrev_b32_e32 v0, 1
	s_and_saveexec_b64 s[36:37], vcc
	s_cbranch_execz .LBB4_3658
; %bb.3655:                             ;   in Loop: Header=BB4_3455 Depth=3
	v_and_b32_e32 v1, 0x7f, v18
	v_cmp_ne_u32_e32 vcc, s92, v1
	v_mov_b32_e32 v0, 0x7f800001
	s_and_saveexec_b64 s[66:67], vcc
	s_cbranch_execz .LBB4_3657
; %bb.3656:                             ;   in Loop: Header=BB4_3455 Depth=3
	v_and_b32_e32 v0, 7, v18
	v_ffbh_u32_e32 v0, v0
	v_min_u32_e32 v0, 32, v0
	v_lshrrev_b32_e32 v3, 3, v1
	v_subrev_u32_e32 v4, 28, v0
	v_sub_u32_e32 v0, 29, v0
	v_cmp_gt_u32_e32 vcc, 8, v1
	v_cndmask_b32_e32 v3, v3, v0, vcc
	v_cndmask_b32_e32 v0, 0, v4, vcc
	v_lshlrev_b64 v[0:1], v0, v[18:19]
	v_lshlrev_b32_e32 v0, 20, v0
	v_lshlrev_b32_e32 v1, 24, v18
	v_bfrev_b32_e32 v4, 60
	v_and_b32_e32 v0, 0x700000, v0
	v_and_b32_e32 v1, 0x80000000, v1
	v_lshl_add_u32 v3, v3, 23, v4
	v_or3_b32 v0, v1, v3, v0
.LBB4_3657:                             ;   in Loop: Header=BB4_3455 Depth=3
	s_or_b64 exec, exec, s[66:67]
.LBB4_3658:                             ;   in Loop: Header=BB4_3455 Depth=3
	s_or_b64 exec, exec, s[36:37]
.LBB4_3659:                             ;   in Loop: Header=BB4_3455 Depth=3
	s_or_b64 exec, exec, s[28:29]
	v_add_f32_e32 v2, v2, v0
	v_and_b32_sdwa v0, v2, s91 dst_sel:DWORD dst_unused:UNUSED_PAD src0_sel:BYTE_3 src1_sel:DWORD
	v_and_b32_e32 v4, 0x7f800000, v2
	v_mov_b32_e32 v5, v59
	v_and_b32_e32 v58, 0x7fffff, v2
	v_or_b32_e32 v20, 0x7e, v0
	v_cmp_ne_u64_e32 vcc, s[54:55], v[4:5]
	s_and_saveexec_b64 s[28:29], vcc
	s_xor_b64 s[36:37], exec, s[28:29]
	s_cbranch_execz .LBB4_3669
; %bb.3660:                             ;   in Loop: Header=BB4_3455 Depth=3
	v_and_b32_e32 v4, 0x7fffffff, v2
	v_mov_b32_e32 v5, v59
	v_cmp_gt_u64_e32 vcc, s[56:57], v[4:5]
	s_and_saveexec_b64 s[66:67], vcc
	s_cbranch_execz .LBB4_3668
; %bb.3661:                             ;   in Loop: Header=BB4_3455 Depth=3
	v_cmp_ne_u32_e32 vcc, 0, v2
	v_mov_b32_e32 v20, 0
	s_and_saveexec_b64 s[68:69], vcc
	s_cbranch_execz .LBB4_3667
; %bb.3662:                             ;   in Loop: Header=BB4_3455 Depth=3
	v_bfe_u32 v1, v2, 23, 8
	v_sub_u32_e32 v3, 0x79, v1
	v_cmp_gt_u32_e32 vcc, s93, v1
	v_add_u32_e32 v2, 0xffffff81, v1
	v_cndmask_b32_e32 v3, 0, v3, vcc
	v_cmp_eq_u32_e32 vcc, 0, v1
	v_mov_b32_e32 v1, 0xffffff82
	v_cndmask_b32_e32 v1, v2, v1, vcc
	v_mov_b32_e32 v2, 0x78
	v_cndmask_b32_e32 v16, v3, v2, vcc
	v_add_u32_e32 v2, 20, v16
	v_or_b32_e32 v4, 0x800000, v58
	v_lshlrev_b64 v[2:3], v2, -1
	v_cndmask_b32_e32 v58, v4, v58, vcc
	v_not_b32_e32 v2, v2
	v_and_b32_e32 v4, v58, v2
	v_add_u32_e32 v2, 19, v16
	v_lshrrev_b64 v[32:33], v16, v[58:59]
	v_not_b32_e32 v3, v3
	v_lshlrev_b64 v[20:21], v2, 1
	v_lshrrev_b32_e32 v2, 23, v32
	v_and_b32_e32 v5, 0, v3
	v_add3_u32 v16, v16, v1, v2
	v_bfe_u32 v1, v32, 20, 1
	v_add_u32_e32 v1, -1, v1
	v_cmp_eq_u64_e32 vcc, v[4:5], v[20:21]
	v_cndmask_b32_e32 v1, 0, v1, vcc
	v_add_u32_e32 v1, v1, v32
	v_and_b32_e32 v1, 0xfffff, v1
	v_add_co_u32_e32 v4, vcc, v1, v32
	v_add_u32_e32 v3, 6, v16
	v_addc_co_u32_e32 v5, vcc, 0, v33, vcc
	v_cmp_ne_u32_e32 vcc, 0, v3
                                        ; implicit-def: $vgpr2
	s_and_saveexec_b64 s[28:29], vcc
	s_xor_b64 s[28:29], exec, s[28:29]
; %bb.3663:                             ;   in Loop: Header=BB4_3455 Depth=3
	v_add_u32_e32 v1, 7, v16
	v_cmp_lt_u64_e32 vcc, s[58:59], v[4:5]
	v_cndmask_b32_e32 v2, v3, v1, vcc
	v_cndmask_b32_e64 v1, 0, 1, vcc
	v_lshrrev_b64 v[4:5], v1, v[4:5]
; %bb.3664:                             ;   in Loop: Header=BB4_3455 Depth=3
	s_andn2_saveexec_b64 s[28:29], s[28:29]
; %bb.3665:                             ;   in Loop: Header=BB4_3455 Depth=3
	v_bfe_u32 v2, v4, 23, 1
; %bb.3666:                             ;   in Loop: Header=BB4_3455 Depth=3
	s_or_b64 exec, exec, s[28:29]
	v_lshrrev_b64 v[4:5], 20, v[4:5]
	v_cmp_gt_i32_e32 vcc, 16, v2
	v_cndmask_b32_e32 v5, 0, v5, vcc
	v_cndmask_b32_e32 v4, 7, v4, vcc
	v_min_i32_e32 v1, 15, v2
	v_cmp_eq_u32_e32 vcc, 0, v2
	v_cmp_eq_u64_e64 s[28:29], 0, v[4:5]
	v_lshlrev_b32_e32 v1, 3, v1
	v_and_or_b32 v1, v4, 7, v1
	s_and_b64 s[28:29], vcc, s[28:29]
	v_cndmask_b32_e64 v1, v1, 0, s[28:29]
	v_or_b32_e32 v20, v1, v0
.LBB4_3667:                             ;   in Loop: Header=BB4_3455 Depth=3
	s_or_b64 exec, exec, s[68:69]
.LBB4_3668:                             ;   in Loop: Header=BB4_3455 Depth=3
	s_or_b64 exec, exec, s[66:67]
                                        ; implicit-def: $vgpr2
.LBB4_3669:                             ;   in Loop: Header=BB4_3455 Depth=3
	s_andn2_saveexec_b64 s[28:29], s[36:37]
; %bb.3670:                             ;   in Loop: Header=BB4_3455 Depth=3
	v_or_b32_sdwa v0, v2, s92 dst_sel:DWORD dst_unused:UNUSED_PAD src0_sel:BYTE_3 src1_sel:DWORD
	v_cmp_eq_u64_e32 vcc, 0, v[58:59]
	v_cndmask_b32_e32 v20, v0, v20, vcc
; %bb.3671:                             ;   in Loop: Header=BB4_3455 Depth=3
	s_or_b64 exec, exec, s[28:29]
	v_lshrrev_b16_e32 v4, 8, v22
	v_cmp_ne_u16_e32 vcc, 0, v4
	v_mov_b32_e32 v0, 0
	v_mov_b32_e32 v2, 0
	s_and_saveexec_b64 s[28:29], vcc
	s_cbranch_execz .LBB4_3677
; %bb.3672:                             ;   in Loop: Header=BB4_3455 Depth=3
	v_cmp_ne_u16_e32 vcc, s91, v4
	v_bfrev_b32_e32 v2, 1
	s_and_saveexec_b64 s[36:37], vcc
	s_cbranch_execz .LBB4_3676
; %bb.3673:                             ;   in Loop: Header=BB4_3455 Depth=3
	v_and_b32_e32 v1, 0x7f, v4
	v_cmp_ne_u32_e32 vcc, s92, v1
	v_mov_b32_e32 v2, 0x7f800001
	s_and_saveexec_b64 s[66:67], vcc
	s_cbranch_execz .LBB4_3675
; %bb.3674:                             ;   in Loop: Header=BB4_3455 Depth=3
	v_and_b32_e32 v5, 7, v4
	v_ffbh_u32_e32 v2, v5
	v_min_u32_e32 v21, 32, v2
	v_subrev_u32_e32 v2, 28, v21
	v_lshlrev_b64 v[2:3], v2, v[4:5]
	v_lshrrev_b32_e32 v16, 3, v1
	v_sub_u32_e32 v3, 29, v21
	v_and_b32_e32 v2, 7, v2
	v_cmp_gt_u32_e32 vcc, 8, v1
	v_cndmask_b32_e32 v1, v16, v3, vcc
	v_cndmask_b32_e32 v2, v5, v2, vcc
	v_lshlrev_b32_e32 v3, 16, v22
	v_bfrev_b32_e32 v4, 60
	v_lshlrev_b32_e32 v2, 20, v2
	v_and_b32_e32 v3, 0x80000000, v3
	v_lshl_add_u32 v1, v1, 23, v4
	v_or3_b32 v2, v3, v1, v2
.LBB4_3675:                             ;   in Loop: Header=BB4_3455 Depth=3
	s_or_b64 exec, exec, s[66:67]
.LBB4_3676:                             ;   in Loop: Header=BB4_3455 Depth=3
	s_or_b64 exec, exec, s[36:37]
.LBB4_3677:                             ;   in Loop: Header=BB4_3455 Depth=3
	s_or_b64 exec, exec, s[28:29]
	v_lshrrev_b16_e32 v4, 8, v18
	v_cmp_ne_u16_e32 vcc, 0, v4
	s_and_saveexec_b64 s[28:29], vcc
	s_cbranch_execz .LBB4_3683
; %bb.3678:                             ;   in Loop: Header=BB4_3455 Depth=3
	v_cmp_ne_u16_e32 vcc, s91, v4
	v_bfrev_b32_e32 v0, 1
	s_and_saveexec_b64 s[36:37], vcc
	s_cbranch_execz .LBB4_3682
; %bb.3679:                             ;   in Loop: Header=BB4_3455 Depth=3
	v_and_b32_e32 v1, 0x7f, v4
	v_cmp_ne_u32_e32 vcc, s92, v1
	v_mov_b32_e32 v0, 0x7f800001
	s_and_saveexec_b64 s[66:67], vcc
	s_cbranch_execz .LBB4_3681
; %bb.3680:                             ;   in Loop: Header=BB4_3455 Depth=3
	v_and_b32_e32 v0, 7, v4
	v_ffbh_u32_e32 v5, v0
	v_min_u32_e32 v16, 32, v5
	v_subrev_u32_e32 v5, 28, v16
	v_lshlrev_b64 v[4:5], v5, v[4:5]
	v_lshrrev_b32_e32 v3, 3, v1
	v_sub_u32_e32 v5, 29, v16
	v_and_b32_e32 v4, 7, v4
	v_cmp_gt_u32_e32 vcc, 8, v1
	v_cndmask_b32_e32 v1, v3, v5, vcc
	v_cndmask_b32_e32 v0, v0, v4, vcc
	v_lshlrev_b32_e32 v3, 16, v18
	v_bfrev_b32_e32 v4, 60
	v_lshlrev_b32_e32 v0, 20, v0
	v_and_b32_e32 v3, 0x80000000, v3
	v_lshl_add_u32 v1, v1, 23, v4
	v_or3_b32 v0, v3, v1, v0
.LBB4_3681:                             ;   in Loop: Header=BB4_3455 Depth=3
	s_or_b64 exec, exec, s[66:67]
.LBB4_3682:                             ;   in Loop: Header=BB4_3455 Depth=3
	s_or_b64 exec, exec, s[36:37]
.LBB4_3683:                             ;   in Loop: Header=BB4_3455 Depth=3
	s_or_b64 exec, exec, s[28:29]
	v_add_f32_e32 v2, v2, v0
	v_and_b32_sdwa v0, v2, s91 dst_sel:DWORD dst_unused:UNUSED_PAD src0_sel:BYTE_3 src1_sel:DWORD
	v_and_b32_e32 v4, 0x7f800000, v2
	v_mov_b32_e32 v5, v59
	v_and_b32_e32 v58, 0x7fffff, v2
	v_or_b32_e32 v21, 0x7e, v0
	v_cmp_ne_u64_e32 vcc, s[54:55], v[4:5]
	s_and_saveexec_b64 s[28:29], vcc
	s_xor_b64 s[36:37], exec, s[28:29]
	s_cbranch_execz .LBB4_3693
; %bb.3684:                             ;   in Loop: Header=BB4_3455 Depth=3
	v_and_b32_e32 v4, 0x7fffffff, v2
	v_mov_b32_e32 v5, v59
	v_cmp_gt_u64_e32 vcc, s[56:57], v[4:5]
	s_and_saveexec_b64 s[66:67], vcc
	s_cbranch_execz .LBB4_3692
; %bb.3685:                             ;   in Loop: Header=BB4_3455 Depth=3
	v_cmp_ne_u32_e32 vcc, 0, v2
	v_mov_b32_e32 v21, 0
	s_and_saveexec_b64 s[68:69], vcc
	s_cbranch_execz .LBB4_3691
; %bb.3686:                             ;   in Loop: Header=BB4_3455 Depth=3
	v_bfe_u32 v1, v2, 23, 8
	v_sub_u32_e32 v3, 0x79, v1
	v_cmp_gt_u32_e32 vcc, s93, v1
	v_add_u32_e32 v2, 0xffffff81, v1
	v_cndmask_b32_e32 v3, 0, v3, vcc
	v_cmp_eq_u32_e32 vcc, 0, v1
	v_mov_b32_e32 v1, 0xffffff82
	v_cndmask_b32_e32 v1, v2, v1, vcc
	v_mov_b32_e32 v2, 0x78
	v_cndmask_b32_e32 v16, v3, v2, vcc
	v_add_u32_e32 v2, 20, v16
	v_or_b32_e32 v4, 0x800000, v58
	v_lshlrev_b64 v[2:3], v2, -1
	v_cndmask_b32_e32 v58, v4, v58, vcc
	v_not_b32_e32 v2, v2
	v_and_b32_e32 v4, v58, v2
	v_add_u32_e32 v2, 19, v16
	v_lshrrev_b64 v[34:35], v16, v[58:59]
	v_not_b32_e32 v3, v3
	v_lshlrev_b64 v[32:33], v2, 1
	v_lshrrev_b32_e32 v2, 23, v34
	v_and_b32_e32 v5, 0, v3
	v_add3_u32 v16, v16, v1, v2
	v_bfe_u32 v1, v34, 20, 1
	v_add_u32_e32 v1, -1, v1
	v_cmp_eq_u64_e32 vcc, v[4:5], v[32:33]
	v_cndmask_b32_e32 v1, 0, v1, vcc
	v_add_u32_e32 v1, v1, v34
	v_and_b32_e32 v1, 0xfffff, v1
	v_add_co_u32_e32 v4, vcc, v1, v34
	v_add_u32_e32 v3, 6, v16
	v_addc_co_u32_e32 v5, vcc, 0, v35, vcc
	v_cmp_ne_u32_e32 vcc, 0, v3
                                        ; implicit-def: $vgpr2
	s_and_saveexec_b64 s[28:29], vcc
	s_xor_b64 s[28:29], exec, s[28:29]
; %bb.3687:                             ;   in Loop: Header=BB4_3455 Depth=3
	v_add_u32_e32 v1, 7, v16
	v_cmp_lt_u64_e32 vcc, s[58:59], v[4:5]
	v_cndmask_b32_e32 v2, v3, v1, vcc
	v_cndmask_b32_e64 v1, 0, 1, vcc
	v_lshrrev_b64 v[4:5], v1, v[4:5]
; %bb.3688:                             ;   in Loop: Header=BB4_3455 Depth=3
	s_andn2_saveexec_b64 s[28:29], s[28:29]
; %bb.3689:                             ;   in Loop: Header=BB4_3455 Depth=3
	v_bfe_u32 v2, v4, 23, 1
; %bb.3690:                             ;   in Loop: Header=BB4_3455 Depth=3
	s_or_b64 exec, exec, s[28:29]
	v_lshrrev_b64 v[4:5], 20, v[4:5]
	v_cmp_gt_i32_e32 vcc, 16, v2
	v_cndmask_b32_e32 v5, 0, v5, vcc
	v_cndmask_b32_e32 v4, 7, v4, vcc
	v_min_i32_e32 v1, 15, v2
	v_cmp_eq_u32_e32 vcc, 0, v2
	v_cmp_eq_u64_e64 s[28:29], 0, v[4:5]
	v_lshlrev_b32_e32 v1, 3, v1
	v_and_or_b32 v1, v4, 7, v1
	s_and_b64 s[28:29], vcc, s[28:29]
	v_cndmask_b32_e64 v1, v1, 0, s[28:29]
	v_or_b32_e32 v21, v1, v0
.LBB4_3691:                             ;   in Loop: Header=BB4_3455 Depth=3
	s_or_b64 exec, exec, s[68:69]
.LBB4_3692:                             ;   in Loop: Header=BB4_3455 Depth=3
	s_or_b64 exec, exec, s[66:67]
                                        ; implicit-def: $vgpr2
.LBB4_3693:                             ;   in Loop: Header=BB4_3455 Depth=3
	s_andn2_saveexec_b64 s[28:29], s[36:37]
; %bb.3694:                             ;   in Loop: Header=BB4_3455 Depth=3
	v_or_b32_sdwa v0, v2, s92 dst_sel:DWORD dst_unused:UNUSED_PAD src0_sel:BYTE_3 src1_sel:DWORD
	v_cmp_eq_u64_e32 vcc, 0, v[58:59]
	v_cndmask_b32_e32 v21, v0, v21, vcc
; %bb.3695:                             ;   in Loop: Header=BB4_3455 Depth=3
	s_or_b64 exec, exec, s[28:29]
	v_lshrrev_b32_e32 v4, 16, v22
	v_cmp_ne_u16_sdwa vcc, v4, v59 src0_sel:BYTE_0 src1_sel:DWORD
	v_mov_b32_e32 v0, 0
	v_mov_b32_e32 v2, 0
	s_and_saveexec_b64 s[28:29], vcc
	s_cbranch_execz .LBB4_3701
; %bb.3696:                             ;   in Loop: Header=BB4_3455 Depth=3
	v_cmp_ne_u16_sdwa vcc, v4, s91 src0_sel:BYTE_0 src1_sel:DWORD
	v_bfrev_b32_e32 v2, 1
	s_and_saveexec_b64 s[36:37], vcc
	s_cbranch_execz .LBB4_3700
; %bb.3697:                             ;   in Loop: Header=BB4_3455 Depth=3
	v_bfe_u32 v1, v22, 16, 7
	v_cmp_ne_u32_e32 vcc, s92, v1
	v_mov_b32_e32 v2, 0x7f800001
	s_and_saveexec_b64 s[66:67], vcc
	s_cbranch_execz .LBB4_3699
; %bb.3698:                             ;   in Loop: Header=BB4_3455 Depth=3
	v_and_b32_e32 v5, 7, v4
	v_ffbh_u32_e32 v2, v5
	v_min_u32_e32 v31, 32, v2
	v_subrev_u32_e32 v2, 28, v31
	v_lshlrev_b64 v[2:3], v2, v[4:5]
	v_lshrrev_b32_e32 v16, 3, v1
	v_sub_u32_e32 v3, 29, v31
	v_and_b32_e32 v2, 7, v2
	v_cmp_gt_u32_e32 vcc, 8, v1
	v_cndmask_b32_e32 v1, v16, v3, vcc
	v_cndmask_b32_e32 v2, v5, v2, vcc
	v_lshlrev_b32_e32 v3, 24, v4
	v_bfrev_b32_e32 v4, 60
	v_lshlrev_b32_e32 v2, 20, v2
	v_and_b32_e32 v3, 0x80000000, v3
	v_lshl_add_u32 v1, v1, 23, v4
	v_or3_b32 v2, v3, v1, v2
.LBB4_3699:                             ;   in Loop: Header=BB4_3455 Depth=3
	s_or_b64 exec, exec, s[66:67]
.LBB4_3700:                             ;   in Loop: Header=BB4_3455 Depth=3
	s_or_b64 exec, exec, s[36:37]
.LBB4_3701:                             ;   in Loop: Header=BB4_3455 Depth=3
	s_or_b64 exec, exec, s[28:29]
	v_lshrrev_b32_e32 v4, 16, v18
	v_cmp_ne_u16_sdwa vcc, v4, v59 src0_sel:BYTE_0 src1_sel:DWORD
	s_and_saveexec_b64 s[28:29], vcc
	s_cbranch_execz .LBB4_3707
; %bb.3702:                             ;   in Loop: Header=BB4_3455 Depth=3
	v_cmp_ne_u16_sdwa vcc, v4, s91 src0_sel:BYTE_0 src1_sel:DWORD
	v_bfrev_b32_e32 v0, 1
	s_and_saveexec_b64 s[36:37], vcc
	s_cbranch_execz .LBB4_3706
; %bb.3703:                             ;   in Loop: Header=BB4_3455 Depth=3
	v_bfe_u32 v1, v18, 16, 7
	v_cmp_ne_u32_e32 vcc, s92, v1
	v_mov_b32_e32 v0, 0x7f800001
	s_and_saveexec_b64 s[66:67], vcc
	s_cbranch_execz .LBB4_3705
; %bb.3704:                             ;   in Loop: Header=BB4_3455 Depth=3
	v_and_b32_e32 v0, 7, v4
	v_ffbh_u32_e32 v5, v0
	v_min_u32_e32 v16, 32, v5
	v_subrev_u32_e32 v5, 28, v16
	v_lshlrev_b64 v[4:5], v5, v[4:5]
	v_lshrrev_b32_e32 v3, 3, v1
	v_sub_u32_e32 v5, 29, v16
	v_and_b32_e32 v4, 7, v4
	v_cmp_gt_u32_e32 vcc, 8, v1
	v_cndmask_b32_e32 v1, v3, v5, vcc
	v_cndmask_b32_e32 v0, v0, v4, vcc
	v_lshlrev_b32_e32 v3, 8, v18
	v_bfrev_b32_e32 v4, 60
	v_lshlrev_b32_e32 v0, 20, v0
	v_and_b32_e32 v3, 0x80000000, v3
	v_lshl_add_u32 v1, v1, 23, v4
	v_or3_b32 v0, v3, v1, v0
.LBB4_3705:                             ;   in Loop: Header=BB4_3455 Depth=3
	s_or_b64 exec, exec, s[66:67]
.LBB4_3706:                             ;   in Loop: Header=BB4_3455 Depth=3
	s_or_b64 exec, exec, s[36:37]
.LBB4_3707:                             ;   in Loop: Header=BB4_3455 Depth=3
	s_or_b64 exec, exec, s[28:29]
	v_add_f32_e32 v2, v2, v0
	v_and_b32_sdwa v0, v2, s91 dst_sel:DWORD dst_unused:UNUSED_PAD src0_sel:BYTE_3 src1_sel:DWORD
	v_and_b32_e32 v4, 0x7f800000, v2
	v_mov_b32_e32 v5, v59
	v_and_b32_e32 v58, 0x7fffff, v2
	v_or_b32_e32 v39, 0x7e, v0
	v_cmp_ne_u64_e32 vcc, s[54:55], v[4:5]
	s_and_saveexec_b64 s[28:29], vcc
	s_xor_b64 s[36:37], exec, s[28:29]
	s_cbranch_execz .LBB4_3717
; %bb.3708:                             ;   in Loop: Header=BB4_3455 Depth=3
	v_and_b32_e32 v4, 0x7fffffff, v2
	v_mov_b32_e32 v5, v59
	v_cmp_gt_u64_e32 vcc, s[56:57], v[4:5]
	s_and_saveexec_b64 s[66:67], vcc
	s_cbranch_execz .LBB4_3716
; %bb.3709:                             ;   in Loop: Header=BB4_3455 Depth=3
	v_cmp_ne_u32_e32 vcc, 0, v2
	v_mov_b32_e32 v39, 0
	s_and_saveexec_b64 s[68:69], vcc
	s_cbranch_execz .LBB4_3715
; %bb.3710:                             ;   in Loop: Header=BB4_3455 Depth=3
	v_bfe_u32 v1, v2, 23, 8
	v_sub_u32_e32 v3, 0x79, v1
	v_cmp_gt_u32_e32 vcc, s93, v1
	v_add_u32_e32 v2, 0xffffff81, v1
	v_cndmask_b32_e32 v3, 0, v3, vcc
	v_cmp_eq_u32_e32 vcc, 0, v1
	v_mov_b32_e32 v1, 0xffffff82
	v_cndmask_b32_e32 v1, v2, v1, vcc
	v_mov_b32_e32 v2, 0x78
	v_cndmask_b32_e32 v16, v3, v2, vcc
	v_add_u32_e32 v2, 20, v16
	v_or_b32_e32 v4, 0x800000, v58
	v_lshlrev_b64 v[2:3], v2, -1
	v_cndmask_b32_e32 v58, v4, v58, vcc
	v_not_b32_e32 v2, v2
	v_and_b32_e32 v4, v58, v2
	v_add_u32_e32 v2, 19, v16
	v_lshrrev_b64 v[34:35], v16, v[58:59]
	v_not_b32_e32 v3, v3
	v_lshlrev_b64 v[32:33], v2, 1
	v_lshrrev_b32_e32 v2, 23, v34
	v_and_b32_e32 v5, 0, v3
	v_add3_u32 v16, v16, v1, v2
	v_bfe_u32 v1, v34, 20, 1
	v_add_u32_e32 v1, -1, v1
	v_cmp_eq_u64_e32 vcc, v[4:5], v[32:33]
	v_cndmask_b32_e32 v1, 0, v1, vcc
	v_add_u32_e32 v1, v1, v34
	v_and_b32_e32 v1, 0xfffff, v1
	v_add_co_u32_e32 v4, vcc, v1, v34
	v_add_u32_e32 v3, 6, v16
	v_addc_co_u32_e32 v5, vcc, 0, v35, vcc
	v_cmp_ne_u32_e32 vcc, 0, v3
                                        ; implicit-def: $vgpr2
	s_and_saveexec_b64 s[28:29], vcc
	s_xor_b64 s[28:29], exec, s[28:29]
; %bb.3711:                             ;   in Loop: Header=BB4_3455 Depth=3
	v_add_u32_e32 v1, 7, v16
	v_cmp_lt_u64_e32 vcc, s[58:59], v[4:5]
	v_cndmask_b32_e32 v2, v3, v1, vcc
	v_cndmask_b32_e64 v1, 0, 1, vcc
	v_lshrrev_b64 v[4:5], v1, v[4:5]
; %bb.3712:                             ;   in Loop: Header=BB4_3455 Depth=3
	s_andn2_saveexec_b64 s[28:29], s[28:29]
; %bb.3713:                             ;   in Loop: Header=BB4_3455 Depth=3
	v_bfe_u32 v2, v4, 23, 1
; %bb.3714:                             ;   in Loop: Header=BB4_3455 Depth=3
	s_or_b64 exec, exec, s[28:29]
	v_lshrrev_b64 v[4:5], 20, v[4:5]
	v_cmp_gt_i32_e32 vcc, 16, v2
	v_cndmask_b32_e32 v5, 0, v5, vcc
	v_cndmask_b32_e32 v4, 7, v4, vcc
	v_min_i32_e32 v1, 15, v2
	v_cmp_eq_u32_e32 vcc, 0, v2
	v_cmp_eq_u64_e64 s[28:29], 0, v[4:5]
	v_lshlrev_b32_e32 v1, 3, v1
	v_and_or_b32 v1, v4, 7, v1
	s_and_b64 s[28:29], vcc, s[28:29]
	v_cndmask_b32_e64 v1, v1, 0, s[28:29]
	v_or_b32_e32 v39, v1, v0
.LBB4_3715:                             ;   in Loop: Header=BB4_3455 Depth=3
	s_or_b64 exec, exec, s[68:69]
.LBB4_3716:                             ;   in Loop: Header=BB4_3455 Depth=3
	s_or_b64 exec, exec, s[66:67]
                                        ; implicit-def: $vgpr2
.LBB4_3717:                             ;   in Loop: Header=BB4_3455 Depth=3
	s_andn2_saveexec_b64 s[28:29], s[36:37]
; %bb.3718:                             ;   in Loop: Header=BB4_3455 Depth=3
	v_or_b32_sdwa v0, v2, s92 dst_sel:DWORD dst_unused:UNUSED_PAD src0_sel:BYTE_3 src1_sel:DWORD
	v_cmp_eq_u64_e32 vcc, 0, v[58:59]
	v_cndmask_b32_e32 v39, v0, v39, vcc
; %bb.3719:                             ;   in Loop: Header=BB4_3455 Depth=3
	s_or_b64 exec, exec, s[28:29]
	v_cmp_lt_u32_e32 vcc, s45, v22
	v_mov_b32_e32 v0, 0
	v_mov_b32_e32 v2, 0
	s_and_saveexec_b64 s[28:29], vcc
	s_cbranch_execz .LBB4_3725
; %bb.3720:                             ;   in Loop: Header=BB4_3455 Depth=3
	v_lshrrev_b32_e32 v4, 24, v22
	v_cmp_ne_u32_e32 vcc, s91, v4
	v_bfrev_b32_e32 v2, 1
	s_and_saveexec_b64 s[36:37], vcc
	s_cbranch_execz .LBB4_3724
; %bb.3721:                             ;   in Loop: Header=BB4_3455 Depth=3
	v_bfe_u32 v1, v22, 24, 7
	v_cmp_ne_u32_e32 vcc, s92, v1
	v_mov_b32_e32 v2, 0x7f800001
	s_and_saveexec_b64 s[66:67], vcc
	s_cbranch_execz .LBB4_3723
; %bb.3722:                             ;   in Loop: Header=BB4_3455 Depth=3
	v_and_b32_e32 v5, 7, v4
	v_ffbh_u32_e32 v2, v5
	v_min_u32_e32 v31, 32, v2
	v_subrev_u32_e32 v2, 28, v31
	v_lshlrev_b64 v[2:3], v2, v[4:5]
	v_lshrrev_b32_e32 v16, 3, v1
	v_sub_u32_e32 v3, 29, v31
	v_and_b32_e32 v2, 7, v2
	v_cmp_gt_u32_e32 vcc, 8, v1
	v_cndmask_b32_e32 v1, v16, v3, vcc
	v_cndmask_b32_e32 v2, v5, v2, vcc
	v_lshlrev_b32_e32 v3, 24, v4
	v_bfrev_b32_e32 v4, 60
	v_lshlrev_b32_e32 v2, 20, v2
	v_and_b32_e32 v3, 0x80000000, v3
	v_lshl_add_u32 v1, v1, 23, v4
	v_or3_b32 v2, v3, v1, v2
.LBB4_3723:                             ;   in Loop: Header=BB4_3455 Depth=3
	s_or_b64 exec, exec, s[66:67]
.LBB4_3724:                             ;   in Loop: Header=BB4_3455 Depth=3
	s_or_b64 exec, exec, s[36:37]
.LBB4_3725:                             ;   in Loop: Header=BB4_3455 Depth=3
	s_or_b64 exec, exec, s[28:29]
	v_cmp_lt_u32_e32 vcc, s45, v18
	s_and_saveexec_b64 s[28:29], vcc
	s_cbranch_execz .LBB4_3731
; %bb.3726:                             ;   in Loop: Header=BB4_3455 Depth=3
	v_lshrrev_b32_e32 v4, 24, v18
	v_cmp_ne_u32_e32 vcc, s91, v4
	v_bfrev_b32_e32 v0, 1
	s_and_saveexec_b64 s[36:37], vcc
	s_cbranch_execz .LBB4_3730
; %bb.3727:                             ;   in Loop: Header=BB4_3455 Depth=3
	v_bfe_u32 v1, v18, 24, 7
	v_cmp_ne_u32_e32 vcc, s92, v1
	v_mov_b32_e32 v0, 0x7f800001
	s_and_saveexec_b64 s[66:67], vcc
	s_cbranch_execz .LBB4_3729
; %bb.3728:                             ;   in Loop: Header=BB4_3455 Depth=3
	v_and_b32_e32 v0, 7, v4
	v_ffbh_u32_e32 v5, v0
	v_min_u32_e32 v5, 32, v5
	v_subrev_u32_e32 v16, 28, v5
	v_lshlrev_b64 v[32:33], v16, v[4:5]
	v_lshrrev_b32_e32 v3, 3, v1
	v_sub_u32_e32 v5, 29, v5
	v_and_b32_e32 v16, 7, v32
	v_cmp_gt_u32_e32 vcc, 8, v1
	v_cndmask_b32_e32 v1, v3, v5, vcc
	v_cndmask_b32_e32 v0, v0, v16, vcc
	v_lshlrev_b32_e32 v3, 24, v4
	v_bfrev_b32_e32 v4, 60
	v_lshlrev_b32_e32 v0, 20, v0
	v_and_b32_e32 v3, 0x80000000, v3
	v_lshl_add_u32 v1, v1, 23, v4
	v_or3_b32 v0, v3, v1, v0
.LBB4_3729:                             ;   in Loop: Header=BB4_3455 Depth=3
	s_or_b64 exec, exec, s[66:67]
.LBB4_3730:                             ;   in Loop: Header=BB4_3455 Depth=3
	s_or_b64 exec, exec, s[36:37]
.LBB4_3731:                             ;   in Loop: Header=BB4_3455 Depth=3
	s_or_b64 exec, exec, s[28:29]
	v_add_f32_e32 v2, v2, v0
	v_and_b32_sdwa v0, v2, s91 dst_sel:DWORD dst_unused:UNUSED_PAD src0_sel:BYTE_3 src1_sel:DWORD
	v_and_b32_e32 v4, 0x7f800000, v2
	v_mov_b32_e32 v5, v59
	v_and_b32_e32 v58, 0x7fffff, v2
	v_or_b32_e32 v52, 0x7e, v0
	v_cmp_ne_u64_e32 vcc, s[54:55], v[4:5]
	s_and_saveexec_b64 s[28:29], vcc
	s_xor_b64 s[36:37], exec, s[28:29]
	s_cbranch_execz .LBB4_3741
; %bb.3732:                             ;   in Loop: Header=BB4_3455 Depth=3
	v_and_b32_e32 v4, 0x7fffffff, v2
	v_mov_b32_e32 v5, v59
	v_cmp_gt_u64_e32 vcc, s[56:57], v[4:5]
	s_and_saveexec_b64 s[66:67], vcc
	s_cbranch_execz .LBB4_3740
; %bb.3733:                             ;   in Loop: Header=BB4_3455 Depth=3
	v_cmp_ne_u32_e32 vcc, 0, v2
	v_mov_b32_e32 v52, 0
	s_and_saveexec_b64 s[68:69], vcc
	s_cbranch_execz .LBB4_3739
; %bb.3734:                             ;   in Loop: Header=BB4_3455 Depth=3
	v_bfe_u32 v1, v2, 23, 8
	v_sub_u32_e32 v3, 0x79, v1
	v_cmp_gt_u32_e32 vcc, s93, v1
	v_add_u32_e32 v2, 0xffffff81, v1
	v_cndmask_b32_e32 v3, 0, v3, vcc
	v_cmp_eq_u32_e32 vcc, 0, v1
	v_mov_b32_e32 v1, 0xffffff82
	v_cndmask_b32_e32 v1, v2, v1, vcc
	v_mov_b32_e32 v2, 0x78
	v_cndmask_b32_e32 v16, v3, v2, vcc
	v_add_u32_e32 v2, 20, v16
	v_or_b32_e32 v4, 0x800000, v58
	v_lshlrev_b64 v[2:3], v2, -1
	v_cndmask_b32_e32 v58, v4, v58, vcc
	v_not_b32_e32 v2, v2
	v_and_b32_e32 v4, v58, v2
	v_add_u32_e32 v2, 19, v16
	v_lshrrev_b64 v[34:35], v16, v[58:59]
	v_not_b32_e32 v3, v3
	v_lshlrev_b64 v[32:33], v2, 1
	v_lshrrev_b32_e32 v2, 23, v34
	v_and_b32_e32 v5, 0, v3
	v_add3_u32 v16, v16, v1, v2
	v_bfe_u32 v1, v34, 20, 1
	v_add_u32_e32 v1, -1, v1
	v_cmp_eq_u64_e32 vcc, v[4:5], v[32:33]
	v_cndmask_b32_e32 v1, 0, v1, vcc
	v_add_u32_e32 v1, v1, v34
	v_and_b32_e32 v1, 0xfffff, v1
	v_add_co_u32_e32 v4, vcc, v1, v34
	v_add_u32_e32 v3, 6, v16
	v_addc_co_u32_e32 v5, vcc, 0, v35, vcc
	v_cmp_ne_u32_e32 vcc, 0, v3
                                        ; implicit-def: $vgpr2
	s_and_saveexec_b64 s[28:29], vcc
	s_xor_b64 s[28:29], exec, s[28:29]
; %bb.3735:                             ;   in Loop: Header=BB4_3455 Depth=3
	v_add_u32_e32 v1, 7, v16
	v_cmp_lt_u64_e32 vcc, s[58:59], v[4:5]
	v_cndmask_b32_e32 v2, v3, v1, vcc
	v_cndmask_b32_e64 v1, 0, 1, vcc
	v_lshrrev_b64 v[4:5], v1, v[4:5]
; %bb.3736:                             ;   in Loop: Header=BB4_3455 Depth=3
	s_andn2_saveexec_b64 s[28:29], s[28:29]
; %bb.3737:                             ;   in Loop: Header=BB4_3455 Depth=3
	v_bfe_u32 v2, v4, 23, 1
; %bb.3738:                             ;   in Loop: Header=BB4_3455 Depth=3
	s_or_b64 exec, exec, s[28:29]
	v_lshrrev_b64 v[4:5], 20, v[4:5]
	v_cmp_gt_i32_e32 vcc, 16, v2
	v_cndmask_b32_e32 v5, 0, v5, vcc
	v_cndmask_b32_e32 v4, 7, v4, vcc
	v_min_i32_e32 v1, 15, v2
	v_cmp_eq_u32_e32 vcc, 0, v2
	v_cmp_eq_u64_e64 s[28:29], 0, v[4:5]
	v_lshlrev_b32_e32 v1, 3, v1
	v_and_or_b32 v1, v4, 7, v1
	s_and_b64 s[28:29], vcc, s[28:29]
	v_cndmask_b32_e64 v1, v1, 0, s[28:29]
	v_or_b32_e32 v52, v1, v0
.LBB4_3739:                             ;   in Loop: Header=BB4_3455 Depth=3
	s_or_b64 exec, exec, s[68:69]
.LBB4_3740:                             ;   in Loop: Header=BB4_3455 Depth=3
	s_or_b64 exec, exec, s[66:67]
                                        ; implicit-def: $vgpr2
.LBB4_3741:                             ;   in Loop: Header=BB4_3455 Depth=3
	s_andn2_saveexec_b64 s[28:29], s[36:37]
; %bb.3742:                             ;   in Loop: Header=BB4_3455 Depth=3
	v_or_b32_sdwa v0, v2, s92 dst_sel:DWORD dst_unused:UNUSED_PAD src0_sel:BYTE_3 src1_sel:DWORD
	v_cmp_eq_u64_e32 vcc, 0, v[58:59]
	v_cndmask_b32_e32 v52, v0, v52, vcc
; %bb.3743:                             ;   in Loop: Header=BB4_3455 Depth=3
	s_or_b64 exec, exec, s[28:29]
	v_mov_b32_e32 v58, v23
	v_cmp_ne_u16_sdwa vcc, v23, v59 src0_sel:BYTE_0 src1_sel:DWORD
	v_mov_b32_e32 v2, 0
	v_mov_b32_e32 v0, 0
	s_and_saveexec_b64 s[28:29], vcc
	s_cbranch_execz .LBB4_3749
; %bb.3744:                             ;   in Loop: Header=BB4_3455 Depth=3
	v_cmp_ne_u16_sdwa vcc, v23, s91 src0_sel:BYTE_0 src1_sel:DWORD
	v_bfrev_b32_e32 v0, 1
	s_and_saveexec_b64 s[36:37], vcc
	s_cbranch_execz .LBB4_3748
; %bb.3745:                             ;   in Loop: Header=BB4_3455 Depth=3
	v_and_b32_e32 v1, 0x7f, v23
	v_cmp_ne_u32_e32 vcc, s92, v1
	v_mov_b32_e32 v0, 0x7f800001
	s_and_saveexec_b64 s[66:67], vcc
	s_cbranch_execz .LBB4_3747
; %bb.3746:                             ;   in Loop: Header=BB4_3455 Depth=3
	v_and_b32_e32 v0, 7, v23
	v_ffbh_u32_e32 v0, v0
	v_min_u32_e32 v0, 32, v0
	v_lshrrev_b32_e32 v3, 3, v1
	v_subrev_u32_e32 v4, 28, v0
	v_sub_u32_e32 v0, 29, v0
	v_cmp_gt_u32_e32 vcc, 8, v1
	v_cndmask_b32_e32 v3, v3, v0, vcc
	v_cndmask_b32_e32 v0, 0, v4, vcc
	v_lshlrev_b64 v[0:1], v0, v[58:59]
	v_lshlrev_b32_e32 v0, 20, v0
	v_lshlrev_b32_e32 v1, 24, v58
	v_bfrev_b32_e32 v4, 60
	v_and_b32_e32 v0, 0x700000, v0
	v_and_b32_e32 v1, 0x80000000, v1
	v_lshl_add_u32 v3, v3, 23, v4
	v_or3_b32 v0, v1, v3, v0
.LBB4_3747:                             ;   in Loop: Header=BB4_3455 Depth=3
	s_or_b64 exec, exec, s[66:67]
.LBB4_3748:                             ;   in Loop: Header=BB4_3455 Depth=3
	s_or_b64 exec, exec, s[36:37]
.LBB4_3749:                             ;   in Loop: Header=BB4_3455 Depth=3
	s_or_b64 exec, exec, s[28:29]
	v_cmp_ne_u16_sdwa vcc, v19, v59 src0_sel:BYTE_0 src1_sel:DWORD
	s_and_saveexec_b64 s[28:29], vcc
	s_cbranch_execz .LBB4_3755
; %bb.3750:                             ;   in Loop: Header=BB4_3455 Depth=3
	v_cmp_ne_u16_sdwa vcc, v19, s91 src0_sel:BYTE_0 src1_sel:DWORD
	v_bfrev_b32_e32 v2, 1
	s_and_saveexec_b64 s[36:37], vcc
	s_cbranch_execz .LBB4_3754
; %bb.3751:                             ;   in Loop: Header=BB4_3455 Depth=3
	v_and_b32_e32 v1, 0x7f, v19
	v_cmp_ne_u32_e32 vcc, s92, v1
	v_mov_b32_e32 v2, 0x7f800001
	s_and_saveexec_b64 s[66:67], vcc
	s_cbranch_execz .LBB4_3753
; %bb.3752:                             ;   in Loop: Header=BB4_3455 Depth=3
	v_and_b32_e32 v4, 7, v19
	v_ffbh_u32_e32 v4, v4
	v_min_u32_e32 v4, 32, v4
	v_lshrrev_b32_e32 v5, 3, v1
	v_subrev_u32_e32 v16, 28, v4
	v_sub_u32_e32 v4, 29, v4
	v_cmp_gt_u32_e32 vcc, 8, v1
	v_mov_b32_e32 v2, v19
	v_mov_b32_e32 v3, v59
	v_cndmask_b32_e32 v1, v5, v4, vcc
	v_cndmask_b32_e32 v4, 0, v16, vcc
	v_lshlrev_b64 v[4:5], v4, v[2:3]
	v_lshlrev_b32_e32 v3, 20, v4
	v_lshlrev_b32_e32 v2, 24, v2
	v_bfrev_b32_e32 v4, 60
	v_and_b32_e32 v3, 0x700000, v3
	v_and_b32_e32 v2, 0x80000000, v2
	v_lshl_add_u32 v1, v1, 23, v4
	v_or3_b32 v2, v2, v1, v3
.LBB4_3753:                             ;   in Loop: Header=BB4_3455 Depth=3
	s_or_b64 exec, exec, s[66:67]
.LBB4_3754:                             ;   in Loop: Header=BB4_3455 Depth=3
	s_or_b64 exec, exec, s[36:37]
.LBB4_3755:                             ;   in Loop: Header=BB4_3455 Depth=3
	s_or_b64 exec, exec, s[28:29]
	v_add_f32_e32 v2, v0, v2
	v_and_b32_sdwa v0, v2, s91 dst_sel:DWORD dst_unused:UNUSED_PAD src0_sel:BYTE_3 src1_sel:DWORD
	v_and_b32_e32 v32, 0x7f800000, v2
	v_mov_b32_e32 v33, v59
	v_and_b32_e32 v4, 0x7fffff, v2
	v_mov_b32_e32 v5, v59
	v_or_b32_e32 v43, 0x7e, v0
	v_cmp_ne_u64_e32 vcc, s[54:55], v[32:33]
	s_and_saveexec_b64 s[28:29], vcc
	s_xor_b64 s[36:37], exec, s[28:29]
	s_cbranch_execz .LBB4_3765
; %bb.3756:                             ;   in Loop: Header=BB4_3455 Depth=3
	v_and_b32_e32 v32, 0x7fffffff, v2
	v_mov_b32_e32 v33, v59
	v_cmp_gt_u64_e32 vcc, s[56:57], v[32:33]
	s_and_saveexec_b64 s[66:67], vcc
	s_cbranch_execz .LBB4_3764
; %bb.3757:                             ;   in Loop: Header=BB4_3455 Depth=3
	v_cmp_ne_u32_e32 vcc, 0, v2
	v_mov_b32_e32 v43, 0
	s_and_saveexec_b64 s[68:69], vcc
	s_cbranch_execz .LBB4_3763
; %bb.3758:                             ;   in Loop: Header=BB4_3455 Depth=3
	v_bfe_u32 v1, v2, 23, 8
	v_sub_u32_e32 v3, 0x79, v1
	v_cmp_gt_u32_e32 vcc, s93, v1
	v_add_u32_e32 v2, 0xffffff81, v1
	v_cndmask_b32_e32 v3, 0, v3, vcc
	v_cmp_eq_u32_e32 vcc, 0, v1
	v_mov_b32_e32 v1, 0xffffff82
	v_cndmask_b32_e32 v1, v2, v1, vcc
	v_mov_b32_e32 v2, 0x78
	v_cndmask_b32_e32 v31, v3, v2, vcc
	v_add_u32_e32 v2, 20, v31
	v_or_b32_e32 v16, 0x800000, v4
	v_lshlrev_b64 v[2:3], v2, -1
	v_cndmask_b32_e32 v4, v16, v4, vcc
	v_not_b32_e32 v2, v2
	v_and_b32_e32 v32, v4, v2
	v_add_u32_e32 v2, 19, v31
	v_lshrrev_b64 v[4:5], v31, v[4:5]
	v_not_b32_e32 v3, v3
	v_lshlrev_b64 v[34:35], v2, 1
	v_lshrrev_b32_e32 v2, 23, v4
	v_and_b32_e32 v33, 0, v3
	v_add3_u32 v16, v31, v1, v2
	v_bfe_u32 v1, v4, 20, 1
	v_add_u32_e32 v1, -1, v1
	v_cmp_eq_u64_e32 vcc, v[32:33], v[34:35]
	v_cndmask_b32_e32 v1, 0, v1, vcc
	v_add_u32_e32 v1, v1, v4
	v_and_b32_e32 v1, 0xfffff, v1
	v_add_co_u32_e32 v4, vcc, v1, v4
	v_add_u32_e32 v3, 6, v16
	v_addc_co_u32_e32 v5, vcc, 0, v5, vcc
	v_cmp_ne_u32_e32 vcc, 0, v3
                                        ; implicit-def: $vgpr2
	s_and_saveexec_b64 s[28:29], vcc
	s_xor_b64 s[28:29], exec, s[28:29]
; %bb.3759:                             ;   in Loop: Header=BB4_3455 Depth=3
	v_add_u32_e32 v1, 7, v16
	v_cmp_lt_u64_e32 vcc, s[58:59], v[4:5]
	v_cndmask_b32_e32 v2, v3, v1, vcc
	v_cndmask_b32_e64 v1, 0, 1, vcc
	v_lshrrev_b64 v[4:5], v1, v[4:5]
; %bb.3760:                             ;   in Loop: Header=BB4_3455 Depth=3
	s_andn2_saveexec_b64 s[28:29], s[28:29]
; %bb.3761:                             ;   in Loop: Header=BB4_3455 Depth=3
	v_bfe_u32 v2, v4, 23, 1
; %bb.3762:                             ;   in Loop: Header=BB4_3455 Depth=3
	s_or_b64 exec, exec, s[28:29]
	v_lshrrev_b64 v[4:5], 20, v[4:5]
	v_cmp_gt_i32_e32 vcc, 16, v2
	v_cndmask_b32_e32 v5, 0, v5, vcc
	v_cndmask_b32_e32 v4, 7, v4, vcc
	v_min_i32_e32 v1, 15, v2
	v_cmp_eq_u32_e32 vcc, 0, v2
	v_cmp_eq_u64_e64 s[28:29], 0, v[4:5]
	v_lshlrev_b32_e32 v1, 3, v1
	v_and_or_b32 v1, v4, 7, v1
	s_and_b64 s[28:29], vcc, s[28:29]
	v_cndmask_b32_e64 v1, v1, 0, s[28:29]
	v_or_b32_e32 v43, v1, v0
.LBB4_3763:                             ;   in Loop: Header=BB4_3455 Depth=3
	s_or_b64 exec, exec, s[68:69]
.LBB4_3764:                             ;   in Loop: Header=BB4_3455 Depth=3
	s_or_b64 exec, exec, s[66:67]
                                        ; implicit-def: $vgpr2
                                        ; implicit-def: $vgpr4_vgpr5
.LBB4_3765:                             ;   in Loop: Header=BB4_3455 Depth=3
	s_andn2_saveexec_b64 s[28:29], s[36:37]
; %bb.3766:                             ;   in Loop: Header=BB4_3455 Depth=3
	v_or_b32_sdwa v0, v2, s92 dst_sel:DWORD dst_unused:UNUSED_PAD src0_sel:BYTE_3 src1_sel:DWORD
	v_cmp_eq_u64_e32 vcc, 0, v[4:5]
	v_cndmask_b32_e32 v43, v0, v43, vcc
; %bb.3767:                             ;   in Loop: Header=BB4_3455 Depth=3
	s_or_b64 exec, exec, s[28:29]
	v_lshrrev_b16_e32 v4, 8, v58
	v_cmp_ne_u16_e32 vcc, 0, v4
	v_mov_b32_e32 v0, 0
	v_mov_b32_e32 v2, 0
	s_and_saveexec_b64 s[28:29], vcc
	s_cbranch_execz .LBB4_3773
; %bb.3768:                             ;   in Loop: Header=BB4_3455 Depth=3
	v_cmp_ne_u16_e32 vcc, s91, v4
	v_bfrev_b32_e32 v2, 1
	s_and_saveexec_b64 s[36:37], vcc
	s_cbranch_execz .LBB4_3772
; %bb.3769:                             ;   in Loop: Header=BB4_3455 Depth=3
	v_and_b32_e32 v1, 0x7f, v4
	v_cmp_ne_u32_e32 vcc, s92, v1
	v_mov_b32_e32 v2, 0x7f800001
	s_and_saveexec_b64 s[66:67], vcc
	s_cbranch_execz .LBB4_3771
; %bb.3770:                             ;   in Loop: Header=BB4_3455 Depth=3
	v_and_b32_e32 v5, 7, v4
	v_ffbh_u32_e32 v2, v5
	v_min_u32_e32 v31, 32, v2
	v_subrev_u32_e32 v2, 28, v31
	v_lshlrev_b64 v[2:3], v2, v[4:5]
	v_lshrrev_b32_e32 v16, 3, v1
	v_sub_u32_e32 v3, 29, v31
	v_and_b32_e32 v2, 7, v2
	v_cmp_gt_u32_e32 vcc, 8, v1
	v_cndmask_b32_e32 v1, v16, v3, vcc
	v_cndmask_b32_e32 v2, v5, v2, vcc
	v_lshlrev_b32_e32 v3, 16, v58
	v_bfrev_b32_e32 v4, 60
	v_lshlrev_b32_e32 v2, 20, v2
	v_and_b32_e32 v3, 0x80000000, v3
	v_lshl_add_u32 v1, v1, 23, v4
	v_or3_b32 v2, v3, v1, v2
.LBB4_3771:                             ;   in Loop: Header=BB4_3455 Depth=3
	s_or_b64 exec, exec, s[66:67]
.LBB4_3772:                             ;   in Loop: Header=BB4_3455 Depth=3
	s_or_b64 exec, exec, s[36:37]
.LBB4_3773:                             ;   in Loop: Header=BB4_3455 Depth=3
	s_or_b64 exec, exec, s[28:29]
	v_mov_b32_e32 v4, v19
	v_lshrrev_b16_e32 v16, 8, v4
	v_cmp_ne_u16_e32 vcc, 0, v16
	s_and_saveexec_b64 s[28:29], vcc
	s_cbranch_execz .LBB4_3779
; %bb.3774:                             ;   in Loop: Header=BB4_3455 Depth=3
	v_cmp_ne_u16_e32 vcc, s91, v16
	v_bfrev_b32_e32 v0, 1
	s_and_saveexec_b64 s[36:37], vcc
	s_cbranch_execz .LBB4_3778
; %bb.3775:                             ;   in Loop: Header=BB4_3455 Depth=3
	v_and_b32_e32 v1, 0x7f, v16
	v_cmp_ne_u32_e32 vcc, s92, v1
	v_mov_b32_e32 v0, 0x7f800001
	s_and_saveexec_b64 s[66:67], vcc
	s_cbranch_execz .LBB4_3777
; %bb.3776:                             ;   in Loop: Header=BB4_3455 Depth=3
	v_and_b32_e32 v0, 7, v16
	v_ffbh_u32_e32 v5, v0
	v_min_u32_e32 v5, 32, v5
	v_subrev_u32_e32 v31, 28, v5
	v_lshlrev_b64 v[32:33], v31, v[16:17]
	v_lshrrev_b32_e32 v3, 3, v1
	v_sub_u32_e32 v5, 29, v5
	v_and_b32_e32 v16, 7, v32
	v_cmp_gt_u32_e32 vcc, 8, v1
	v_cndmask_b32_e32 v1, v3, v5, vcc
	v_cndmask_b32_e32 v0, v0, v16, vcc
	v_lshlrev_b32_e32 v3, 16, v4
	v_bfrev_b32_e32 v4, 60
	v_lshlrev_b32_e32 v0, 20, v0
	v_and_b32_e32 v3, 0x80000000, v3
	v_lshl_add_u32 v1, v1, 23, v4
	v_or3_b32 v0, v3, v1, v0
.LBB4_3777:                             ;   in Loop: Header=BB4_3455 Depth=3
	s_or_b64 exec, exec, s[66:67]
.LBB4_3778:                             ;   in Loop: Header=BB4_3455 Depth=3
	s_or_b64 exec, exec, s[36:37]
.LBB4_3779:                             ;   in Loop: Header=BB4_3455 Depth=3
	s_or_b64 exec, exec, s[28:29]
	v_add_f32_e32 v2, v2, v0
	v_and_b32_sdwa v0, v2, s91 dst_sel:DWORD dst_unused:UNUSED_PAD src0_sel:BYTE_3 src1_sel:DWORD
	v_and_b32_e32 v4, 0x7f800000, v2
	v_mov_b32_e32 v5, v59
	v_and_b32_e32 v58, 0x7fffff, v2
	v_or_b32_e32 v3, 0x7e, v0
	v_cmp_ne_u64_e32 vcc, s[54:55], v[4:5]
	s_and_saveexec_b64 s[28:29], vcc
	s_xor_b64 s[36:37], exec, s[28:29]
	s_cbranch_execz .LBB4_3789
; %bb.3780:                             ;   in Loop: Header=BB4_3455 Depth=3
	v_and_b32_e32 v4, 0x7fffffff, v2
	v_mov_b32_e32 v5, v59
	v_cmp_gt_u64_e32 vcc, s[56:57], v[4:5]
	s_and_saveexec_b64 s[66:67], vcc
	s_cbranch_execz .LBB4_3788
; %bb.3781:                             ;   in Loop: Header=BB4_3455 Depth=3
	v_cmp_ne_u32_e32 vcc, 0, v2
	v_mov_b32_e32 v3, 0
	s_and_saveexec_b64 s[68:69], vcc
	s_cbranch_execz .LBB4_3787
; %bb.3782:                             ;   in Loop: Header=BB4_3455 Depth=3
	v_bfe_u32 v1, v2, 23, 8
	v_sub_u32_e32 v3, 0x79, v1
	v_cmp_gt_u32_e32 vcc, s93, v1
	v_add_u32_e32 v2, 0xffffff81, v1
	v_cndmask_b32_e32 v3, 0, v3, vcc
	v_cmp_eq_u32_e32 vcc, 0, v1
	v_mov_b32_e32 v1, 0xffffff82
	v_cndmask_b32_e32 v1, v2, v1, vcc
	v_mov_b32_e32 v2, 0x78
	v_cndmask_b32_e32 v16, v3, v2, vcc
	v_add_u32_e32 v2, 20, v16
	v_or_b32_e32 v4, 0x800000, v58
	v_lshlrev_b64 v[2:3], v2, -1
	v_cndmask_b32_e32 v58, v4, v58, vcc
	v_not_b32_e32 v2, v2
	v_and_b32_e32 v4, v58, v2
	v_add_u32_e32 v2, 19, v16
	v_lshrrev_b64 v[34:35], v16, v[58:59]
	v_not_b32_e32 v3, v3
	v_lshlrev_b64 v[32:33], v2, 1
	v_lshrrev_b32_e32 v2, 23, v34
	v_and_b32_e32 v5, 0, v3
	v_add3_u32 v16, v16, v1, v2
	v_bfe_u32 v1, v34, 20, 1
	v_add_u32_e32 v1, -1, v1
	v_cmp_eq_u64_e32 vcc, v[4:5], v[32:33]
	v_cndmask_b32_e32 v1, 0, v1, vcc
	v_add_u32_e32 v1, v1, v34
	v_and_b32_e32 v1, 0xfffff, v1
	v_add_co_u32_e32 v4, vcc, v1, v34
	v_add_u32_e32 v3, 6, v16
	v_addc_co_u32_e32 v5, vcc, 0, v35, vcc
	v_cmp_ne_u32_e32 vcc, 0, v3
                                        ; implicit-def: $vgpr2
	s_and_saveexec_b64 s[28:29], vcc
	s_xor_b64 s[28:29], exec, s[28:29]
; %bb.3783:                             ;   in Loop: Header=BB4_3455 Depth=3
	v_add_u32_e32 v1, 7, v16
	v_cmp_lt_u64_e32 vcc, s[58:59], v[4:5]
	v_cndmask_b32_e32 v2, v3, v1, vcc
	v_cndmask_b32_e64 v1, 0, 1, vcc
	v_lshrrev_b64 v[4:5], v1, v[4:5]
; %bb.3784:                             ;   in Loop: Header=BB4_3455 Depth=3
	s_andn2_saveexec_b64 s[28:29], s[28:29]
; %bb.3785:                             ;   in Loop: Header=BB4_3455 Depth=3
	v_bfe_u32 v2, v4, 23, 1
; %bb.3786:                             ;   in Loop: Header=BB4_3455 Depth=3
	s_or_b64 exec, exec, s[28:29]
	v_lshrrev_b64 v[4:5], 20, v[4:5]
	v_cmp_gt_i32_e32 vcc, 16, v2
	v_cndmask_b32_e32 v5, 0, v5, vcc
	v_cndmask_b32_e32 v4, 7, v4, vcc
	v_min_i32_e32 v1, 15, v2
	v_cmp_eq_u32_e32 vcc, 0, v2
	v_cmp_eq_u64_e64 s[28:29], 0, v[4:5]
	v_lshlrev_b32_e32 v1, 3, v1
	v_and_or_b32 v1, v4, 7, v1
	s_and_b64 s[28:29], vcc, s[28:29]
	v_cndmask_b32_e64 v1, v1, 0, s[28:29]
	v_or_b32_e32 v3, v1, v0
.LBB4_3787:                             ;   in Loop: Header=BB4_3455 Depth=3
	s_or_b64 exec, exec, s[68:69]
.LBB4_3788:                             ;   in Loop: Header=BB4_3455 Depth=3
	s_or_b64 exec, exec, s[66:67]
                                        ; implicit-def: $vgpr2
.LBB4_3789:                             ;   in Loop: Header=BB4_3455 Depth=3
	s_andn2_saveexec_b64 s[28:29], s[36:37]
; %bb.3790:                             ;   in Loop: Header=BB4_3455 Depth=3
	v_or_b32_sdwa v0, v2, s92 dst_sel:DWORD dst_unused:UNUSED_PAD src0_sel:BYTE_3 src1_sel:DWORD
	v_cmp_eq_u64_e32 vcc, 0, v[58:59]
	v_cndmask_b32_e32 v3, v0, v3, vcc
; %bb.3791:                             ;   in Loop: Header=BB4_3455 Depth=3
	s_or_b64 exec, exec, s[28:29]
	v_lshrrev_b32_e32 v4, 16, v23
	v_cmp_ne_u16_sdwa vcc, v4, v59 src0_sel:BYTE_0 src1_sel:DWORD
	v_mov_b32_e32 v0, 0
	v_mov_b32_e32 v2, 0
	s_and_saveexec_b64 s[28:29], vcc
	s_cbranch_execz .LBB4_3797
; %bb.3792:                             ;   in Loop: Header=BB4_3455 Depth=3
	v_cmp_ne_u16_sdwa vcc, v4, s91 src0_sel:BYTE_0 src1_sel:DWORD
	v_bfrev_b32_e32 v2, 1
	s_and_saveexec_b64 s[36:37], vcc
	s_cbranch_execz .LBB4_3796
; %bb.3793:                             ;   in Loop: Header=BB4_3455 Depth=3
	v_bfe_u32 v1, v23, 16, 7
	v_cmp_ne_u32_e32 vcc, s92, v1
	v_mov_b32_e32 v2, 0x7f800001
	s_and_saveexec_b64 s[66:67], vcc
	s_cbranch_execz .LBB4_3795
; %bb.3794:                             ;   in Loop: Header=BB4_3455 Depth=3
	v_and_b32_e32 v2, 7, v4
	v_ffbh_u32_e32 v16, v2
	v_min_u32_e32 v16, 32, v16
	v_lshrrev_b32_e32 v5, 3, v1
	v_subrev_u32_e32 v31, 28, v16
	v_lshlrev_b64 v[32:33], v31, v[4:5]
	v_sub_u32_e32 v16, 29, v16
	v_and_b32_e32 v31, 7, v32
	v_cmp_gt_u32_e32 vcc, 8, v1
	v_cndmask_b32_e32 v1, v5, v16, vcc
	v_cndmask_b32_e32 v2, v2, v31, vcc
	v_lshlrev_b32_e32 v4, 24, v4
	v_bfrev_b32_e32 v5, 60
	v_lshlrev_b32_e32 v2, 20, v2
	v_and_b32_e32 v4, 0x80000000, v4
	v_lshl_add_u32 v1, v1, 23, v5
	v_or3_b32 v2, v4, v1, v2
.LBB4_3795:                             ;   in Loop: Header=BB4_3455 Depth=3
	s_or_b64 exec, exec, s[66:67]
.LBB4_3796:                             ;   in Loop: Header=BB4_3455 Depth=3
	s_or_b64 exec, exec, s[36:37]
.LBB4_3797:                             ;   in Loop: Header=BB4_3455 Depth=3
	s_or_b64 exec, exec, s[28:29]
	v_lshrrev_b32_e32 v4, 16, v19
	v_cmp_ne_u16_sdwa vcc, v4, v59 src0_sel:BYTE_0 src1_sel:DWORD
	s_and_saveexec_b64 s[28:29], vcc
	s_cbranch_execz .LBB4_3803
; %bb.3798:                             ;   in Loop: Header=BB4_3455 Depth=3
	v_cmp_ne_u16_sdwa vcc, v4, s91 src0_sel:BYTE_0 src1_sel:DWORD
	v_bfrev_b32_e32 v0, 1
	s_and_saveexec_b64 s[36:37], vcc
	s_cbranch_execz .LBB4_3802
; %bb.3799:                             ;   in Loop: Header=BB4_3455 Depth=3
	v_bfe_u32 v1, v19, 16, 7
	v_cmp_ne_u32_e32 vcc, s92, v1
	v_mov_b32_e32 v0, 0x7f800001
	s_and_saveexec_b64 s[66:67], vcc
	s_cbranch_execz .LBB4_3801
; %bb.3800:                             ;   in Loop: Header=BB4_3455 Depth=3
	v_and_b32_e32 v0, 7, v4
	v_ffbh_u32_e32 v5, v0
	v_min_u32_e32 v31, 32, v5
	v_subrev_u32_e32 v5, 28, v31
	v_lshlrev_b64 v[4:5], v5, v[4:5]
	v_lshrrev_b32_e32 v16, 3, v1
	v_sub_u32_e32 v5, 29, v31
	v_and_b32_e32 v4, 7, v4
	v_cmp_gt_u32_e32 vcc, 8, v1
	v_cndmask_b32_e32 v1, v16, v5, vcc
	v_cndmask_b32_e32 v0, v0, v4, vcc
	v_lshlrev_b32_e32 v4, 8, v19
	v_bfrev_b32_e32 v5, 60
	v_lshlrev_b32_e32 v0, 20, v0
	v_and_b32_e32 v4, 0x80000000, v4
	v_lshl_add_u32 v1, v1, 23, v5
	v_or3_b32 v0, v4, v1, v0
.LBB4_3801:                             ;   in Loop: Header=BB4_3455 Depth=3
	s_or_b64 exec, exec, s[66:67]
.LBB4_3802:                             ;   in Loop: Header=BB4_3455 Depth=3
	s_or_b64 exec, exec, s[36:37]
.LBB4_3803:                             ;   in Loop: Header=BB4_3455 Depth=3
	s_or_b64 exec, exec, s[28:29]
	v_add_f32_e32 v2, v2, v0
	v_and_b32_sdwa v0, v2, s91 dst_sel:DWORD dst_unused:UNUSED_PAD src0_sel:BYTE_3 src1_sel:DWORD
	v_and_b32_e32 v4, 0x7f800000, v2
	v_mov_b32_e32 v5, v59
	v_and_b32_e32 v58, 0x7fffff, v2
	v_or_b32_e32 v53, 0x7e, v0
	v_cmp_ne_u64_e32 vcc, s[54:55], v[4:5]
	s_and_saveexec_b64 s[28:29], vcc
	s_xor_b64 s[36:37], exec, s[28:29]
	s_cbranch_execz .LBB4_3813
; %bb.3804:                             ;   in Loop: Header=BB4_3455 Depth=3
	v_and_b32_e32 v4, 0x7fffffff, v2
	v_mov_b32_e32 v5, v59
	v_cmp_gt_u64_e32 vcc, s[56:57], v[4:5]
	s_and_saveexec_b64 s[66:67], vcc
	s_cbranch_execz .LBB4_3812
; %bb.3805:                             ;   in Loop: Header=BB4_3455 Depth=3
	v_cmp_ne_u32_e32 vcc, 0, v2
	v_mov_b32_e32 v53, 0
	s_and_saveexec_b64 s[68:69], vcc
	s_cbranch_execz .LBB4_3811
; %bb.3806:                             ;   in Loop: Header=BB4_3455 Depth=3
	v_bfe_u32 v1, v2, 23, 8
	v_sub_u32_e32 v4, 0x79, v1
	v_cmp_gt_u32_e32 vcc, s93, v1
	v_add_u32_e32 v2, 0xffffff81, v1
	v_cndmask_b32_e32 v4, 0, v4, vcc
	v_cmp_eq_u32_e32 vcc, 0, v1
	v_mov_b32_e32 v1, 0xffffff82
	v_cndmask_b32_e32 v1, v2, v1, vcc
	v_mov_b32_e32 v2, 0x78
	v_or_b32_e32 v5, 0x800000, v58
	v_cndmask_b32_e32 v2, v4, v2, vcc
	v_cndmask_b32_e32 v58, v5, v58, vcc
	v_add_u32_e32 v4, 20, v2
	v_lshlrev_b64 v[4:5], v4, -1
	v_add_u32_e32 v16, 19, v2
	v_lshrrev_b64 v[34:35], v2, v[58:59]
	v_not_b32_e32 v5, v5
	v_not_b32_e32 v4, v4
	v_lshlrev_b64 v[32:33], v16, 1
	v_lshrrev_b32_e32 v16, 23, v34
	v_and_b32_e32 v5, 0, v5
	v_and_b32_e32 v4, v58, v4
	v_add3_u32 v31, v2, v1, v16
	v_bfe_u32 v1, v34, 20, 1
	v_add_u32_e32 v1, -1, v1
	v_cmp_eq_u64_e32 vcc, v[4:5], v[32:33]
	v_cndmask_b32_e32 v1, 0, v1, vcc
	v_add_u32_e32 v1, v1, v34
	v_and_b32_e32 v1, 0xfffff, v1
	v_add_co_u32_e32 v4, vcc, v1, v34
	v_add_u32_e32 v16, 6, v31
	v_addc_co_u32_e32 v5, vcc, 0, v35, vcc
	v_cmp_ne_u32_e32 vcc, 0, v16
                                        ; implicit-def: $vgpr2
	s_and_saveexec_b64 s[28:29], vcc
	s_xor_b64 s[28:29], exec, s[28:29]
; %bb.3807:                             ;   in Loop: Header=BB4_3455 Depth=3
	v_add_u32_e32 v1, 7, v31
	v_cmp_lt_u64_e32 vcc, s[58:59], v[4:5]
	v_cndmask_b32_e32 v2, v16, v1, vcc
	v_cndmask_b32_e64 v1, 0, 1, vcc
	v_lshrrev_b64 v[4:5], v1, v[4:5]
; %bb.3808:                             ;   in Loop: Header=BB4_3455 Depth=3
	s_andn2_saveexec_b64 s[28:29], s[28:29]
; %bb.3809:                             ;   in Loop: Header=BB4_3455 Depth=3
	v_bfe_u32 v2, v4, 23, 1
; %bb.3810:                             ;   in Loop: Header=BB4_3455 Depth=3
	s_or_b64 exec, exec, s[28:29]
	v_lshrrev_b64 v[4:5], 20, v[4:5]
	v_cmp_gt_i32_e32 vcc, 16, v2
	v_min_i32_e32 v1, 15, v2
	v_cndmask_b32_e32 v5, 0, v5, vcc
	v_cndmask_b32_e32 v4, 7, v4, vcc
	v_lshlrev_b32_e32 v1, 3, v1
	v_cmp_eq_u32_e32 vcc, 0, v2
	v_cmp_eq_u64_e64 s[28:29], 0, v[4:5]
	v_and_b32_e32 v1, 0xf8, v1
	v_and_or_b32 v1, v4, 7, v1
	s_and_b64 s[28:29], vcc, s[28:29]
	v_cndmask_b32_e64 v1, v1, 0, s[28:29]
	v_or_b32_e32 v53, v1, v0
.LBB4_3811:                             ;   in Loop: Header=BB4_3455 Depth=3
	s_or_b64 exec, exec, s[68:69]
.LBB4_3812:                             ;   in Loop: Header=BB4_3455 Depth=3
	s_or_b64 exec, exec, s[66:67]
                                        ; implicit-def: $vgpr2
.LBB4_3813:                             ;   in Loop: Header=BB4_3455 Depth=3
	s_andn2_saveexec_b64 s[28:29], s[36:37]
; %bb.3814:                             ;   in Loop: Header=BB4_3455 Depth=3
	v_or_b32_sdwa v0, v2, s92 dst_sel:DWORD dst_unused:UNUSED_PAD src0_sel:BYTE_3 src1_sel:DWORD
	v_cmp_eq_u64_e32 vcc, 0, v[58:59]
	v_cndmask_b32_e32 v53, v0, v53, vcc
; %bb.3815:                             ;   in Loop: Header=BB4_3455 Depth=3
	s_or_b64 exec, exec, s[28:29]
	v_cmp_lt_u64_e32 vcc, s[44:45], v[22:23]
	v_mov_b32_e32 v0, 0
	v_mov_b32_e32 v2, 0
	s_and_saveexec_b64 s[28:29], vcc
	s_cbranch_execz .LBB4_3821
; %bb.3816:                             ;   in Loop: Header=BB4_3455 Depth=3
	v_lshrrev_b32_e32 v4, 24, v23
	v_cmp_ne_u32_e32 vcc, s91, v4
	v_bfrev_b32_e32 v2, 1
	s_and_saveexec_b64 s[36:37], vcc
	s_cbranch_execz .LBB4_3820
; %bb.3817:                             ;   in Loop: Header=BB4_3455 Depth=3
	v_bfe_u32 v1, v23, 24, 7
	v_cmp_ne_u32_e32 vcc, s92, v1
	v_mov_b32_e32 v2, 0x7f800001
	s_and_saveexec_b64 s[66:67], vcc
	s_cbranch_execz .LBB4_3819
; %bb.3818:                             ;   in Loop: Header=BB4_3455 Depth=3
	v_and_b32_e32 v2, 7, v4
	v_ffbh_u32_e32 v16, v2
	v_min_u32_e32 v16, 32, v16
	v_lshrrev_b32_e32 v5, 3, v1
	v_subrev_u32_e32 v22, 28, v16
	v_lshlrev_b64 v[22:23], v22, v[4:5]
	v_sub_u32_e32 v16, 29, v16
	v_and_b32_e32 v22, 7, v22
	v_cmp_gt_u32_e32 vcc, 8, v1
	v_cndmask_b32_e32 v1, v5, v16, vcc
	v_cndmask_b32_e32 v2, v2, v22, vcc
	v_lshlrev_b32_e32 v4, 24, v4
	v_bfrev_b32_e32 v5, 60
	v_lshlrev_b32_e32 v2, 20, v2
	v_and_b32_e32 v4, 0x80000000, v4
	v_lshl_add_u32 v1, v1, 23, v5
	v_or3_b32 v2, v4, v1, v2
.LBB4_3819:                             ;   in Loop: Header=BB4_3455 Depth=3
	s_or_b64 exec, exec, s[66:67]
.LBB4_3820:                             ;   in Loop: Header=BB4_3455 Depth=3
	s_or_b64 exec, exec, s[36:37]
.LBB4_3821:                             ;   in Loop: Header=BB4_3455 Depth=3
	s_or_b64 exec, exec, s[28:29]
	v_cmp_lt_u64_e32 vcc, s[44:45], v[18:19]
	s_and_saveexec_b64 s[28:29], vcc
	s_cbranch_execz .LBB4_3827
; %bb.3822:                             ;   in Loop: Header=BB4_3455 Depth=3
	v_lshrrev_b32_e32 v4, 24, v19
	v_cmp_ne_u32_e32 vcc, s91, v4
	v_bfrev_b32_e32 v0, 1
	s_and_saveexec_b64 s[36:37], vcc
	s_cbranch_execz .LBB4_3826
; %bb.3823:                             ;   in Loop: Header=BB4_3455 Depth=3
	v_bfe_u32 v1, v19, 24, 7
	v_cmp_ne_u32_e32 vcc, s92, v1
	v_mov_b32_e32 v0, 0x7f800001
	s_and_saveexec_b64 s[66:67], vcc
	s_cbranch_execz .LBB4_3825
; %bb.3824:                             ;   in Loop: Header=BB4_3455 Depth=3
	v_and_b32_e32 v0, 7, v4
	v_ffbh_u32_e32 v16, v0
	v_min_u32_e32 v16, 32, v16
	v_lshrrev_b32_e32 v5, 3, v1
	v_subrev_u32_e32 v18, 28, v16
	v_lshlrev_b64 v[18:19], v18, v[4:5]
	v_sub_u32_e32 v16, 29, v16
	v_and_b32_e32 v18, 7, v18
	v_cmp_gt_u32_e32 vcc, 8, v1
	v_cndmask_b32_e32 v1, v5, v16, vcc
	v_cndmask_b32_e32 v0, v0, v18, vcc
	v_lshlrev_b32_e32 v4, 24, v4
	v_bfrev_b32_e32 v5, 60
	v_lshlrev_b32_e32 v0, 20, v0
	v_and_b32_e32 v4, 0x80000000, v4
	v_lshl_add_u32 v1, v1, 23, v5
	v_or3_b32 v0, v4, v1, v0
.LBB4_3825:                             ;   in Loop: Header=BB4_3455 Depth=3
	s_or_b64 exec, exec, s[66:67]
.LBB4_3826:                             ;   in Loop: Header=BB4_3455 Depth=3
	s_or_b64 exec, exec, s[36:37]
.LBB4_3827:                             ;   in Loop: Header=BB4_3455 Depth=3
	s_or_b64 exec, exec, s[28:29]
	v_add_f32_e32 v4, v2, v0
	v_and_b32_sdwa v0, v4, s91 dst_sel:DWORD dst_unused:UNUSED_PAD src0_sel:BYTE_3 src1_sel:DWORD
	v_and_b32_e32 v18, 0x7f800000, v4
	v_mov_b32_e32 v19, v59
	v_and_b32_e32 v58, 0x7fffff, v4
	v_or_b32_e32 v2, 0x7e, v0
	v_cmp_ne_u64_e32 vcc, s[54:55], v[18:19]
	s_and_saveexec_b64 s[28:29], vcc
	s_xor_b64 s[36:37], exec, s[28:29]
	s_cbranch_execz .LBB4_3837
; %bb.3828:                             ;   in Loop: Header=BB4_3455 Depth=3
	v_and_b32_e32 v18, 0x7fffffff, v4
	v_mov_b32_e32 v19, v59
	v_cmp_gt_u64_e32 vcc, s[56:57], v[18:19]
	s_and_saveexec_b64 s[66:67], vcc
	s_cbranch_execz .LBB4_3836
; %bb.3829:                             ;   in Loop: Header=BB4_3455 Depth=3
	v_cmp_ne_u32_e32 vcc, 0, v4
	v_mov_b32_e32 v2, 0
	s_and_saveexec_b64 s[68:69], vcc
	s_cbranch_execz .LBB4_3835
; %bb.3830:                             ;   in Loop: Header=BB4_3455 Depth=3
	v_bfe_u32 v1, v4, 23, 8
	v_sub_u32_e32 v4, 0x79, v1
	v_cmp_gt_u32_e32 vcc, s93, v1
	v_add_u32_e32 v2, 0xffffff81, v1
	v_cndmask_b32_e32 v4, 0, v4, vcc
	v_cmp_eq_u32_e32 vcc, 0, v1
	v_mov_b32_e32 v1, 0xffffff82
	v_cndmask_b32_e32 v1, v2, v1, vcc
	v_mov_b32_e32 v2, 0x78
	v_or_b32_e32 v5, 0x800000, v58
	v_cndmask_b32_e32 v2, v4, v2, vcc
	v_cndmask_b32_e32 v58, v5, v58, vcc
	v_add_u32_e32 v4, 20, v2
	v_lshlrev_b64 v[4:5], v4, -1
	v_add_u32_e32 v16, 19, v2
	v_lshrrev_b64 v[32:33], v2, v[58:59]
	v_not_b32_e32 v5, v5
	v_not_b32_e32 v4, v4
	v_lshlrev_b64 v[22:23], v16, 1
	v_lshrrev_b32_e32 v16, 23, v32
	v_and_b32_e32 v5, 0, v5
	v_and_b32_e32 v4, v58, v4
	v_add3_u32 v18, v2, v1, v16
	v_bfe_u32 v1, v32, 20, 1
	v_add_u32_e32 v1, -1, v1
	v_cmp_eq_u64_e32 vcc, v[4:5], v[22:23]
	v_cndmask_b32_e32 v1, 0, v1, vcc
	v_add_u32_e32 v1, v1, v32
	v_and_b32_e32 v1, 0xfffff, v1
	v_add_co_u32_e32 v4, vcc, v1, v32
	v_add_u32_e32 v16, 6, v18
	v_addc_co_u32_e32 v5, vcc, 0, v33, vcc
	v_cmp_ne_u32_e32 vcc, 0, v16
                                        ; implicit-def: $vgpr2
	s_and_saveexec_b64 s[28:29], vcc
	s_xor_b64 s[28:29], exec, s[28:29]
; %bb.3831:                             ;   in Loop: Header=BB4_3455 Depth=3
	v_add_u32_e32 v1, 7, v18
	v_cmp_lt_u64_e32 vcc, s[58:59], v[4:5]
	v_cndmask_b32_e32 v2, v16, v1, vcc
	v_cndmask_b32_e64 v1, 0, 1, vcc
	v_lshrrev_b64 v[4:5], v1, v[4:5]
; %bb.3832:                             ;   in Loop: Header=BB4_3455 Depth=3
	s_andn2_saveexec_b64 s[28:29], s[28:29]
; %bb.3833:                             ;   in Loop: Header=BB4_3455 Depth=3
	v_bfe_u32 v2, v4, 23, 1
; %bb.3834:                             ;   in Loop: Header=BB4_3455 Depth=3
	s_or_b64 exec, exec, s[28:29]
	v_lshrrev_b64 v[4:5], 20, v[4:5]
	v_cmp_gt_i32_e32 vcc, 16, v2
	v_min_i32_e32 v1, 15, v2
	v_cndmask_b32_e32 v5, 0, v5, vcc
	v_cndmask_b32_e32 v4, 7, v4, vcc
	v_lshlrev_b32_e32 v1, 3, v1
	v_cmp_eq_u32_e32 vcc, 0, v2
	v_cmp_eq_u64_e64 s[28:29], 0, v[4:5]
	v_and_b32_e32 v1, 0xf8, v1
	v_and_or_b32 v1, v4, 7, v1
	s_and_b64 s[28:29], vcc, s[28:29]
	v_cndmask_b32_e64 v1, v1, 0, s[28:29]
	v_or_b32_e32 v2, v1, v0
.LBB4_3835:                             ;   in Loop: Header=BB4_3455 Depth=3
	s_or_b64 exec, exec, s[68:69]
.LBB4_3836:                             ;   in Loop: Header=BB4_3455 Depth=3
	s_or_b64 exec, exec, s[66:67]
                                        ; implicit-def: $vgpr4
.LBB4_3837:                             ;   in Loop: Header=BB4_3455 Depth=3
	s_andn2_saveexec_b64 s[28:29], s[36:37]
; %bb.3838:                             ;   in Loop: Header=BB4_3455 Depth=3
	v_or_b32_sdwa v0, v4, s92 dst_sel:DWORD dst_unused:UNUSED_PAD src0_sel:BYTE_3 src1_sel:DWORD
	v_cmp_eq_u64_e32 vcc, 0, v[58:59]
	v_cndmask_b32_e32 v2, v0, v2, vcc
; %bb.3839:                             ;   in Loop: Header=BB4_3455 Depth=3
	s_or_b64 exec, exec, s[28:29]
	v_cmp_ne_u16_sdwa vcc, v12, v59 src0_sel:BYTE_0 src1_sel:DWORD
	v_mov_b32_e32 v0, 0
	v_mov_b32_e32 v4, 0
	s_and_saveexec_b64 s[28:29], vcc
	s_cbranch_execz .LBB4_3845
; %bb.3840:                             ;   in Loop: Header=BB4_3455 Depth=3
	v_cmp_ne_u16_sdwa vcc, v12, s91 src0_sel:BYTE_0 src1_sel:DWORD
	v_bfrev_b32_e32 v4, 1
	s_and_saveexec_b64 s[36:37], vcc
	s_cbranch_execz .LBB4_3844
; %bb.3841:                             ;   in Loop: Header=BB4_3455 Depth=3
	v_and_b32_e32 v1, 0x7f, v12
	v_cmp_ne_u32_e32 vcc, s92, v1
	v_mov_b32_e32 v4, 0x7f800001
	s_and_saveexec_b64 s[66:67], vcc
	s_cbranch_execz .LBB4_3843
; %bb.3842:                             ;   in Loop: Header=BB4_3455 Depth=3
	v_and_b32_e32 v4, 7, v12
	v_ffbh_u32_e32 v4, v4
	v_min_u32_e32 v4, 32, v4
	v_lshrrev_b32_e32 v5, 3, v1
	v_subrev_u32_e32 v16, 28, v4
	v_sub_u32_e32 v4, 29, v4
	v_cmp_gt_u32_e32 vcc, 8, v1
	v_cndmask_b32_e32 v1, v5, v4, vcc
	v_cndmask_b32_e32 v4, 0, v16, vcc
	v_lshlrev_b64 v[4:5], v4, v[12:13]
	v_lshlrev_b32_e32 v4, 20, v4
	v_lshlrev_b32_e32 v5, 24, v12
	v_bfrev_b32_e32 v16, 60
	v_and_b32_e32 v4, 0x700000, v4
	v_and_b32_e32 v5, 0x80000000, v5
	v_lshl_add_u32 v1, v1, 23, v16
	v_or3_b32 v4, v5, v1, v4
.LBB4_3843:                             ;   in Loop: Header=BB4_3455 Depth=3
	s_or_b64 exec, exec, s[66:67]
.LBB4_3844:                             ;   in Loop: Header=BB4_3455 Depth=3
	s_or_b64 exec, exec, s[36:37]
.LBB4_3845:                             ;   in Loop: Header=BB4_3455 Depth=3
	s_or_b64 exec, exec, s[28:29]
	s_waitcnt vmcnt(0)
	v_cmp_ne_u16_sdwa vcc, v8, v59 src0_sel:BYTE_0 src1_sel:DWORD
	s_and_saveexec_b64 s[28:29], vcc
	s_cbranch_execz .LBB4_3851
; %bb.3846:                             ;   in Loop: Header=BB4_3455 Depth=3
	v_cmp_ne_u16_sdwa vcc, v8, s91 src0_sel:BYTE_0 src1_sel:DWORD
	v_bfrev_b32_e32 v0, 1
	s_and_saveexec_b64 s[36:37], vcc
	s_cbranch_execz .LBB4_3850
; %bb.3847:                             ;   in Loop: Header=BB4_3455 Depth=3
	v_and_b32_e32 v1, 0x7f, v8
	v_cmp_ne_u32_e32 vcc, s92, v1
	v_mov_b32_e32 v0, 0x7f800001
	s_and_saveexec_b64 s[66:67], vcc
	s_cbranch_execz .LBB4_3849
; %bb.3848:                             ;   in Loop: Header=BB4_3455 Depth=3
	v_and_b32_e32 v0, 7, v8
	v_ffbh_u32_e32 v0, v0
	v_min_u32_e32 v0, 32, v0
	v_lshrrev_b32_e32 v5, 3, v1
	v_subrev_u32_e32 v16, 28, v0
	v_sub_u32_e32 v0, 29, v0
	v_cmp_gt_u32_e32 vcc, 8, v1
	v_cndmask_b32_e32 v5, v5, v0, vcc
	v_cndmask_b32_e32 v0, 0, v16, vcc
	v_lshlrev_b64 v[0:1], v0, v[8:9]
	v_lshlrev_b32_e32 v0, 20, v0
	v_lshlrev_b32_e32 v1, 24, v8
	v_bfrev_b32_e32 v16, 60
	v_and_b32_e32 v0, 0x700000, v0
	v_and_b32_e32 v1, 0x80000000, v1
	v_lshl_add_u32 v5, v5, 23, v16
	v_or3_b32 v0, v1, v5, v0
.LBB4_3849:                             ;   in Loop: Header=BB4_3455 Depth=3
	s_or_b64 exec, exec, s[66:67]
.LBB4_3850:                             ;   in Loop: Header=BB4_3455 Depth=3
	s_or_b64 exec, exec, s[36:37]
.LBB4_3851:                             ;   in Loop: Header=BB4_3455 Depth=3
	s_or_b64 exec, exec, s[28:29]
	v_add_f32_e32 v4, v4, v0
	v_and_b32_sdwa v0, v4, s91 dst_sel:DWORD dst_unused:UNUSED_PAD src0_sel:BYTE_3 src1_sel:DWORD
	v_and_b32_e32 v22, 0x7f800000, v4
	v_mov_b32_e32 v23, v59
	v_and_b32_e32 v58, 0x7fffff, v4
	v_or_b32_e32 v18, 0x7e, v0
	v_cmp_ne_u64_e32 vcc, s[54:55], v[22:23]
	s_and_saveexec_b64 s[28:29], vcc
	s_xor_b64 s[36:37], exec, s[28:29]
	s_cbranch_execz .LBB4_3861
; %bb.3852:                             ;   in Loop: Header=BB4_3455 Depth=3
	v_and_b32_e32 v22, 0x7fffffff, v4
	v_mov_b32_e32 v23, v59
	v_cmp_gt_u64_e32 vcc, s[56:57], v[22:23]
	s_and_saveexec_b64 s[66:67], vcc
	s_cbranch_execz .LBB4_3860
; %bb.3853:                             ;   in Loop: Header=BB4_3455 Depth=3
	v_cmp_ne_u32_e32 vcc, 0, v4
	v_mov_b32_e32 v18, 0
	s_and_saveexec_b64 s[68:69], vcc
	s_cbranch_execz .LBB4_3859
; %bb.3854:                             ;   in Loop: Header=BB4_3455 Depth=3
	v_bfe_u32 v1, v4, 23, 8
	v_sub_u32_e32 v5, 0x79, v1
	v_cmp_gt_u32_e32 vcc, s93, v1
	v_add_u32_e32 v4, 0xffffff81, v1
	v_cndmask_b32_e32 v5, 0, v5, vcc
	v_cmp_eq_u32_e32 vcc, 0, v1
	v_mov_b32_e32 v1, 0xffffff82
	v_cndmask_b32_e32 v1, v4, v1, vcc
	v_mov_b32_e32 v4, 0x78
	v_or_b32_e32 v16, 0x800000, v58
	v_cndmask_b32_e32 v18, v5, v4, vcc
	v_cndmask_b32_e32 v58, v16, v58, vcc
	v_add_u32_e32 v4, 20, v18
	v_lshlrev_b64 v[4:5], v4, -1
	v_add_u32_e32 v16, 19, v18
	v_lshrrev_b64 v[32:33], v18, v[58:59]
	v_not_b32_e32 v5, v5
	v_not_b32_e32 v4, v4
	v_lshlrev_b64 v[22:23], v16, 1
	v_lshrrev_b32_e32 v16, 23, v32
	v_and_b32_e32 v5, 0, v5
	v_and_b32_e32 v4, v58, v4
	v_add3_u32 v19, v18, v1, v16
	v_bfe_u32 v1, v32, 20, 1
	v_add_u32_e32 v1, -1, v1
	v_cmp_eq_u64_e32 vcc, v[4:5], v[22:23]
	v_cndmask_b32_e32 v1, 0, v1, vcc
	v_add_u32_e32 v1, v1, v32
	v_and_b32_e32 v1, 0xfffff, v1
	v_add_co_u32_e32 v4, vcc, v1, v32
	v_add_u32_e32 v18, 6, v19
	v_addc_co_u32_e32 v5, vcc, 0, v33, vcc
	v_cmp_ne_u32_e32 vcc, 0, v18
                                        ; implicit-def: $vgpr16
	s_and_saveexec_b64 s[28:29], vcc
	s_xor_b64 s[28:29], exec, s[28:29]
; %bb.3855:                             ;   in Loop: Header=BB4_3455 Depth=3
	v_add_u32_e32 v1, 7, v19
	v_cmp_lt_u64_e32 vcc, s[58:59], v[4:5]
	v_cndmask_b32_e32 v16, v18, v1, vcc
	v_cndmask_b32_e64 v1, 0, 1, vcc
	v_lshrrev_b64 v[4:5], v1, v[4:5]
; %bb.3856:                             ;   in Loop: Header=BB4_3455 Depth=3
	s_andn2_saveexec_b64 s[28:29], s[28:29]
; %bb.3857:                             ;   in Loop: Header=BB4_3455 Depth=3
	v_bfe_u32 v16, v4, 23, 1
; %bb.3858:                             ;   in Loop: Header=BB4_3455 Depth=3
	s_or_b64 exec, exec, s[28:29]
	v_lshrrev_b64 v[4:5], 20, v[4:5]
	v_cmp_gt_i32_e32 vcc, 16, v16
	v_cndmask_b32_e32 v5, 0, v5, vcc
	v_cndmask_b32_e32 v4, 7, v4, vcc
	v_min_i32_e32 v1, 15, v16
	v_cmp_eq_u32_e32 vcc, 0, v16
	v_cmp_eq_u64_e64 s[28:29], 0, v[4:5]
	v_lshlrev_b32_e32 v1, 3, v1
	v_and_or_b32 v1, v4, 7, v1
	s_and_b64 s[28:29], vcc, s[28:29]
	v_cndmask_b32_e64 v1, v1, 0, s[28:29]
	v_or_b32_e32 v18, v1, v0
.LBB4_3859:                             ;   in Loop: Header=BB4_3455 Depth=3
	s_or_b64 exec, exec, s[68:69]
.LBB4_3860:                             ;   in Loop: Header=BB4_3455 Depth=3
	s_or_b64 exec, exec, s[66:67]
                                        ; implicit-def: $vgpr4
.LBB4_3861:                             ;   in Loop: Header=BB4_3455 Depth=3
	s_andn2_saveexec_b64 s[28:29], s[36:37]
; %bb.3862:                             ;   in Loop: Header=BB4_3455 Depth=3
	v_or_b32_sdwa v0, v4, s92 dst_sel:DWORD dst_unused:UNUSED_PAD src0_sel:BYTE_3 src1_sel:DWORD
	v_cmp_eq_u64_e32 vcc, 0, v[58:59]
	v_cndmask_b32_e32 v18, v0, v18, vcc
; %bb.3863:                             ;   in Loop: Header=BB4_3455 Depth=3
	s_or_b64 exec, exec, s[28:29]
	v_lshrrev_b16_e32 v4, 8, v12
	v_cmp_ne_u16_e32 vcc, 0, v4
	v_mov_b32_e32 v0, 0
	v_mov_b32_e32 v5, 0
	s_and_saveexec_b64 s[28:29], vcc
	s_cbranch_execz .LBB4_3869
; %bb.3864:                             ;   in Loop: Header=BB4_3455 Depth=3
	v_cmp_ne_u16_e32 vcc, s91, v4
	v_bfrev_b32_e32 v5, 1
	s_and_saveexec_b64 s[36:37], vcc
	s_cbranch_execz .LBB4_3868
; %bb.3865:                             ;   in Loop: Header=BB4_3455 Depth=3
	v_and_b32_e32 v1, 0x7f, v4
	v_cmp_ne_u32_e32 vcc, s92, v1
	v_mov_b32_e32 v5, 0x7f800001
	s_and_saveexec_b64 s[66:67], vcc
	s_cbranch_execz .LBB4_3867
; %bb.3866:                             ;   in Loop: Header=BB4_3455 Depth=3
	v_and_b32_e32 v16, 7, v4
	v_ffbh_u32_e32 v5, v16
	v_min_u32_e32 v22, 32, v5
	v_subrev_u32_e32 v5, 28, v22
	v_lshlrev_b64 v[4:5], v5, v[4:5]
	v_lshrrev_b32_e32 v19, 3, v1
	v_sub_u32_e32 v5, 29, v22
	v_and_b32_e32 v4, 7, v4
	v_cmp_gt_u32_e32 vcc, 8, v1
	v_cndmask_b32_e32 v1, v19, v5, vcc
	v_cndmask_b32_e32 v4, v16, v4, vcc
	v_lshlrev_b32_e32 v5, 16, v12
	v_bfrev_b32_e32 v16, 60
	v_lshlrev_b32_e32 v4, 20, v4
	v_and_b32_e32 v5, 0x80000000, v5
	v_lshl_add_u32 v1, v1, 23, v16
	v_or3_b32 v5, v5, v1, v4
.LBB4_3867:                             ;   in Loop: Header=BB4_3455 Depth=3
	s_or_b64 exec, exec, s[66:67]
.LBB4_3868:                             ;   in Loop: Header=BB4_3455 Depth=3
	s_or_b64 exec, exec, s[36:37]
.LBB4_3869:                             ;   in Loop: Header=BB4_3455 Depth=3
	s_or_b64 exec, exec, s[28:29]
	v_lshrrev_b16_e32 v4, 8, v8
	v_cmp_ne_u16_e32 vcc, 0, v4
	s_and_saveexec_b64 s[28:29], vcc
	s_cbranch_execz .LBB4_3875
; %bb.3870:                             ;   in Loop: Header=BB4_3455 Depth=3
	v_cmp_ne_u16_e32 vcc, s91, v4
	v_bfrev_b32_e32 v0, 1
	s_and_saveexec_b64 s[36:37], vcc
	s_cbranch_execz .LBB4_3874
; %bb.3871:                             ;   in Loop: Header=BB4_3455 Depth=3
	v_and_b32_e32 v1, 0x7f, v4
	v_cmp_ne_u32_e32 vcc, s92, v1
	v_mov_b32_e32 v0, 0x7f800001
	s_and_saveexec_b64 s[66:67], vcc
	s_cbranch_execz .LBB4_3873
; %bb.3872:                             ;   in Loop: Header=BB4_3455 Depth=3
	v_and_b32_e32 v0, 7, v4
	v_ffbh_u32_e32 v19, v0
	v_min_u32_e32 v19, 32, v19
	v_subrev_u32_e32 v22, 28, v19
	v_lshlrev_b64 v[22:23], v22, v[4:5]
	v_lshrrev_b32_e32 v16, 3, v1
	v_sub_u32_e32 v4, 29, v19
	v_and_b32_e32 v19, 7, v22
	v_cmp_gt_u32_e32 vcc, 8, v1
	v_cndmask_b32_e32 v1, v16, v4, vcc
	v_cndmask_b32_e32 v0, v0, v19, vcc
	v_lshlrev_b32_e32 v4, 16, v8
	v_bfrev_b32_e32 v16, 60
	v_lshlrev_b32_e32 v0, 20, v0
	v_and_b32_e32 v4, 0x80000000, v4
	v_lshl_add_u32 v1, v1, 23, v16
	v_or3_b32 v0, v4, v1, v0
.LBB4_3873:                             ;   in Loop: Header=BB4_3455 Depth=3
	s_or_b64 exec, exec, s[66:67]
.LBB4_3874:                             ;   in Loop: Header=BB4_3455 Depth=3
	s_or_b64 exec, exec, s[36:37]
.LBB4_3875:                             ;   in Loop: Header=BB4_3455 Depth=3
	s_or_b64 exec, exec, s[28:29]
	v_add_f32_e32 v4, v5, v0
	v_and_b32_sdwa v0, v4, s91 dst_sel:DWORD dst_unused:UNUSED_PAD src0_sel:BYTE_3 src1_sel:DWORD
	v_and_b32_e32 v22, 0x7f800000, v4
	v_mov_b32_e32 v23, v59
	v_and_b32_e32 v58, 0x7fffff, v4
	v_or_b32_e32 v19, 0x7e, v0
	v_cmp_ne_u64_e32 vcc, s[54:55], v[22:23]
	s_and_saveexec_b64 s[28:29], vcc
	s_xor_b64 s[36:37], exec, s[28:29]
	s_cbranch_execz .LBB4_3885
; %bb.3876:                             ;   in Loop: Header=BB4_3455 Depth=3
	v_and_b32_e32 v22, 0x7fffffff, v4
	v_mov_b32_e32 v23, v59
	v_cmp_gt_u64_e32 vcc, s[56:57], v[22:23]
	s_and_saveexec_b64 s[66:67], vcc
	s_cbranch_execz .LBB4_3884
; %bb.3877:                             ;   in Loop: Header=BB4_3455 Depth=3
	v_cmp_ne_u32_e32 vcc, 0, v4
	v_mov_b32_e32 v19, 0
	s_and_saveexec_b64 s[68:69], vcc
	s_cbranch_execz .LBB4_3883
; %bb.3878:                             ;   in Loop: Header=BB4_3455 Depth=3
	v_bfe_u32 v1, v4, 23, 8
	v_sub_u32_e32 v5, 0x79, v1
	v_cmp_gt_u32_e32 vcc, s93, v1
	v_add_u32_e32 v4, 0xffffff81, v1
	v_cndmask_b32_e32 v5, 0, v5, vcc
	v_cmp_eq_u32_e32 vcc, 0, v1
	v_mov_b32_e32 v1, 0xffffff82
	v_cndmask_b32_e32 v1, v4, v1, vcc
	v_mov_b32_e32 v4, 0x78
	v_or_b32_e32 v16, 0x800000, v58
	v_cndmask_b32_e32 v19, v5, v4, vcc
	v_cndmask_b32_e32 v58, v16, v58, vcc
	v_add_u32_e32 v4, 20, v19
	v_lshlrev_b64 v[4:5], v4, -1
	v_add_u32_e32 v16, 19, v19
	v_lshrrev_b64 v[34:35], v19, v[58:59]
	v_not_b32_e32 v5, v5
	v_not_b32_e32 v4, v4
	v_lshlrev_b64 v[32:33], v16, 1
	v_lshrrev_b32_e32 v16, 23, v34
	v_and_b32_e32 v5, 0, v5
	v_and_b32_e32 v4, v58, v4
	v_add3_u32 v22, v19, v1, v16
	v_bfe_u32 v1, v34, 20, 1
	v_add_u32_e32 v1, -1, v1
	v_cmp_eq_u64_e32 vcc, v[4:5], v[32:33]
	v_cndmask_b32_e32 v1, 0, v1, vcc
	v_add_u32_e32 v1, v1, v34
	v_and_b32_e32 v1, 0xfffff, v1
	v_add_co_u32_e32 v4, vcc, v1, v34
	v_add_u32_e32 v19, 6, v22
	v_addc_co_u32_e32 v5, vcc, 0, v35, vcc
	v_cmp_ne_u32_e32 vcc, 0, v19
                                        ; implicit-def: $vgpr16
	s_and_saveexec_b64 s[28:29], vcc
	s_xor_b64 s[28:29], exec, s[28:29]
; %bb.3879:                             ;   in Loop: Header=BB4_3455 Depth=3
	v_add_u32_e32 v1, 7, v22
	v_cmp_lt_u64_e32 vcc, s[58:59], v[4:5]
	v_cndmask_b32_e32 v16, v19, v1, vcc
	v_cndmask_b32_e64 v1, 0, 1, vcc
	v_lshrrev_b64 v[4:5], v1, v[4:5]
; %bb.3880:                             ;   in Loop: Header=BB4_3455 Depth=3
	s_andn2_saveexec_b64 s[28:29], s[28:29]
; %bb.3881:                             ;   in Loop: Header=BB4_3455 Depth=3
	v_bfe_u32 v16, v4, 23, 1
; %bb.3882:                             ;   in Loop: Header=BB4_3455 Depth=3
	s_or_b64 exec, exec, s[28:29]
	v_lshrrev_b64 v[4:5], 20, v[4:5]
	v_cmp_gt_i32_e32 vcc, 16, v16
	v_cndmask_b32_e32 v5, 0, v5, vcc
	v_cndmask_b32_e32 v4, 7, v4, vcc
	v_min_i32_e32 v1, 15, v16
	v_cmp_eq_u32_e32 vcc, 0, v16
	v_cmp_eq_u64_e64 s[28:29], 0, v[4:5]
	v_lshlrev_b32_e32 v1, 3, v1
	v_and_or_b32 v1, v4, 7, v1
	s_and_b64 s[28:29], vcc, s[28:29]
	v_cndmask_b32_e64 v1, v1, 0, s[28:29]
	v_or_b32_e32 v19, v1, v0
.LBB4_3883:                             ;   in Loop: Header=BB4_3455 Depth=3
	s_or_b64 exec, exec, s[68:69]
.LBB4_3884:                             ;   in Loop: Header=BB4_3455 Depth=3
	s_or_b64 exec, exec, s[66:67]
                                        ; implicit-def: $vgpr4
.LBB4_3885:                             ;   in Loop: Header=BB4_3455 Depth=3
	s_andn2_saveexec_b64 s[28:29], s[36:37]
; %bb.3886:                             ;   in Loop: Header=BB4_3455 Depth=3
	v_or_b32_sdwa v0, v4, s92 dst_sel:DWORD dst_unused:UNUSED_PAD src0_sel:BYTE_3 src1_sel:DWORD
	v_cmp_eq_u64_e32 vcc, 0, v[58:59]
	v_cndmask_b32_e32 v19, v0, v19, vcc
; %bb.3887:                             ;   in Loop: Header=BB4_3455 Depth=3
	s_or_b64 exec, exec, s[28:29]
	v_lshrrev_b32_e32 v4, 16, v12
	v_cmp_ne_u16_sdwa vcc, v4, v59 src0_sel:BYTE_0 src1_sel:DWORD
	v_mov_b32_e32 v0, 0
	v_mov_b32_e32 v5, 0
	s_and_saveexec_b64 s[28:29], vcc
	s_cbranch_execz .LBB4_3893
; %bb.3888:                             ;   in Loop: Header=BB4_3455 Depth=3
	v_cmp_ne_u16_sdwa vcc, v4, s91 src0_sel:BYTE_0 src1_sel:DWORD
	v_bfrev_b32_e32 v5, 1
	s_and_saveexec_b64 s[36:37], vcc
	s_cbranch_execz .LBB4_3892
; %bb.3889:                             ;   in Loop: Header=BB4_3455 Depth=3
	v_bfe_u32 v1, v12, 16, 7
	v_cmp_ne_u32_e32 vcc, s92, v1
	v_mov_b32_e32 v5, 0x7f800001
	s_and_saveexec_b64 s[66:67], vcc
	s_cbranch_execz .LBB4_3891
; %bb.3890:                             ;   in Loop: Header=BB4_3455 Depth=3
	v_and_b32_e32 v5, 7, v4
	v_ffbh_u32_e32 v22, v5
	v_min_u32_e32 v31, 32, v22
	v_subrev_u32_e32 v22, 28, v31
	v_lshlrev_b64 v[22:23], v22, v[4:5]
	v_lshrrev_b32_e32 v16, 3, v1
	v_sub_u32_e32 v23, 29, v31
	v_and_b32_e32 v22, 7, v22
	v_cmp_gt_u32_e32 vcc, 8, v1
	v_cndmask_b32_e32 v1, v16, v23, vcc
	v_cndmask_b32_e32 v5, v5, v22, vcc
	v_lshlrev_b32_e32 v4, 24, v4
	v_bfrev_b32_e32 v16, 60
	v_lshlrev_b32_e32 v5, 20, v5
	v_and_b32_e32 v4, 0x80000000, v4
	v_lshl_add_u32 v1, v1, 23, v16
	v_or3_b32 v5, v4, v1, v5
.LBB4_3891:                             ;   in Loop: Header=BB4_3455 Depth=3
	s_or_b64 exec, exec, s[66:67]
.LBB4_3892:                             ;   in Loop: Header=BB4_3455 Depth=3
	s_or_b64 exec, exec, s[36:37]
.LBB4_3893:                             ;   in Loop: Header=BB4_3455 Depth=3
	s_or_b64 exec, exec, s[28:29]
	v_lshrrev_b32_e32 v4, 16, v8
	v_cmp_ne_u16_sdwa vcc, v4, v59 src0_sel:BYTE_0 src1_sel:DWORD
	s_and_saveexec_b64 s[28:29], vcc
	s_cbranch_execz .LBB4_3899
; %bb.3894:                             ;   in Loop: Header=BB4_3455 Depth=3
	v_cmp_ne_u16_sdwa vcc, v4, s91 src0_sel:BYTE_0 src1_sel:DWORD
	v_bfrev_b32_e32 v0, 1
	s_and_saveexec_b64 s[36:37], vcc
	s_cbranch_execz .LBB4_3898
; %bb.3895:                             ;   in Loop: Header=BB4_3455 Depth=3
	v_bfe_u32 v1, v8, 16, 7
	v_cmp_ne_u32_e32 vcc, s92, v1
	v_mov_b32_e32 v0, 0x7f800001
	s_and_saveexec_b64 s[66:67], vcc
	s_cbranch_execz .LBB4_3897
; %bb.3896:                             ;   in Loop: Header=BB4_3455 Depth=3
	v_and_b32_e32 v0, 7, v4
	v_ffbh_u32_e32 v22, v0
	v_min_u32_e32 v31, 32, v22
	v_subrev_u32_e32 v22, 28, v31
	v_lshlrev_b64 v[22:23], v22, v[4:5]
	v_lshrrev_b32_e32 v16, 3, v1
	v_sub_u32_e32 v4, 29, v31
	v_and_b32_e32 v22, 7, v22
	v_cmp_gt_u32_e32 vcc, 8, v1
	v_cndmask_b32_e32 v1, v16, v4, vcc
	v_cndmask_b32_e32 v0, v0, v22, vcc
	v_lshlrev_b32_e32 v4, 8, v8
	v_bfrev_b32_e32 v16, 60
	v_lshlrev_b32_e32 v0, 20, v0
	v_and_b32_e32 v4, 0x80000000, v4
	v_lshl_add_u32 v1, v1, 23, v16
	v_or3_b32 v0, v4, v1, v0
.LBB4_3897:                             ;   in Loop: Header=BB4_3455 Depth=3
	s_or_b64 exec, exec, s[66:67]
.LBB4_3898:                             ;   in Loop: Header=BB4_3455 Depth=3
	s_or_b64 exec, exec, s[36:37]
.LBB4_3899:                             ;   in Loop: Header=BB4_3455 Depth=3
	s_or_b64 exec, exec, s[28:29]
	v_add_f32_e32 v4, v5, v0
	v_and_b32_sdwa v0, v4, s91 dst_sel:DWORD dst_unused:UNUSED_PAD src0_sel:BYTE_3 src1_sel:DWORD
	v_and_b32_e32 v32, 0x7f800000, v4
	v_mov_b32_e32 v33, v59
	v_and_b32_e32 v58, 0x7fffff, v4
	v_or_b32_e32 v22, 0x7e, v0
	v_cmp_ne_u64_e32 vcc, s[54:55], v[32:33]
	s_and_saveexec_b64 s[28:29], vcc
	s_xor_b64 s[36:37], exec, s[28:29]
	s_cbranch_execz .LBB4_3909
; %bb.3900:                             ;   in Loop: Header=BB4_3455 Depth=3
	v_and_b32_e32 v32, 0x7fffffff, v4
	v_mov_b32_e32 v33, v59
	v_cmp_gt_u64_e32 vcc, s[56:57], v[32:33]
	s_and_saveexec_b64 s[66:67], vcc
	s_cbranch_execz .LBB4_3908
; %bb.3901:                             ;   in Loop: Header=BB4_3455 Depth=3
	v_cmp_ne_u32_e32 vcc, 0, v4
	v_mov_b32_e32 v22, 0
	s_and_saveexec_b64 s[68:69], vcc
	s_cbranch_execz .LBB4_3907
; %bb.3902:                             ;   in Loop: Header=BB4_3455 Depth=3
	v_bfe_u32 v1, v4, 23, 8
	v_sub_u32_e32 v5, 0x79, v1
	v_cmp_gt_u32_e32 vcc, s93, v1
	v_add_u32_e32 v4, 0xffffff81, v1
	v_cndmask_b32_e32 v5, 0, v5, vcc
	v_cmp_eq_u32_e32 vcc, 0, v1
	v_mov_b32_e32 v1, 0xffffff82
	v_cndmask_b32_e32 v1, v4, v1, vcc
	v_mov_b32_e32 v4, 0x78
	v_or_b32_e32 v16, 0x800000, v58
	v_cndmask_b32_e32 v22, v5, v4, vcc
	v_cndmask_b32_e32 v58, v16, v58, vcc
	v_add_u32_e32 v4, 20, v22
	v_lshlrev_b64 v[4:5], v4, -1
	v_add_u32_e32 v16, 19, v22
	v_lshrrev_b64 v[34:35], v22, v[58:59]
	v_not_b32_e32 v5, v5
	v_not_b32_e32 v4, v4
	v_lshlrev_b64 v[32:33], v16, 1
	v_lshrrev_b32_e32 v16, 23, v34
	v_and_b32_e32 v5, 0, v5
	v_and_b32_e32 v4, v58, v4
	v_add3_u32 v23, v22, v1, v16
	v_bfe_u32 v1, v34, 20, 1
	v_add_u32_e32 v1, -1, v1
	v_cmp_eq_u64_e32 vcc, v[4:5], v[32:33]
	v_cndmask_b32_e32 v1, 0, v1, vcc
	v_add_u32_e32 v1, v1, v34
	v_and_b32_e32 v1, 0xfffff, v1
	v_add_co_u32_e32 v4, vcc, v1, v34
	v_add_u32_e32 v22, 6, v23
	v_addc_co_u32_e32 v5, vcc, 0, v35, vcc
	v_cmp_ne_u32_e32 vcc, 0, v22
                                        ; implicit-def: $vgpr16
	s_and_saveexec_b64 s[28:29], vcc
	s_xor_b64 s[28:29], exec, s[28:29]
; %bb.3903:                             ;   in Loop: Header=BB4_3455 Depth=3
	v_add_u32_e32 v1, 7, v23
	v_cmp_lt_u64_e32 vcc, s[58:59], v[4:5]
	v_cndmask_b32_e32 v16, v22, v1, vcc
	v_cndmask_b32_e64 v1, 0, 1, vcc
	v_lshrrev_b64 v[4:5], v1, v[4:5]
; %bb.3904:                             ;   in Loop: Header=BB4_3455 Depth=3
	s_andn2_saveexec_b64 s[28:29], s[28:29]
; %bb.3905:                             ;   in Loop: Header=BB4_3455 Depth=3
	v_bfe_u32 v16, v4, 23, 1
; %bb.3906:                             ;   in Loop: Header=BB4_3455 Depth=3
	s_or_b64 exec, exec, s[28:29]
	v_lshrrev_b64 v[4:5], 20, v[4:5]
	v_cmp_gt_i32_e32 vcc, 16, v16
	v_cndmask_b32_e32 v5, 0, v5, vcc
	v_cndmask_b32_e32 v4, 7, v4, vcc
	v_min_i32_e32 v1, 15, v16
	v_cmp_eq_u32_e32 vcc, 0, v16
	v_cmp_eq_u64_e64 s[28:29], 0, v[4:5]
	v_lshlrev_b32_e32 v1, 3, v1
	v_and_or_b32 v1, v4, 7, v1
	s_and_b64 s[28:29], vcc, s[28:29]
	v_cndmask_b32_e64 v1, v1, 0, s[28:29]
	v_or_b32_e32 v22, v1, v0
.LBB4_3907:                             ;   in Loop: Header=BB4_3455 Depth=3
	s_or_b64 exec, exec, s[68:69]
.LBB4_3908:                             ;   in Loop: Header=BB4_3455 Depth=3
	s_or_b64 exec, exec, s[66:67]
                                        ; implicit-def: $vgpr4
.LBB4_3909:                             ;   in Loop: Header=BB4_3455 Depth=3
	s_andn2_saveexec_b64 s[28:29], s[36:37]
; %bb.3910:                             ;   in Loop: Header=BB4_3455 Depth=3
	v_or_b32_sdwa v0, v4, s92 dst_sel:DWORD dst_unused:UNUSED_PAD src0_sel:BYTE_3 src1_sel:DWORD
	v_cmp_eq_u64_e32 vcc, 0, v[58:59]
	v_cndmask_b32_e32 v22, v0, v22, vcc
; %bb.3911:                             ;   in Loop: Header=BB4_3455 Depth=3
	s_or_b64 exec, exec, s[28:29]
	v_cmp_lt_u32_e32 vcc, s45, v12
	v_mov_b32_e32 v0, 0
	v_mov_b32_e32 v5, 0
	s_and_saveexec_b64 s[28:29], vcc
	s_cbranch_execz .LBB4_3917
; %bb.3912:                             ;   in Loop: Header=BB4_3455 Depth=3
	v_lshrrev_b32_e32 v4, 24, v12
	v_cmp_ne_u32_e32 vcc, s91, v4
	v_bfrev_b32_e32 v5, 1
	s_and_saveexec_b64 s[36:37], vcc
	s_cbranch_execz .LBB4_3916
; %bb.3913:                             ;   in Loop: Header=BB4_3455 Depth=3
	v_bfe_u32 v1, v12, 24, 7
	v_cmp_ne_u32_e32 vcc, s92, v1
	v_mov_b32_e32 v5, 0x7f800001
	s_and_saveexec_b64 s[66:67], vcc
	s_cbranch_execz .LBB4_3915
; %bb.3914:                             ;   in Loop: Header=BB4_3455 Depth=3
	v_and_b32_e32 v5, 7, v4
	v_ffbh_u32_e32 v23, v5
	v_min_u32_e32 v23, 32, v23
	v_subrev_u32_e32 v31, 28, v23
	v_lshlrev_b64 v[32:33], v31, v[4:5]
	v_lshrrev_b32_e32 v16, 3, v1
	v_sub_u32_e32 v23, 29, v23
	v_and_b32_e32 v31, 7, v32
	v_cmp_gt_u32_e32 vcc, 8, v1
	v_cndmask_b32_e32 v1, v16, v23, vcc
	v_cndmask_b32_e32 v5, v5, v31, vcc
	v_lshlrev_b32_e32 v4, 24, v4
	v_bfrev_b32_e32 v16, 60
	v_lshlrev_b32_e32 v5, 20, v5
	v_and_b32_e32 v4, 0x80000000, v4
	v_lshl_add_u32 v1, v1, 23, v16
	v_or3_b32 v5, v4, v1, v5
.LBB4_3915:                             ;   in Loop: Header=BB4_3455 Depth=3
	s_or_b64 exec, exec, s[66:67]
.LBB4_3916:                             ;   in Loop: Header=BB4_3455 Depth=3
	s_or_b64 exec, exec, s[36:37]
.LBB4_3917:                             ;   in Loop: Header=BB4_3455 Depth=3
	s_or_b64 exec, exec, s[28:29]
	v_cmp_lt_u32_e32 vcc, s45, v8
	s_and_saveexec_b64 s[28:29], vcc
	s_cbranch_execz .LBB4_3923
; %bb.3918:                             ;   in Loop: Header=BB4_3455 Depth=3
	v_lshrrev_b32_e32 v4, 24, v8
	v_cmp_ne_u32_e32 vcc, s91, v4
	v_bfrev_b32_e32 v0, 1
	s_and_saveexec_b64 s[36:37], vcc
	s_cbranch_execz .LBB4_3922
; %bb.3919:                             ;   in Loop: Header=BB4_3455 Depth=3
	v_bfe_u32 v1, v8, 24, 7
	v_cmp_ne_u32_e32 vcc, s92, v1
	v_mov_b32_e32 v0, 0x7f800001
	s_and_saveexec_b64 s[66:67], vcc
	s_cbranch_execz .LBB4_3921
; %bb.3920:                             ;   in Loop: Header=BB4_3455 Depth=3
	v_and_b32_e32 v0, 7, v4
	v_ffbh_u32_e32 v23, v0
	v_min_u32_e32 v23, 32, v23
	v_subrev_u32_e32 v31, 28, v23
	v_lshlrev_b64 v[32:33], v31, v[4:5]
	v_lshrrev_b32_e32 v16, 3, v1
	v_sub_u32_e32 v23, 29, v23
	v_and_b32_e32 v31, 7, v32
	v_cmp_gt_u32_e32 vcc, 8, v1
	v_cndmask_b32_e32 v1, v16, v23, vcc
	v_cndmask_b32_e32 v0, v0, v31, vcc
	v_lshlrev_b32_e32 v4, 24, v4
	v_bfrev_b32_e32 v16, 60
	v_lshlrev_b32_e32 v0, 20, v0
	v_and_b32_e32 v4, 0x80000000, v4
	v_lshl_add_u32 v1, v1, 23, v16
	v_or3_b32 v0, v4, v1, v0
.LBB4_3921:                             ;   in Loop: Header=BB4_3455 Depth=3
	s_or_b64 exec, exec, s[66:67]
.LBB4_3922:                             ;   in Loop: Header=BB4_3455 Depth=3
	s_or_b64 exec, exec, s[36:37]
.LBB4_3923:                             ;   in Loop: Header=BB4_3455 Depth=3
	s_or_b64 exec, exec, s[28:29]
	v_add_f32_e32 v4, v5, v0
	v_and_b32_sdwa v0, v4, s91 dst_sel:DWORD dst_unused:UNUSED_PAD src0_sel:BYTE_3 src1_sel:DWORD
	v_and_b32_e32 v32, 0x7f800000, v4
	v_mov_b32_e32 v33, v59
	v_and_b32_e32 v58, 0x7fffff, v4
	v_or_b32_e32 v23, 0x7e, v0
	v_cmp_ne_u64_e32 vcc, s[54:55], v[32:33]
	s_and_saveexec_b64 s[28:29], vcc
	s_xor_b64 s[36:37], exec, s[28:29]
	s_cbranch_execz .LBB4_3933
; %bb.3924:                             ;   in Loop: Header=BB4_3455 Depth=3
	v_and_b32_e32 v32, 0x7fffffff, v4
	v_mov_b32_e32 v33, v59
	v_cmp_gt_u64_e32 vcc, s[56:57], v[32:33]
	s_and_saveexec_b64 s[66:67], vcc
	s_cbranch_execz .LBB4_3932
; %bb.3925:                             ;   in Loop: Header=BB4_3455 Depth=3
	v_cmp_ne_u32_e32 vcc, 0, v4
	v_mov_b32_e32 v23, 0
	s_and_saveexec_b64 s[68:69], vcc
	s_cbranch_execz .LBB4_3931
; %bb.3926:                             ;   in Loop: Header=BB4_3455 Depth=3
	v_bfe_u32 v1, v4, 23, 8
	v_sub_u32_e32 v5, 0x79, v1
	v_cmp_gt_u32_e32 vcc, s93, v1
	v_add_u32_e32 v4, 0xffffff81, v1
	v_cndmask_b32_e32 v5, 0, v5, vcc
	v_cmp_eq_u32_e32 vcc, 0, v1
	v_mov_b32_e32 v1, 0xffffff82
	v_cndmask_b32_e32 v1, v4, v1, vcc
	v_mov_b32_e32 v4, 0x78
	v_or_b32_e32 v16, 0x800000, v58
	v_cndmask_b32_e32 v23, v5, v4, vcc
	v_cndmask_b32_e32 v58, v16, v58, vcc
	v_add_u32_e32 v4, 20, v23
	v_lshlrev_b64 v[4:5], v4, -1
	v_add_u32_e32 v16, 19, v23
	v_lshrrev_b64 v[34:35], v23, v[58:59]
	v_not_b32_e32 v5, v5
	v_not_b32_e32 v4, v4
	v_lshlrev_b64 v[32:33], v16, 1
	v_lshrrev_b32_e32 v16, 23, v34
	v_and_b32_e32 v5, 0, v5
	v_and_b32_e32 v4, v58, v4
	v_add3_u32 v31, v23, v1, v16
	v_bfe_u32 v1, v34, 20, 1
	v_add_u32_e32 v1, -1, v1
	v_cmp_eq_u64_e32 vcc, v[4:5], v[32:33]
	v_cndmask_b32_e32 v1, 0, v1, vcc
	v_add_u32_e32 v1, v1, v34
	v_and_b32_e32 v1, 0xfffff, v1
	v_add_co_u32_e32 v4, vcc, v1, v34
	v_add_u32_e32 v23, 6, v31
	v_addc_co_u32_e32 v5, vcc, 0, v35, vcc
	v_cmp_ne_u32_e32 vcc, 0, v23
                                        ; implicit-def: $vgpr16
	s_and_saveexec_b64 s[28:29], vcc
	s_xor_b64 s[28:29], exec, s[28:29]
; %bb.3927:                             ;   in Loop: Header=BB4_3455 Depth=3
	v_add_u32_e32 v1, 7, v31
	v_cmp_lt_u64_e32 vcc, s[58:59], v[4:5]
	v_cndmask_b32_e32 v16, v23, v1, vcc
	v_cndmask_b32_e64 v1, 0, 1, vcc
	v_lshrrev_b64 v[4:5], v1, v[4:5]
; %bb.3928:                             ;   in Loop: Header=BB4_3455 Depth=3
	s_andn2_saveexec_b64 s[28:29], s[28:29]
; %bb.3929:                             ;   in Loop: Header=BB4_3455 Depth=3
	v_bfe_u32 v16, v4, 23, 1
; %bb.3930:                             ;   in Loop: Header=BB4_3455 Depth=3
	s_or_b64 exec, exec, s[28:29]
	v_lshrrev_b64 v[4:5], 20, v[4:5]
	v_cmp_gt_i32_e32 vcc, 16, v16
	v_cndmask_b32_e32 v5, 0, v5, vcc
	v_cndmask_b32_e32 v4, 7, v4, vcc
	v_min_i32_e32 v1, 15, v16
	v_cmp_eq_u32_e32 vcc, 0, v16
	v_cmp_eq_u64_e64 s[28:29], 0, v[4:5]
	v_lshlrev_b32_e32 v1, 3, v1
	v_and_or_b32 v1, v4, 7, v1
	s_and_b64 s[28:29], vcc, s[28:29]
	v_cndmask_b32_e64 v1, v1, 0, s[28:29]
	v_or_b32_e32 v23, v1, v0
.LBB4_3931:                             ;   in Loop: Header=BB4_3455 Depth=3
	s_or_b64 exec, exec, s[68:69]
.LBB4_3932:                             ;   in Loop: Header=BB4_3455 Depth=3
	s_or_b64 exec, exec, s[66:67]
                                        ; implicit-def: $vgpr4
.LBB4_3933:                             ;   in Loop: Header=BB4_3455 Depth=3
	s_andn2_saveexec_b64 s[28:29], s[36:37]
; %bb.3934:                             ;   in Loop: Header=BB4_3455 Depth=3
	v_or_b32_sdwa v0, v4, s92 dst_sel:DWORD dst_unused:UNUSED_PAD src0_sel:BYTE_3 src1_sel:DWORD
	v_cmp_eq_u64_e32 vcc, 0, v[58:59]
	v_cndmask_b32_e32 v23, v0, v23, vcc
; %bb.3935:                             ;   in Loop: Header=BB4_3455 Depth=3
	s_or_b64 exec, exec, s[28:29]
	v_mov_b32_e32 v58, v13
	v_cmp_ne_u16_sdwa vcc, v13, v59 src0_sel:BYTE_0 src1_sel:DWORD
	v_mov_b32_e32 v4, 0
	v_mov_b32_e32 v0, 0
	s_and_saveexec_b64 s[28:29], vcc
	s_cbranch_execz .LBB4_3941
; %bb.3936:                             ;   in Loop: Header=BB4_3455 Depth=3
	v_cmp_ne_u16_sdwa vcc, v13, s91 src0_sel:BYTE_0 src1_sel:DWORD
	v_bfrev_b32_e32 v0, 1
	s_and_saveexec_b64 s[36:37], vcc
	s_cbranch_execz .LBB4_3940
; %bb.3937:                             ;   in Loop: Header=BB4_3455 Depth=3
	v_and_b32_e32 v1, 0x7f, v13
	v_cmp_ne_u32_e32 vcc, s92, v1
	v_mov_b32_e32 v0, 0x7f800001
	s_and_saveexec_b64 s[66:67], vcc
	s_cbranch_execz .LBB4_3939
; %bb.3938:                             ;   in Loop: Header=BB4_3455 Depth=3
	v_and_b32_e32 v0, 7, v13
	v_ffbh_u32_e32 v0, v0
	v_min_u32_e32 v0, 32, v0
	v_lshrrev_b32_e32 v5, 3, v1
	v_subrev_u32_e32 v16, 28, v0
	v_sub_u32_e32 v0, 29, v0
	v_cmp_gt_u32_e32 vcc, 8, v1
	v_cndmask_b32_e32 v5, v5, v0, vcc
	v_cndmask_b32_e32 v0, 0, v16, vcc
	v_lshlrev_b64 v[0:1], v0, v[58:59]
	v_lshlrev_b32_e32 v0, 20, v0
	v_lshlrev_b32_e32 v1, 24, v58
	v_bfrev_b32_e32 v16, 60
	v_and_b32_e32 v0, 0x700000, v0
	v_and_b32_e32 v1, 0x80000000, v1
	v_lshl_add_u32 v5, v5, 23, v16
	v_or3_b32 v0, v1, v5, v0
.LBB4_3939:                             ;   in Loop: Header=BB4_3455 Depth=3
	s_or_b64 exec, exec, s[66:67]
.LBB4_3940:                             ;   in Loop: Header=BB4_3455 Depth=3
	s_or_b64 exec, exec, s[36:37]
.LBB4_3941:                             ;   in Loop: Header=BB4_3455 Depth=3
	s_or_b64 exec, exec, s[28:29]
	v_cmp_ne_u16_sdwa vcc, v9, v59 src0_sel:BYTE_0 src1_sel:DWORD
	s_and_saveexec_b64 s[28:29], vcc
	s_cbranch_execz .LBB4_3947
; %bb.3942:                             ;   in Loop: Header=BB4_3455 Depth=3
	v_cmp_ne_u16_sdwa vcc, v9, s91 src0_sel:BYTE_0 src1_sel:DWORD
	v_bfrev_b32_e32 v4, 1
	s_and_saveexec_b64 s[36:37], vcc
	s_cbranch_execz .LBB4_3946
; %bb.3943:                             ;   in Loop: Header=BB4_3455 Depth=3
	v_and_b32_e32 v1, 0x7f, v9
	v_cmp_ne_u32_e32 vcc, s92, v1
	v_mov_b32_e32 v4, 0x7f800001
	s_and_saveexec_b64 s[66:67], vcc
	s_cbranch_execz .LBB4_3945
; %bb.3944:                             ;   in Loop: Header=BB4_3455 Depth=3
	v_and_b32_e32 v16, 7, v9
	v_ffbh_u32_e32 v16, v16
	v_min_u32_e32 v16, 32, v16
	v_lshrrev_b32_e32 v31, 3, v1
	v_subrev_u32_e32 v32, 28, v16
	v_sub_u32_e32 v16, 29, v16
	v_cmp_gt_u32_e32 vcc, 8, v1
	v_mov_b32_e32 v4, v9
	v_mov_b32_e32 v5, v59
	v_cndmask_b32_e32 v1, v31, v16, vcc
	v_cndmask_b32_e32 v16, 0, v32, vcc
	v_lshlrev_b64 v[32:33], v16, v[4:5]
	v_lshlrev_b32_e32 v5, 20, v32
	v_lshlrev_b32_e32 v4, 24, v4
	v_bfrev_b32_e32 v16, 60
	v_and_b32_e32 v5, 0x700000, v5
	v_and_b32_e32 v4, 0x80000000, v4
	v_lshl_add_u32 v1, v1, 23, v16
	v_or3_b32 v4, v4, v1, v5
.LBB4_3945:                             ;   in Loop: Header=BB4_3455 Depth=3
	s_or_b64 exec, exec, s[66:67]
.LBB4_3946:                             ;   in Loop: Header=BB4_3455 Depth=3
	s_or_b64 exec, exec, s[36:37]
.LBB4_3947:                             ;   in Loop: Header=BB4_3455 Depth=3
	s_or_b64 exec, exec, s[28:29]
	v_add_f32_e32 v31, v0, v4
	v_and_b32_sdwa v16, v31, s91 dst_sel:DWORD dst_unused:UNUSED_PAD src0_sel:BYTE_3 src1_sel:DWORD
	v_and_b32_e32 v32, 0x7f800000, v31
	v_mov_b32_e32 v33, v59
	v_and_b32_e32 v4, 0x7fffff, v31
	v_mov_b32_e32 v5, v59
	v_or_b32_e32 v0, 0x7e, v16
	v_cmp_ne_u64_e32 vcc, s[54:55], v[32:33]
	s_and_saveexec_b64 s[28:29], vcc
	s_xor_b64 s[36:37], exec, s[28:29]
	s_cbranch_execz .LBB4_3957
; %bb.3948:                             ;   in Loop: Header=BB4_3455 Depth=3
	v_and_b32_e32 v32, 0x7fffffff, v31
	v_mov_b32_e32 v33, v59
	v_cmp_gt_u64_e32 vcc, s[56:57], v[32:33]
	s_and_saveexec_b64 s[66:67], vcc
	s_cbranch_execz .LBB4_3956
; %bb.3949:                             ;   in Loop: Header=BB4_3455 Depth=3
	v_cmp_ne_u32_e32 vcc, 0, v31
	v_mov_b32_e32 v0, 0
	s_and_saveexec_b64 s[68:69], vcc
	s_cbranch_execz .LBB4_3955
; %bb.3950:                             ;   in Loop: Header=BB4_3455 Depth=3
	v_bfe_u32 v0, v31, 23, 8
	v_sub_u32_e32 v31, 0x79, v0
	v_cmp_gt_u32_e32 vcc, s93, v0
	v_add_u32_e32 v1, 0xffffff81, v0
	v_cndmask_b32_e32 v31, 0, v31, vcc
	v_cmp_eq_u32_e32 vcc, 0, v0
	v_mov_b32_e32 v0, 0xffffff82
	v_cndmask_b32_e32 v34, v1, v0, vcc
	v_mov_b32_e32 v0, 0x78
	v_cndmask_b32_e32 v31, v31, v0, vcc
	v_add_u32_e32 v0, 20, v31
	v_or_b32_e32 v32, 0x800000, v4
	v_lshlrev_b64 v[0:1], v0, -1
	v_cndmask_b32_e32 v4, v32, v4, vcc
	v_not_b32_e32 v0, v0
	v_and_b32_e32 v0, v4, v0
	v_lshrrev_b64 v[4:5], v31, v[4:5]
	v_not_b32_e32 v1, v1
	v_add_u32_e32 v32, 19, v31
	v_lshrrev_b32_e32 v35, 23, v4
	v_and_b32_e32 v1, 0, v1
	v_lshlrev_b64 v[32:33], v32, 1
	v_add3_u32 v54, v31, v34, v35
	v_bfe_u32 v34, v4, 20, 1
	v_add_u32_e32 v34, -1, v34
	v_cmp_eq_u64_e32 vcc, v[0:1], v[32:33]
	v_cndmask_b32_e32 v0, 0, v34, vcc
	v_add_u32_e32 v0, v0, v4
	v_and_b32_e32 v0, 0xfffff, v0
	v_add_co_u32_e32 v4, vcc, v0, v4
	v_add_u32_e32 v31, 6, v54
	v_addc_co_u32_e32 v5, vcc, 0, v5, vcc
	v_cmp_ne_u32_e32 vcc, 0, v31
                                        ; implicit-def: $vgpr0
	s_and_saveexec_b64 s[28:29], vcc
	s_xor_b64 s[28:29], exec, s[28:29]
; %bb.3951:                             ;   in Loop: Header=BB4_3455 Depth=3
	v_cmp_lt_u64_e32 vcc, s[58:59], v[4:5]
	v_add_u32_e32 v0, 7, v54
	v_cndmask_b32_e64 v1, 0, 1, vcc
	v_cndmask_b32_e32 v0, v31, v0, vcc
	v_lshrrev_b64 v[4:5], v1, v[4:5]
; %bb.3952:                             ;   in Loop: Header=BB4_3455 Depth=3
	s_andn2_saveexec_b64 s[28:29], s[28:29]
; %bb.3953:                             ;   in Loop: Header=BB4_3455 Depth=3
	v_bfe_u32 v0, v4, 23, 1
; %bb.3954:                             ;   in Loop: Header=BB4_3455 Depth=3
	s_or_b64 exec, exec, s[28:29]
	v_lshrrev_b64 v[4:5], 20, v[4:5]
	v_cmp_gt_i32_e32 vcc, 16, v0
	v_cndmask_b32_e32 v5, 0, v5, vcc
	v_cndmask_b32_e32 v4, 7, v4, vcc
	v_cmp_eq_u32_e32 vcc, 0, v0
	v_min_i32_e32 v0, 15, v0
	v_cmp_eq_u64_e64 s[28:29], 0, v[4:5]
	v_lshlrev_b32_e32 v0, 3, v0
	v_and_or_b32 v0, v4, 7, v0
	s_and_b64 s[28:29], vcc, s[28:29]
	v_cndmask_b32_e64 v0, v0, 0, s[28:29]
	v_or_b32_e32 v0, v0, v16
.LBB4_3955:                             ;   in Loop: Header=BB4_3455 Depth=3
	s_or_b64 exec, exec, s[68:69]
.LBB4_3956:                             ;   in Loop: Header=BB4_3455 Depth=3
	s_or_b64 exec, exec, s[66:67]
                                        ; implicit-def: $vgpr31
                                        ; implicit-def: $vgpr4_vgpr5
.LBB4_3957:                             ;   in Loop: Header=BB4_3455 Depth=3
	s_andn2_saveexec_b64 s[28:29], s[36:37]
; %bb.3958:                             ;   in Loop: Header=BB4_3455 Depth=3
	v_or_b32_sdwa v1, v31, s92 dst_sel:DWORD dst_unused:UNUSED_PAD src0_sel:BYTE_3 src1_sel:DWORD
	v_cmp_eq_u64_e32 vcc, 0, v[4:5]
	v_cndmask_b32_e32 v0, v1, v0, vcc
; %bb.3959:                             ;   in Loop: Header=BB4_3455 Depth=3
	s_or_b64 exec, exec, s[28:29]
	v_lshrrev_b16_e32 v4, 8, v58
	v_cmp_ne_u16_e32 vcc, 0, v4
	v_mov_b32_e32 v5, 0
	v_mov_b32_e32 v31, 0
	s_and_saveexec_b64 s[28:29], vcc
	s_cbranch_execz .LBB4_3965
; %bb.3960:                             ;   in Loop: Header=BB4_3455 Depth=3
	v_cmp_ne_u16_e32 vcc, s91, v4
	v_bfrev_b32_e32 v31, 1
	s_and_saveexec_b64 s[36:37], vcc
	s_cbranch_execz .LBB4_3964
; %bb.3961:                             ;   in Loop: Header=BB4_3455 Depth=3
	v_and_b32_e32 v1, 0x7f, v4
	v_cmp_ne_u32_e32 vcc, s92, v1
	v_mov_b32_e32 v31, 0x7f800001
	s_and_saveexec_b64 s[66:67], vcc
	s_cbranch_execz .LBB4_3963
; %bb.3962:                             ;   in Loop: Header=BB4_3455 Depth=3
	v_and_b32_e32 v16, 7, v4
	v_ffbh_u32_e32 v32, v16
	v_min_u32_e32 v34, 32, v32
	v_subrev_u32_e32 v32, 28, v34
	v_lshlrev_b64 v[32:33], v32, v[4:5]
	v_lshrrev_b32_e32 v31, 3, v1
	v_sub_u32_e32 v4, 29, v34
	v_and_b32_e32 v32, 7, v32
	v_cmp_gt_u32_e32 vcc, 8, v1
	v_cndmask_b32_e32 v1, v31, v4, vcc
	v_cndmask_b32_e32 v4, v16, v32, vcc
	v_lshlrev_b32_e32 v16, 16, v58
	v_bfrev_b32_e32 v31, 60
	v_lshlrev_b32_e32 v4, 20, v4
	v_and_b32_e32 v16, 0x80000000, v16
	v_lshl_add_u32 v1, v1, 23, v31
	v_or3_b32 v31, v16, v1, v4
.LBB4_3963:                             ;   in Loop: Header=BB4_3455 Depth=3
	s_or_b64 exec, exec, s[66:67]
.LBB4_3964:                             ;   in Loop: Header=BB4_3455 Depth=3
	s_or_b64 exec, exec, s[36:37]
.LBB4_3965:                             ;   in Loop: Header=BB4_3455 Depth=3
	s_or_b64 exec, exec, s[28:29]
	v_mov_b32_e32 v4, v9
	v_lshrrev_b16_e32 v16, 8, v4
	v_cmp_ne_u16_e32 vcc, 0, v16
	s_and_saveexec_b64 s[28:29], vcc
	s_cbranch_execz .LBB4_3971
; %bb.3966:                             ;   in Loop: Header=BB4_3455 Depth=3
	v_cmp_ne_u16_e32 vcc, s91, v16
	v_bfrev_b32_e32 v5, 1
	s_and_saveexec_b64 s[36:37], vcc
	s_cbranch_execz .LBB4_3970
; %bb.3967:                             ;   in Loop: Header=BB4_3455 Depth=3
	v_and_b32_e32 v1, 0x7f, v16
	v_cmp_ne_u32_e32 vcc, s92, v1
	v_mov_b32_e32 v5, 0x7f800001
	s_and_saveexec_b64 s[66:67], vcc
	s_cbranch_execz .LBB4_3969
; %bb.3968:                             ;   in Loop: Header=BB4_3455 Depth=3
	v_and_b32_e32 v5, 7, v16
	v_ffbh_u32_e32 v32, v5
	v_min_u32_e32 v35, 32, v32
	v_subrev_u32_e32 v32, 28, v35
	v_lshlrev_b64 v[32:33], v32, v[16:17]
	v_lshrrev_b32_e32 v34, 3, v1
	v_sub_u32_e32 v16, 29, v35
	v_and_b32_e32 v32, 7, v32
	v_cmp_gt_u32_e32 vcc, 8, v1
	v_cndmask_b32_e32 v1, v34, v16, vcc
	v_cndmask_b32_e32 v5, v5, v32, vcc
	v_lshlrev_b32_e32 v4, 16, v4
	v_bfrev_b32_e32 v16, 60
	v_lshlrev_b32_e32 v5, 20, v5
	v_and_b32_e32 v4, 0x80000000, v4
	v_lshl_add_u32 v1, v1, 23, v16
	v_or3_b32 v5, v4, v1, v5
.LBB4_3969:                             ;   in Loop: Header=BB4_3455 Depth=3
	s_or_b64 exec, exec, s[66:67]
.LBB4_3970:                             ;   in Loop: Header=BB4_3455 Depth=3
	s_or_b64 exec, exec, s[36:37]
.LBB4_3971:                             ;   in Loop: Header=BB4_3455 Depth=3
	s_or_b64 exec, exec, s[28:29]
	v_add_f32_e32 v4, v31, v5
	v_and_b32_sdwa v31, v4, s91 dst_sel:DWORD dst_unused:UNUSED_PAD src0_sel:BYTE_3 src1_sel:DWORD
	v_and_b32_e32 v32, 0x7f800000, v4
	v_mov_b32_e32 v33, v59
	v_and_b32_e32 v58, 0x7fffff, v4
	v_or_b32_e32 v16, 0x7e, v31
	v_cmp_ne_u64_e32 vcc, s[54:55], v[32:33]
	s_and_saveexec_b64 s[28:29], vcc
	s_xor_b64 s[36:37], exec, s[28:29]
	s_cbranch_execz .LBB4_3981
; %bb.3972:                             ;   in Loop: Header=BB4_3455 Depth=3
	v_and_b32_e32 v32, 0x7fffffff, v4
	v_mov_b32_e32 v33, v59
	v_cmp_gt_u64_e32 vcc, s[56:57], v[32:33]
	s_and_saveexec_b64 s[66:67], vcc
	s_cbranch_execz .LBB4_3980
; %bb.3973:                             ;   in Loop: Header=BB4_3455 Depth=3
	v_cmp_ne_u32_e32 vcc, 0, v4
	v_mov_b32_e32 v16, 0
	s_and_saveexec_b64 s[68:69], vcc
	s_cbranch_execz .LBB4_3979
; %bb.3974:                             ;   in Loop: Header=BB4_3455 Depth=3
	v_bfe_u32 v1, v4, 23, 8
	v_sub_u32_e32 v5, 0x79, v1
	v_cmp_gt_u32_e32 vcc, s93, v1
	v_add_u32_e32 v4, 0xffffff81, v1
	v_cndmask_b32_e32 v5, 0, v5, vcc
	v_cmp_eq_u32_e32 vcc, 0, v1
	v_mov_b32_e32 v1, 0xffffff82
	v_cndmask_b32_e32 v1, v4, v1, vcc
	v_mov_b32_e32 v4, 0x78
	v_or_b32_e32 v16, 0x800000, v58
	v_cndmask_b32_e32 v37, v5, v4, vcc
	v_cndmask_b32_e32 v58, v16, v58, vcc
	v_add_u32_e32 v4, 20, v37
	v_lshlrev_b64 v[4:5], v4, -1
	v_add_u32_e32 v16, 19, v37
	v_lshrrev_b64 v[34:35], v37, v[58:59]
	v_not_b32_e32 v5, v5
	v_not_b32_e32 v4, v4
	v_lshlrev_b64 v[32:33], v16, 1
	v_lshrrev_b32_e32 v16, 23, v34
	v_and_b32_e32 v5, 0, v5
	v_and_b32_e32 v4, v58, v4
	v_add3_u32 v55, v37, v1, v16
	v_bfe_u32 v1, v34, 20, 1
	v_add_u32_e32 v1, -1, v1
	v_cmp_eq_u64_e32 vcc, v[4:5], v[32:33]
	v_cndmask_b32_e32 v1, 0, v1, vcc
	v_add_u32_e32 v1, v1, v34
	v_and_b32_e32 v1, 0xfffff, v1
	v_add_co_u32_e32 v4, vcc, v1, v34
	v_add_u32_e32 v54, 6, v55
	v_addc_co_u32_e32 v5, vcc, 0, v35, vcc
	v_cmp_ne_u32_e32 vcc, 0, v54
                                        ; implicit-def: $vgpr16
	s_and_saveexec_b64 s[28:29], vcc
	s_xor_b64 s[28:29], exec, s[28:29]
; %bb.3975:                             ;   in Loop: Header=BB4_3455 Depth=3
	v_add_u32_e32 v1, 7, v55
	v_cmp_lt_u64_e32 vcc, s[58:59], v[4:5]
	v_cndmask_b32_e32 v16, v54, v1, vcc
	v_cndmask_b32_e64 v1, 0, 1, vcc
	v_lshrrev_b64 v[4:5], v1, v[4:5]
; %bb.3976:                             ;   in Loop: Header=BB4_3455 Depth=3
	s_andn2_saveexec_b64 s[28:29], s[28:29]
; %bb.3977:                             ;   in Loop: Header=BB4_3455 Depth=3
	v_bfe_u32 v16, v4, 23, 1
; %bb.3978:                             ;   in Loop: Header=BB4_3455 Depth=3
	s_or_b64 exec, exec, s[28:29]
	v_lshrrev_b64 v[4:5], 20, v[4:5]
	v_cmp_gt_i32_e32 vcc, 16, v16
	v_cndmask_b32_e32 v5, 0, v5, vcc
	v_cndmask_b32_e32 v4, 7, v4, vcc
	v_min_i32_e32 v1, 15, v16
	v_cmp_eq_u32_e32 vcc, 0, v16
	v_cmp_eq_u64_e64 s[28:29], 0, v[4:5]
	v_lshlrev_b32_e32 v1, 3, v1
	v_and_or_b32 v1, v4, 7, v1
	s_and_b64 s[28:29], vcc, s[28:29]
	v_cndmask_b32_e64 v1, v1, 0, s[28:29]
	v_or_b32_e32 v16, v1, v31
.LBB4_3979:                             ;   in Loop: Header=BB4_3455 Depth=3
	s_or_b64 exec, exec, s[68:69]
.LBB4_3980:                             ;   in Loop: Header=BB4_3455 Depth=3
	s_or_b64 exec, exec, s[66:67]
                                        ; implicit-def: $vgpr4
.LBB4_3981:                             ;   in Loop: Header=BB4_3455 Depth=3
	s_andn2_saveexec_b64 s[28:29], s[36:37]
; %bb.3982:                             ;   in Loop: Header=BB4_3455 Depth=3
	v_or_b32_sdwa v1, v4, s92 dst_sel:DWORD dst_unused:UNUSED_PAD src0_sel:BYTE_3 src1_sel:DWORD
	v_cmp_eq_u64_e32 vcc, 0, v[58:59]
	v_cndmask_b32_e32 v16, v1, v16, vcc
; %bb.3983:                             ;   in Loop: Header=BB4_3455 Depth=3
	s_or_b64 exec, exec, s[28:29]
	v_lshrrev_b32_e32 v4, 16, v13
	v_cmp_ne_u16_sdwa vcc, v4, v59 src0_sel:BYTE_0 src1_sel:DWORD
	v_mov_b32_e32 v5, 0
	v_mov_b32_e32 v31, 0
	s_and_saveexec_b64 s[28:29], vcc
	s_cbranch_execz .LBB4_3989
; %bb.3984:                             ;   in Loop: Header=BB4_3455 Depth=3
	v_cmp_ne_u16_sdwa vcc, v4, s91 src0_sel:BYTE_0 src1_sel:DWORD
	v_bfrev_b32_e32 v31, 1
	s_and_saveexec_b64 s[36:37], vcc
	s_cbranch_execz .LBB4_3988
; %bb.3985:                             ;   in Loop: Header=BB4_3455 Depth=3
	v_bfe_u32 v1, v13, 16, 7
	v_cmp_ne_u32_e32 vcc, s92, v1
	v_mov_b32_e32 v31, 0x7f800001
	s_and_saveexec_b64 s[66:67], vcc
	s_cbranch_execz .LBB4_3987
; %bb.3986:                             ;   in Loop: Header=BB4_3455 Depth=3
	v_and_b32_e32 v31, 7, v4
	v_ffbh_u32_e32 v32, v31
	v_min_u32_e32 v35, 32, v32
	v_subrev_u32_e32 v32, 28, v35
	v_lshlrev_b64 v[32:33], v32, v[4:5]
	v_lshrrev_b32_e32 v34, 3, v1
	v_sub_u32_e32 v33, 29, v35
	v_and_b32_e32 v32, 7, v32
	v_cmp_gt_u32_e32 vcc, 8, v1
	v_cndmask_b32_e32 v1, v34, v33, vcc
	v_cndmask_b32_e32 v31, v31, v32, vcc
	v_lshlrev_b32_e32 v4, 24, v4
	v_bfrev_b32_e32 v32, 60
	v_lshlrev_b32_e32 v31, 20, v31
	v_and_b32_e32 v4, 0x80000000, v4
	v_lshl_add_u32 v1, v1, 23, v32
	v_or3_b32 v31, v4, v1, v31
.LBB4_3987:                             ;   in Loop: Header=BB4_3455 Depth=3
	s_or_b64 exec, exec, s[66:67]
.LBB4_3988:                             ;   in Loop: Header=BB4_3455 Depth=3
	s_or_b64 exec, exec, s[36:37]
.LBB4_3989:                             ;   in Loop: Header=BB4_3455 Depth=3
	s_or_b64 exec, exec, s[28:29]
	v_lshrrev_b32_e32 v4, 16, v9
	v_cmp_ne_u16_sdwa vcc, v4, v59 src0_sel:BYTE_0 src1_sel:DWORD
	s_and_saveexec_b64 s[28:29], vcc
	s_cbranch_execz .LBB4_3995
; %bb.3990:                             ;   in Loop: Header=BB4_3455 Depth=3
	v_cmp_ne_u16_sdwa vcc, v4, s91 src0_sel:BYTE_0 src1_sel:DWORD
	v_bfrev_b32_e32 v5, 1
	s_and_saveexec_b64 s[36:37], vcc
	s_cbranch_execz .LBB4_3994
; %bb.3991:                             ;   in Loop: Header=BB4_3455 Depth=3
	v_bfe_u32 v1, v9, 16, 7
	v_cmp_ne_u32_e32 vcc, s92, v1
	v_mov_b32_e32 v5, 0x7f800001
	s_and_saveexec_b64 s[66:67], vcc
	s_cbranch_execz .LBB4_3993
; %bb.3992:                             ;   in Loop: Header=BB4_3455 Depth=3
	v_and_b32_e32 v32, 7, v4
	v_ffbh_u32_e32 v5, v32
	v_min_u32_e32 v34, 32, v5
	v_subrev_u32_e32 v5, 28, v34
	v_lshlrev_b64 v[4:5], v5, v[4:5]
	v_lshrrev_b32_e32 v33, 3, v1
	v_sub_u32_e32 v5, 29, v34
	v_and_b32_e32 v4, 7, v4
	v_cmp_gt_u32_e32 vcc, 8, v1
	v_cndmask_b32_e32 v1, v33, v5, vcc
	v_cndmask_b32_e32 v4, v32, v4, vcc
	v_lshlrev_b32_e32 v5, 8, v9
	v_bfrev_b32_e32 v32, 60
	v_lshlrev_b32_e32 v4, 20, v4
	v_and_b32_e32 v5, 0x80000000, v5
	v_lshl_add_u32 v1, v1, 23, v32
	v_or3_b32 v5, v5, v1, v4
.LBB4_3993:                             ;   in Loop: Header=BB4_3455 Depth=3
	s_or_b64 exec, exec, s[66:67]
.LBB4_3994:                             ;   in Loop: Header=BB4_3455 Depth=3
	s_or_b64 exec, exec, s[36:37]
.LBB4_3995:                             ;   in Loop: Header=BB4_3455 Depth=3
	s_or_b64 exec, exec, s[28:29]
	v_add_f32_e32 v4, v31, v5
	v_and_b32_sdwa v31, v4, s91 dst_sel:DWORD dst_unused:UNUSED_PAD src0_sel:BYTE_3 src1_sel:DWORD
	v_and_b32_e32 v32, 0x7f800000, v4
	v_mov_b32_e32 v33, v59
	v_and_b32_e32 v58, 0x7fffff, v4
	v_or_b32_e32 v42, 0x7e, v31
	v_cmp_ne_u64_e32 vcc, s[54:55], v[32:33]
	s_and_saveexec_b64 s[28:29], vcc
	s_xor_b64 s[36:37], exec, s[28:29]
	s_cbranch_execz .LBB4_4005
; %bb.3996:                             ;   in Loop: Header=BB4_3455 Depth=3
	v_and_b32_e32 v32, 0x7fffffff, v4
	v_mov_b32_e32 v33, v59
	v_cmp_gt_u64_e32 vcc, s[56:57], v[32:33]
	s_and_saveexec_b64 s[66:67], vcc
	s_cbranch_execz .LBB4_4004
; %bb.3997:                             ;   in Loop: Header=BB4_3455 Depth=3
	v_cmp_ne_u32_e32 vcc, 0, v4
	v_mov_b32_e32 v42, 0
	s_and_saveexec_b64 s[68:69], vcc
	s_cbranch_execz .LBB4_4003
; %bb.3998:                             ;   in Loop: Header=BB4_3455 Depth=3
	v_bfe_u32 v1, v4, 23, 8
	v_sub_u32_e32 v5, 0x79, v1
	v_cmp_gt_u32_e32 vcc, s93, v1
	v_add_u32_e32 v4, 0xffffff81, v1
	v_cndmask_b32_e32 v5, 0, v5, vcc
	v_cmp_eq_u32_e32 vcc, 0, v1
	v_mov_b32_e32 v1, 0xffffff82
	v_cndmask_b32_e32 v1, v4, v1, vcc
	v_mov_b32_e32 v4, 0x78
	v_or_b32_e32 v32, 0x800000, v58
	v_cndmask_b32_e32 v37, v5, v4, vcc
	v_cndmask_b32_e32 v58, v32, v58, vcc
	v_add_u32_e32 v4, 20, v37
	v_lshlrev_b64 v[4:5], v4, -1
	v_lshrrev_b64 v[34:35], v37, v[58:59]
	v_not_b32_e32 v5, v5
	v_not_b32_e32 v4, v4
	v_add_u32_e32 v32, 19, v37
	v_lshrrev_b32_e32 v54, 23, v34
	v_and_b32_e32 v5, 0, v5
	v_and_b32_e32 v4, v58, v4
	v_lshlrev_b64 v[32:33], v32, 1
	v_add3_u32 v42, v37, v1, v54
	v_bfe_u32 v1, v34, 20, 1
	v_add_u32_e32 v1, -1, v1
	v_cmp_eq_u64_e32 vcc, v[4:5], v[32:33]
	v_cndmask_b32_e32 v1, 0, v1, vcc
	v_add_u32_e32 v1, v1, v34
	v_and_b32_e32 v1, 0xfffff, v1
	v_add_co_u32_e32 v4, vcc, v1, v34
	v_add_u32_e32 v55, 6, v42
	v_addc_co_u32_e32 v5, vcc, 0, v35, vcc
	v_cmp_ne_u32_e32 vcc, 0, v55
                                        ; implicit-def: $vgpr54
	s_and_saveexec_b64 s[28:29], vcc
	s_xor_b64 s[28:29], exec, s[28:29]
; %bb.3999:                             ;   in Loop: Header=BB4_3455 Depth=3
	v_add_u32_e32 v1, 7, v42
	v_cmp_lt_u64_e32 vcc, s[58:59], v[4:5]
	v_cndmask_b32_e32 v54, v55, v1, vcc
	v_cndmask_b32_e64 v1, 0, 1, vcc
	v_lshrrev_b64 v[4:5], v1, v[4:5]
; %bb.4000:                             ;   in Loop: Header=BB4_3455 Depth=3
	s_andn2_saveexec_b64 s[28:29], s[28:29]
; %bb.4001:                             ;   in Loop: Header=BB4_3455 Depth=3
	v_bfe_u32 v54, v4, 23, 1
; %bb.4002:                             ;   in Loop: Header=BB4_3455 Depth=3
	s_or_b64 exec, exec, s[28:29]
	v_lshrrev_b64 v[4:5], 20, v[4:5]
	v_cmp_gt_i32_e32 vcc, 16, v54
	v_min_i32_e32 v1, 15, v54
	v_cndmask_b32_e32 v5, 0, v5, vcc
	v_cndmask_b32_e32 v4, 7, v4, vcc
	v_lshlrev_b32_e32 v1, 3, v1
	v_cmp_eq_u32_e32 vcc, 0, v54
	v_cmp_eq_u64_e64 s[28:29], 0, v[4:5]
	v_and_b32_e32 v1, 0xf8, v1
	v_and_or_b32 v1, v4, 7, v1
	s_and_b64 s[28:29], vcc, s[28:29]
	v_cndmask_b32_e64 v1, v1, 0, s[28:29]
	v_or_b32_e32 v42, v1, v31
.LBB4_4003:                             ;   in Loop: Header=BB4_3455 Depth=3
	s_or_b64 exec, exec, s[68:69]
.LBB4_4004:                             ;   in Loop: Header=BB4_3455 Depth=3
	s_or_b64 exec, exec, s[66:67]
                                        ; implicit-def: $vgpr4
.LBB4_4005:                             ;   in Loop: Header=BB4_3455 Depth=3
	s_andn2_saveexec_b64 s[28:29], s[36:37]
; %bb.4006:                             ;   in Loop: Header=BB4_3455 Depth=3
	v_or_b32_sdwa v1, v4, s92 dst_sel:DWORD dst_unused:UNUSED_PAD src0_sel:BYTE_3 src1_sel:DWORD
	v_cmp_eq_u64_e32 vcc, 0, v[58:59]
	v_cndmask_b32_e32 v42, v1, v42, vcc
; %bb.4007:                             ;   in Loop: Header=BB4_3455 Depth=3
	s_or_b64 exec, exec, s[28:29]
	v_cmp_lt_u64_e32 vcc, s[44:45], v[12:13]
	v_mov_b32_e32 v5, 0
	v_mov_b32_e32 v12, 0
	s_and_saveexec_b64 s[28:29], vcc
	s_cbranch_execz .LBB4_4013
; %bb.4008:                             ;   in Loop: Header=BB4_3455 Depth=3
	v_lshrrev_b32_e32 v4, 24, v13
	v_cmp_ne_u32_e32 vcc, s91, v4
	v_bfrev_b32_e32 v12, 1
	s_and_saveexec_b64 s[36:37], vcc
	s_cbranch_execz .LBB4_4012
; %bb.4009:                             ;   in Loop: Header=BB4_3455 Depth=3
	v_bfe_u32 v1, v13, 24, 7
	v_cmp_ne_u32_e32 vcc, s92, v1
	v_mov_b32_e32 v12, 0x7f800001
	s_and_saveexec_b64 s[66:67], vcc
	s_cbranch_execz .LBB4_4011
; %bb.4010:                             ;   in Loop: Header=BB4_3455 Depth=3
	v_and_b32_e32 v31, 7, v4
	v_ffbh_u32_e32 v12, v31
	v_min_u32_e32 v33, 32, v12
	v_subrev_u32_e32 v12, 28, v33
	v_lshlrev_b64 v[12:13], v12, v[4:5]
	v_lshrrev_b32_e32 v32, 3, v1
	v_sub_u32_e32 v13, 29, v33
	v_and_b32_e32 v12, 7, v12
	v_cmp_gt_u32_e32 vcc, 8, v1
	v_cndmask_b32_e32 v1, v32, v13, vcc
	v_cndmask_b32_e32 v12, v31, v12, vcc
	v_lshlrev_b32_e32 v4, 24, v4
	v_bfrev_b32_e32 v13, 60
	v_lshlrev_b32_e32 v12, 20, v12
	v_and_b32_e32 v4, 0x80000000, v4
	v_lshl_add_u32 v1, v1, 23, v13
	v_or3_b32 v12, v4, v1, v12
.LBB4_4011:                             ;   in Loop: Header=BB4_3455 Depth=3
	s_or_b64 exec, exec, s[66:67]
.LBB4_4012:                             ;   in Loop: Header=BB4_3455 Depth=3
	s_or_b64 exec, exec, s[36:37]
.LBB4_4013:                             ;   in Loop: Header=BB4_3455 Depth=3
	s_or_b64 exec, exec, s[28:29]
	v_cmp_lt_u64_e32 vcc, s[44:45], v[8:9]
	s_and_saveexec_b64 s[28:29], vcc
	s_cbranch_execz .LBB4_4019
; %bb.4014:                             ;   in Loop: Header=BB4_3455 Depth=3
	v_lshrrev_b32_e32 v4, 24, v9
	v_cmp_ne_u32_e32 vcc, s91, v4
	v_bfrev_b32_e32 v5, 1
	s_and_saveexec_b64 s[36:37], vcc
	s_cbranch_execz .LBB4_4018
; %bb.4015:                             ;   in Loop: Header=BB4_3455 Depth=3
	v_bfe_u32 v1, v9, 24, 7
	v_cmp_ne_u32_e32 vcc, s92, v1
	v_mov_b32_e32 v5, 0x7f800001
	s_and_saveexec_b64 s[66:67], vcc
	s_cbranch_execz .LBB4_4017
; %bb.4016:                             ;   in Loop: Header=BB4_3455 Depth=3
	v_and_b32_e32 v5, 7, v4
	v_ffbh_u32_e32 v8, v5
	v_min_u32_e32 v31, 32, v8
	v_subrev_u32_e32 v8, 28, v31
	v_lshlrev_b64 v[8:9], v8, v[4:5]
	v_lshrrev_b32_e32 v13, 3, v1
	v_sub_u32_e32 v9, 29, v31
	v_and_b32_e32 v8, 7, v8
	v_cmp_gt_u32_e32 vcc, 8, v1
	v_cndmask_b32_e32 v1, v13, v9, vcc
	v_cndmask_b32_e32 v5, v5, v8, vcc
	v_lshlrev_b32_e32 v4, 24, v4
	v_bfrev_b32_e32 v8, 60
	v_lshlrev_b32_e32 v5, 20, v5
	v_and_b32_e32 v4, 0x80000000, v4
	v_lshl_add_u32 v1, v1, 23, v8
	v_or3_b32 v5, v4, v1, v5
.LBB4_4017:                             ;   in Loop: Header=BB4_3455 Depth=3
	s_or_b64 exec, exec, s[66:67]
.LBB4_4018:                             ;   in Loop: Header=BB4_3455 Depth=3
	s_or_b64 exec, exec, s[36:37]
.LBB4_4019:                             ;   in Loop: Header=BB4_3455 Depth=3
	s_or_b64 exec, exec, s[28:29]
	v_add_f32_e32 v4, v12, v5
	v_and_b32_sdwa v8, v4, s91 dst_sel:DWORD dst_unused:UNUSED_PAD src0_sel:BYTE_3 src1_sel:DWORD
	v_and_b32_e32 v12, 0x7f800000, v4
	v_mov_b32_e32 v13, v59
	v_and_b32_e32 v58, 0x7fffff, v4
	v_or_b32_e32 v9, 0x7e, v8
	v_cmp_ne_u64_e32 vcc, s[54:55], v[12:13]
	s_and_saveexec_b64 s[28:29], vcc
	s_xor_b64 s[36:37], exec, s[28:29]
	s_cbranch_execz .LBB4_4029
; %bb.4020:                             ;   in Loop: Header=BB4_3455 Depth=3
	v_and_b32_e32 v12, 0x7fffffff, v4
	v_mov_b32_e32 v13, v59
	v_cmp_gt_u64_e32 vcc, s[56:57], v[12:13]
	s_and_saveexec_b64 s[66:67], vcc
	s_cbranch_execz .LBB4_4028
; %bb.4021:                             ;   in Loop: Header=BB4_3455 Depth=3
	v_cmp_ne_u32_e32 vcc, 0, v4
	v_mov_b32_e32 v9, 0
	s_and_saveexec_b64 s[68:69], vcc
	s_cbranch_execz .LBB4_4027
; %bb.4022:                             ;   in Loop: Header=BB4_3455 Depth=3
	v_bfe_u32 v1, v4, 23, 8
	v_sub_u32_e32 v5, 0x79, v1
	v_cmp_gt_u32_e32 vcc, s93, v1
	v_add_u32_e32 v4, 0xffffff81, v1
	v_cndmask_b32_e32 v5, 0, v5, vcc
	v_cmp_eq_u32_e32 vcc, 0, v1
	v_mov_b32_e32 v1, 0xffffff82
	v_cndmask_b32_e32 v1, v4, v1, vcc
	v_mov_b32_e32 v4, 0x78
	v_or_b32_e32 v9, 0x800000, v58
	v_cndmask_b32_e32 v12, v5, v4, vcc
	v_cndmask_b32_e32 v58, v9, v58, vcc
	v_add_u32_e32 v4, 20, v12
	v_lshlrev_b64 v[4:5], v4, -1
	v_add_u32_e32 v9, 19, v12
	v_lshrrev_b64 v[34:35], v12, v[58:59]
	v_not_b32_e32 v5, v5
	v_not_b32_e32 v4, v4
	v_lshlrev_b64 v[32:33], v9, 1
	v_lshrrev_b32_e32 v9, 23, v34
	v_and_b32_e32 v5, 0, v5
	v_and_b32_e32 v4, v58, v4
	v_add3_u32 v13, v12, v1, v9
	v_bfe_u32 v1, v34, 20, 1
	v_add_u32_e32 v1, -1, v1
	v_cmp_eq_u64_e32 vcc, v[4:5], v[32:33]
	v_cndmask_b32_e32 v1, 0, v1, vcc
	v_add_u32_e32 v1, v1, v34
	v_and_b32_e32 v1, 0xfffff, v1
	v_add_co_u32_e32 v4, vcc, v1, v34
	v_add_u32_e32 v12, 6, v13
	v_addc_co_u32_e32 v5, vcc, 0, v35, vcc
	v_cmp_ne_u32_e32 vcc, 0, v12
                                        ; implicit-def: $vgpr9
	s_and_saveexec_b64 s[28:29], vcc
	s_xor_b64 s[28:29], exec, s[28:29]
; %bb.4023:                             ;   in Loop: Header=BB4_3455 Depth=3
	v_add_u32_e32 v1, 7, v13
	v_cmp_lt_u64_e32 vcc, s[58:59], v[4:5]
	v_cndmask_b32_e32 v9, v12, v1, vcc
	v_cndmask_b32_e64 v1, 0, 1, vcc
	v_lshrrev_b64 v[4:5], v1, v[4:5]
; %bb.4024:                             ;   in Loop: Header=BB4_3455 Depth=3
	s_andn2_saveexec_b64 s[28:29], s[28:29]
; %bb.4025:                             ;   in Loop: Header=BB4_3455 Depth=3
	v_bfe_u32 v9, v4, 23, 1
; %bb.4026:                             ;   in Loop: Header=BB4_3455 Depth=3
	s_or_b64 exec, exec, s[28:29]
	v_lshrrev_b64 v[4:5], 20, v[4:5]
	v_cmp_gt_i32_e32 vcc, 16, v9
	v_min_i32_e32 v1, 15, v9
	v_cndmask_b32_e32 v5, 0, v5, vcc
	v_cndmask_b32_e32 v4, 7, v4, vcc
	v_lshlrev_b32_e32 v1, 3, v1
	v_cmp_eq_u32_e32 vcc, 0, v9
	v_cmp_eq_u64_e64 s[28:29], 0, v[4:5]
	v_and_b32_e32 v1, 0xf8, v1
	v_and_or_b32 v1, v4, 7, v1
	s_and_b64 s[28:29], vcc, s[28:29]
	v_cndmask_b32_e64 v1, v1, 0, s[28:29]
	v_or_b32_e32 v9, v1, v8
.LBB4_4027:                             ;   in Loop: Header=BB4_3455 Depth=3
	s_or_b64 exec, exec, s[68:69]
.LBB4_4028:                             ;   in Loop: Header=BB4_3455 Depth=3
	s_or_b64 exec, exec, s[66:67]
                                        ; implicit-def: $vgpr4
.LBB4_4029:                             ;   in Loop: Header=BB4_3455 Depth=3
	s_andn2_saveexec_b64 s[28:29], s[36:37]
; %bb.4030:                             ;   in Loop: Header=BB4_3455 Depth=3
	v_or_b32_sdwa v1, v4, s92 dst_sel:DWORD dst_unused:UNUSED_PAD src0_sel:BYTE_3 src1_sel:DWORD
	v_cmp_eq_u64_e32 vcc, 0, v[58:59]
	v_cndmask_b32_e32 v9, v1, v9, vcc
; %bb.4031:                             ;   in Loop: Header=BB4_3455 Depth=3
	s_or_b64 exec, exec, s[28:29]
	v_cmp_ne_u16_sdwa vcc, v14, v59 src0_sel:BYTE_0 src1_sel:DWORD
	v_mov_b32_e32 v4, 0
	v_mov_b32_e32 v5, 0
	s_and_saveexec_b64 s[28:29], vcc
	s_cbranch_execz .LBB4_4037
; %bb.4032:                             ;   in Loop: Header=BB4_3455 Depth=3
	v_cmp_ne_u16_sdwa vcc, v14, s91 src0_sel:BYTE_0 src1_sel:DWORD
	v_bfrev_b32_e32 v5, 1
	s_and_saveexec_b64 s[36:37], vcc
	s_cbranch_execz .LBB4_4036
; %bb.4033:                             ;   in Loop: Header=BB4_3455 Depth=3
	v_and_b32_e32 v1, 0x7f, v14
	v_cmp_ne_u32_e32 vcc, s92, v1
	v_mov_b32_e32 v5, 0x7f800001
	s_and_saveexec_b64 s[66:67], vcc
	s_cbranch_execz .LBB4_4035
; %bb.4034:                             ;   in Loop: Header=BB4_3455 Depth=3
	v_and_b32_e32 v5, 7, v14
	v_ffbh_u32_e32 v5, v5
	v_min_u32_e32 v5, 32, v5
	v_lshrrev_b32_e32 v8, 3, v1
	v_subrev_u32_e32 v12, 28, v5
	v_sub_u32_e32 v5, 29, v5
	v_cmp_gt_u32_e32 vcc, 8, v1
	v_cndmask_b32_e32 v1, v8, v5, vcc
	v_cndmask_b32_e32 v5, 0, v12, vcc
	v_lshlrev_b64 v[12:13], v5, v[14:15]
	v_lshlrev_b32_e32 v5, 20, v12
	v_lshlrev_b32_e32 v8, 24, v14
	v_bfrev_b32_e32 v12, 60
	v_and_b32_e32 v5, 0x700000, v5
	v_and_b32_e32 v8, 0x80000000, v8
	v_lshl_add_u32 v1, v1, 23, v12
	v_or3_b32 v5, v8, v1, v5
.LBB4_4035:                             ;   in Loop: Header=BB4_3455 Depth=3
	s_or_b64 exec, exec, s[66:67]
.LBB4_4036:                             ;   in Loop: Header=BB4_3455 Depth=3
	s_or_b64 exec, exec, s[36:37]
.LBB4_4037:                             ;   in Loop: Header=BB4_3455 Depth=3
	s_or_b64 exec, exec, s[28:29]
	v_cmp_ne_u16_sdwa vcc, v10, v59 src0_sel:BYTE_0 src1_sel:DWORD
	s_and_saveexec_b64 s[28:29], vcc
	s_cbranch_execz .LBB4_4043
; %bb.4038:                             ;   in Loop: Header=BB4_3455 Depth=3
	v_cmp_ne_u16_sdwa vcc, v10, s91 src0_sel:BYTE_0 src1_sel:DWORD
	v_bfrev_b32_e32 v4, 1
	s_and_saveexec_b64 s[36:37], vcc
	s_cbranch_execz .LBB4_4042
; %bb.4039:                             ;   in Loop: Header=BB4_3455 Depth=3
	v_and_b32_e32 v1, 0x7f, v10
	v_cmp_ne_u32_e32 vcc, s92, v1
	v_mov_b32_e32 v4, 0x7f800001
	s_and_saveexec_b64 s[66:67], vcc
	s_cbranch_execz .LBB4_4041
; %bb.4040:                             ;   in Loop: Header=BB4_3455 Depth=3
	v_and_b32_e32 v4, 7, v10
	v_ffbh_u32_e32 v4, v4
	v_min_u32_e32 v4, 32, v4
	v_lshrrev_b32_e32 v8, 3, v1
	v_subrev_u32_e32 v12, 28, v4
	v_sub_u32_e32 v4, 29, v4
	v_cmp_gt_u32_e32 vcc, 8, v1
	v_cndmask_b32_e32 v1, v8, v4, vcc
	v_cndmask_b32_e32 v4, 0, v12, vcc
	v_lshlrev_b64 v[12:13], v4, v[10:11]
	v_lshlrev_b32_e32 v4, 20, v12
	v_lshlrev_b32_e32 v8, 24, v10
	v_bfrev_b32_e32 v12, 60
	v_and_b32_e32 v4, 0x700000, v4
	v_and_b32_e32 v8, 0x80000000, v8
	v_lshl_add_u32 v1, v1, 23, v12
	v_or3_b32 v4, v8, v1, v4
.LBB4_4041:                             ;   in Loop: Header=BB4_3455 Depth=3
	s_or_b64 exec, exec, s[66:67]
.LBB4_4042:                             ;   in Loop: Header=BB4_3455 Depth=3
	s_or_b64 exec, exec, s[36:37]
.LBB4_4043:                             ;   in Loop: Header=BB4_3455 Depth=3
	s_or_b64 exec, exec, s[28:29]
	v_add_f32_e32 v4, v5, v4
	v_and_b32_sdwa v8, v4, s91 dst_sel:DWORD dst_unused:UNUSED_PAD src0_sel:BYTE_3 src1_sel:DWORD
	v_and_b32_e32 v32, 0x7f800000, v4
	v_mov_b32_e32 v33, v59
	v_and_b32_e32 v58, 0x7fffff, v4
	v_or_b32_e32 v12, 0x7e, v8
	v_cmp_ne_u64_e32 vcc, s[54:55], v[32:33]
	s_and_saveexec_b64 s[28:29], vcc
	s_xor_b64 s[36:37], exec, s[28:29]
	s_cbranch_execz .LBB4_4053
; %bb.4044:                             ;   in Loop: Header=BB4_3455 Depth=3
	v_and_b32_e32 v32, 0x7fffffff, v4
	v_mov_b32_e32 v33, v59
	v_cmp_gt_u64_e32 vcc, s[56:57], v[32:33]
	s_and_saveexec_b64 s[66:67], vcc
	s_cbranch_execz .LBB4_4052
; %bb.4045:                             ;   in Loop: Header=BB4_3455 Depth=3
	v_cmp_ne_u32_e32 vcc, 0, v4
	v_mov_b32_e32 v12, 0
	s_and_saveexec_b64 s[68:69], vcc
	s_cbranch_execz .LBB4_4051
; %bb.4046:                             ;   in Loop: Header=BB4_3455 Depth=3
	v_bfe_u32 v1, v4, 23, 8
	v_sub_u32_e32 v5, 0x79, v1
	v_cmp_gt_u32_e32 vcc, s93, v1
	v_add_u32_e32 v4, 0xffffff81, v1
	v_cndmask_b32_e32 v5, 0, v5, vcc
	v_cmp_eq_u32_e32 vcc, 0, v1
	v_mov_b32_e32 v1, 0xffffff82
	v_cndmask_b32_e32 v1, v4, v1, vcc
	v_mov_b32_e32 v4, 0x78
	v_or_b32_e32 v12, 0x800000, v58
	v_cndmask_b32_e32 v13, v5, v4, vcc
	v_cndmask_b32_e32 v58, v12, v58, vcc
	v_add_u32_e32 v4, 20, v13
	v_lshlrev_b64 v[4:5], v4, -1
	v_add_u32_e32 v12, 19, v13
	v_lshrrev_b64 v[34:35], v13, v[58:59]
	v_not_b32_e32 v5, v5
	v_not_b32_e32 v4, v4
	v_lshlrev_b64 v[32:33], v12, 1
	v_lshrrev_b32_e32 v12, 23, v34
	v_and_b32_e32 v5, 0, v5
	v_and_b32_e32 v4, v58, v4
	v_add3_u32 v31, v13, v1, v12
	v_bfe_u32 v1, v34, 20, 1
	v_add_u32_e32 v1, -1, v1
	v_cmp_eq_u64_e32 vcc, v[4:5], v[32:33]
	v_cndmask_b32_e32 v1, 0, v1, vcc
	v_add_u32_e32 v1, v1, v34
	v_and_b32_e32 v1, 0xfffff, v1
	v_add_co_u32_e32 v4, vcc, v1, v34
	v_add_u32_e32 v13, 6, v31
	v_addc_co_u32_e32 v5, vcc, 0, v35, vcc
	v_cmp_ne_u32_e32 vcc, 0, v13
                                        ; implicit-def: $vgpr12
	s_and_saveexec_b64 s[28:29], vcc
	s_xor_b64 s[28:29], exec, s[28:29]
; %bb.4047:                             ;   in Loop: Header=BB4_3455 Depth=3
	v_add_u32_e32 v1, 7, v31
	v_cmp_lt_u64_e32 vcc, s[58:59], v[4:5]
	v_cndmask_b32_e32 v12, v13, v1, vcc
	v_cndmask_b32_e64 v1, 0, 1, vcc
	v_lshrrev_b64 v[4:5], v1, v[4:5]
; %bb.4048:                             ;   in Loop: Header=BB4_3455 Depth=3
	s_andn2_saveexec_b64 s[28:29], s[28:29]
; %bb.4049:                             ;   in Loop: Header=BB4_3455 Depth=3
	v_bfe_u32 v12, v4, 23, 1
; %bb.4050:                             ;   in Loop: Header=BB4_3455 Depth=3
	s_or_b64 exec, exec, s[28:29]
	v_lshrrev_b64 v[4:5], 20, v[4:5]
	v_cmp_gt_i32_e32 vcc, 16, v12
	v_cndmask_b32_e32 v5, 0, v5, vcc
	v_cndmask_b32_e32 v4, 7, v4, vcc
	v_min_i32_e32 v1, 15, v12
	v_cmp_eq_u32_e32 vcc, 0, v12
	v_cmp_eq_u64_e64 s[28:29], 0, v[4:5]
	v_lshlrev_b32_e32 v1, 3, v1
	v_and_or_b32 v1, v4, 7, v1
	s_and_b64 s[28:29], vcc, s[28:29]
	v_cndmask_b32_e64 v1, v1, 0, s[28:29]
	v_or_b32_e32 v12, v1, v8
.LBB4_4051:                             ;   in Loop: Header=BB4_3455 Depth=3
	s_or_b64 exec, exec, s[68:69]
.LBB4_4052:                             ;   in Loop: Header=BB4_3455 Depth=3
	s_or_b64 exec, exec, s[66:67]
                                        ; implicit-def: $vgpr4
.LBB4_4053:                             ;   in Loop: Header=BB4_3455 Depth=3
	s_andn2_saveexec_b64 s[28:29], s[36:37]
; %bb.4054:                             ;   in Loop: Header=BB4_3455 Depth=3
	v_or_b32_sdwa v1, v4, s92 dst_sel:DWORD dst_unused:UNUSED_PAD src0_sel:BYTE_3 src1_sel:DWORD
	v_cmp_eq_u64_e32 vcc, 0, v[58:59]
	v_cndmask_b32_e32 v12, v1, v12, vcc
; %bb.4055:                             ;   in Loop: Header=BB4_3455 Depth=3
	s_or_b64 exec, exec, s[28:29]
	v_lshrrev_b16_e32 v4, 8, v14
	v_cmp_ne_u16_e32 vcc, 0, v4
	v_mov_b32_e32 v5, 0
	v_mov_b32_e32 v8, 0
	s_and_saveexec_b64 s[28:29], vcc
	s_cbranch_execz .LBB4_4061
; %bb.4056:                             ;   in Loop: Header=BB4_3455 Depth=3
	v_cmp_ne_u16_e32 vcc, s91, v4
	v_bfrev_b32_e32 v8, 1
	s_and_saveexec_b64 s[36:37], vcc
	s_cbranch_execz .LBB4_4060
; %bb.4057:                             ;   in Loop: Header=BB4_3455 Depth=3
	v_and_b32_e32 v1, 0x7f, v4
	v_cmp_ne_u32_e32 vcc, s92, v1
	v_mov_b32_e32 v8, 0x7f800001
	s_and_saveexec_b64 s[66:67], vcc
	s_cbranch_execz .LBB4_4059
; %bb.4058:                             ;   in Loop: Header=BB4_3455 Depth=3
	v_and_b32_e32 v8, 7, v4
	v_ffbh_u32_e32 v31, v8
	v_min_u32_e32 v31, 32, v31
	v_subrev_u32_e32 v32, 28, v31
	v_lshlrev_b64 v[32:33], v32, v[4:5]
	v_lshrrev_b32_e32 v13, 3, v1
	v_sub_u32_e32 v4, 29, v31
	v_and_b32_e32 v31, 7, v32
	v_cmp_gt_u32_e32 vcc, 8, v1
	v_cndmask_b32_e32 v1, v13, v4, vcc
	v_cndmask_b32_e32 v4, v8, v31, vcc
	v_lshlrev_b32_e32 v8, 16, v14
	v_bfrev_b32_e32 v13, 60
	v_lshlrev_b32_e32 v4, 20, v4
	v_and_b32_e32 v8, 0x80000000, v8
	v_lshl_add_u32 v1, v1, 23, v13
	v_or3_b32 v8, v8, v1, v4
.LBB4_4059:                             ;   in Loop: Header=BB4_3455 Depth=3
	s_or_b64 exec, exec, s[66:67]
.LBB4_4060:                             ;   in Loop: Header=BB4_3455 Depth=3
	s_or_b64 exec, exec, s[36:37]
.LBB4_4061:                             ;   in Loop: Header=BB4_3455 Depth=3
	s_or_b64 exec, exec, s[28:29]
	v_lshrrev_b16_e32 v4, 8, v10
	v_cmp_ne_u16_e32 vcc, 0, v4
	s_and_saveexec_b64 s[28:29], vcc
	s_cbranch_execz .LBB4_4067
; %bb.4062:                             ;   in Loop: Header=BB4_3455 Depth=3
	v_cmp_ne_u16_e32 vcc, s91, v4
	v_bfrev_b32_e32 v5, 1
	s_and_saveexec_b64 s[36:37], vcc
	s_cbranch_execz .LBB4_4066
; %bb.4063:                             ;   in Loop: Header=BB4_3455 Depth=3
	v_and_b32_e32 v1, 0x7f, v4
	v_cmp_ne_u32_e32 vcc, s92, v1
	v_mov_b32_e32 v5, 0x7f800001
	s_and_saveexec_b64 s[66:67], vcc
	s_cbranch_execz .LBB4_4065
; %bb.4064:                             ;   in Loop: Header=BB4_3455 Depth=3
	v_and_b32_e32 v13, 7, v4
	v_ffbh_u32_e32 v5, v13
	v_min_u32_e32 v32, 32, v5
	v_subrev_u32_e32 v5, 28, v32
	v_lshlrev_b64 v[4:5], v5, v[4:5]
	v_lshrrev_b32_e32 v31, 3, v1
	v_sub_u32_e32 v5, 29, v32
	v_and_b32_e32 v4, 7, v4
	v_cmp_gt_u32_e32 vcc, 8, v1
	v_cndmask_b32_e32 v1, v31, v5, vcc
	v_cndmask_b32_e32 v4, v13, v4, vcc
	v_lshlrev_b32_e32 v5, 16, v10
	v_bfrev_b32_e32 v13, 60
	v_lshlrev_b32_e32 v4, 20, v4
	v_and_b32_e32 v5, 0x80000000, v5
	v_lshl_add_u32 v1, v1, 23, v13
	v_or3_b32 v5, v5, v1, v4
.LBB4_4065:                             ;   in Loop: Header=BB4_3455 Depth=3
	s_or_b64 exec, exec, s[66:67]
.LBB4_4066:                             ;   in Loop: Header=BB4_3455 Depth=3
	s_or_b64 exec, exec, s[36:37]
.LBB4_4067:                             ;   in Loop: Header=BB4_3455 Depth=3
	s_or_b64 exec, exec, s[28:29]
	v_add_f32_e32 v4, v8, v5
	v_and_b32_sdwa v8, v4, s91 dst_sel:DWORD dst_unused:UNUSED_PAD src0_sel:BYTE_3 src1_sel:DWORD
	v_and_b32_e32 v32, 0x7f800000, v4
	v_mov_b32_e32 v33, v59
	v_and_b32_e32 v58, 0x7fffff, v4
	v_or_b32_e32 v13, 0x7e, v8
	v_cmp_ne_u64_e32 vcc, s[54:55], v[32:33]
	s_and_saveexec_b64 s[28:29], vcc
	s_xor_b64 s[36:37], exec, s[28:29]
	s_cbranch_execz .LBB4_4077
; %bb.4068:                             ;   in Loop: Header=BB4_3455 Depth=3
	v_and_b32_e32 v32, 0x7fffffff, v4
	v_mov_b32_e32 v33, v59
	v_cmp_gt_u64_e32 vcc, s[56:57], v[32:33]
	s_and_saveexec_b64 s[66:67], vcc
	s_cbranch_execz .LBB4_4076
; %bb.4069:                             ;   in Loop: Header=BB4_3455 Depth=3
	v_cmp_ne_u32_e32 vcc, 0, v4
	v_mov_b32_e32 v13, 0
	s_and_saveexec_b64 s[68:69], vcc
	s_cbranch_execz .LBB4_4075
; %bb.4070:                             ;   in Loop: Header=BB4_3455 Depth=3
	v_bfe_u32 v1, v4, 23, 8
	v_sub_u32_e32 v5, 0x79, v1
	v_cmp_gt_u32_e32 vcc, s93, v1
	v_add_u32_e32 v4, 0xffffff81, v1
	v_cndmask_b32_e32 v5, 0, v5, vcc
	v_cmp_eq_u32_e32 vcc, 0, v1
	v_mov_b32_e32 v1, 0xffffff82
	v_cndmask_b32_e32 v1, v4, v1, vcc
	v_mov_b32_e32 v4, 0x78
	v_or_b32_e32 v13, 0x800000, v58
	v_cndmask_b32_e32 v31, v5, v4, vcc
	v_cndmask_b32_e32 v58, v13, v58, vcc
	v_add_u32_e32 v4, 20, v31
	v_lshlrev_b64 v[4:5], v4, -1
	v_add_u32_e32 v13, 19, v31
	v_lshrrev_b64 v[34:35], v31, v[58:59]
	v_not_b32_e32 v5, v5
	v_not_b32_e32 v4, v4
	v_lshlrev_b64 v[32:33], v13, 1
	v_lshrrev_b32_e32 v13, 23, v34
	v_and_b32_e32 v5, 0, v5
	v_and_b32_e32 v4, v58, v4
	v_add3_u32 v54, v31, v1, v13
	v_bfe_u32 v1, v34, 20, 1
	v_add_u32_e32 v1, -1, v1
	v_cmp_eq_u64_e32 vcc, v[4:5], v[32:33]
	v_cndmask_b32_e32 v1, 0, v1, vcc
	v_add_u32_e32 v1, v1, v34
	v_and_b32_e32 v1, 0xfffff, v1
	v_add_co_u32_e32 v4, vcc, v1, v34
	v_add_u32_e32 v31, 6, v54
	v_addc_co_u32_e32 v5, vcc, 0, v35, vcc
	v_cmp_ne_u32_e32 vcc, 0, v31
                                        ; implicit-def: $vgpr13
	s_and_saveexec_b64 s[28:29], vcc
	s_xor_b64 s[28:29], exec, s[28:29]
; %bb.4071:                             ;   in Loop: Header=BB4_3455 Depth=3
	v_add_u32_e32 v1, 7, v54
	v_cmp_lt_u64_e32 vcc, s[58:59], v[4:5]
	v_cndmask_b32_e32 v13, v31, v1, vcc
	v_cndmask_b32_e64 v1, 0, 1, vcc
	v_lshrrev_b64 v[4:5], v1, v[4:5]
; %bb.4072:                             ;   in Loop: Header=BB4_3455 Depth=3
	s_andn2_saveexec_b64 s[28:29], s[28:29]
; %bb.4073:                             ;   in Loop: Header=BB4_3455 Depth=3
	v_bfe_u32 v13, v4, 23, 1
; %bb.4074:                             ;   in Loop: Header=BB4_3455 Depth=3
	s_or_b64 exec, exec, s[28:29]
	v_lshrrev_b64 v[4:5], 20, v[4:5]
	v_cmp_gt_i32_e32 vcc, 16, v13
	v_cndmask_b32_e32 v5, 0, v5, vcc
	v_cndmask_b32_e32 v4, 7, v4, vcc
	v_min_i32_e32 v1, 15, v13
	v_cmp_eq_u32_e32 vcc, 0, v13
	v_cmp_eq_u64_e64 s[28:29], 0, v[4:5]
	v_lshlrev_b32_e32 v1, 3, v1
	v_and_or_b32 v1, v4, 7, v1
	s_and_b64 s[28:29], vcc, s[28:29]
	v_cndmask_b32_e64 v1, v1, 0, s[28:29]
	v_or_b32_e32 v13, v1, v8
.LBB4_4075:                             ;   in Loop: Header=BB4_3455 Depth=3
	s_or_b64 exec, exec, s[68:69]
.LBB4_4076:                             ;   in Loop: Header=BB4_3455 Depth=3
	s_or_b64 exec, exec, s[66:67]
                                        ; implicit-def: $vgpr4
.LBB4_4077:                             ;   in Loop: Header=BB4_3455 Depth=3
	s_andn2_saveexec_b64 s[28:29], s[36:37]
; %bb.4078:                             ;   in Loop: Header=BB4_3455 Depth=3
	v_or_b32_sdwa v1, v4, s92 dst_sel:DWORD dst_unused:UNUSED_PAD src0_sel:BYTE_3 src1_sel:DWORD
	v_cmp_eq_u64_e32 vcc, 0, v[58:59]
	v_cndmask_b32_e32 v13, v1, v13, vcc
; %bb.4079:                             ;   in Loop: Header=BB4_3455 Depth=3
	s_or_b64 exec, exec, s[28:29]
	v_lshrrev_b32_e32 v4, 16, v14
	v_cmp_ne_u16_sdwa vcc, v4, v59 src0_sel:BYTE_0 src1_sel:DWORD
	v_mov_b32_e32 v5, 0
	v_mov_b32_e32 v8, 0
	s_and_saveexec_b64 s[28:29], vcc
	s_cbranch_execz .LBB4_4085
; %bb.4080:                             ;   in Loop: Header=BB4_3455 Depth=3
	v_cmp_ne_u16_sdwa vcc, v4, s91 src0_sel:BYTE_0 src1_sel:DWORD
	v_bfrev_b32_e32 v8, 1
	s_and_saveexec_b64 s[36:37], vcc
	s_cbranch_execz .LBB4_4084
; %bb.4081:                             ;   in Loop: Header=BB4_3455 Depth=3
	v_bfe_u32 v1, v14, 16, 7
	v_cmp_ne_u32_e32 vcc, s92, v1
	v_mov_b32_e32 v8, 0x7f800001
	s_and_saveexec_b64 s[66:67], vcc
	s_cbranch_execz .LBB4_4083
; %bb.4082:                             ;   in Loop: Header=BB4_3455 Depth=3
	v_and_b32_e32 v8, 7, v4
	v_ffbh_u32_e32 v32, v8
	v_min_u32_e32 v34, 32, v32
	v_subrev_u32_e32 v32, 28, v34
	v_lshlrev_b64 v[32:33], v32, v[4:5]
	v_lshrrev_b32_e32 v31, 3, v1
	v_sub_u32_e32 v33, 29, v34
	v_and_b32_e32 v32, 7, v32
	v_cmp_gt_u32_e32 vcc, 8, v1
	v_cndmask_b32_e32 v1, v31, v33, vcc
	v_cndmask_b32_e32 v8, v8, v32, vcc
	v_lshlrev_b32_e32 v4, 24, v4
	v_bfrev_b32_e32 v31, 60
	v_lshlrev_b32_e32 v8, 20, v8
	v_and_b32_e32 v4, 0x80000000, v4
	v_lshl_add_u32 v1, v1, 23, v31
	v_or3_b32 v8, v4, v1, v8
.LBB4_4083:                             ;   in Loop: Header=BB4_3455 Depth=3
	s_or_b64 exec, exec, s[66:67]
.LBB4_4084:                             ;   in Loop: Header=BB4_3455 Depth=3
	s_or_b64 exec, exec, s[36:37]
.LBB4_4085:                             ;   in Loop: Header=BB4_3455 Depth=3
	s_or_b64 exec, exec, s[28:29]
	v_lshrrev_b32_e32 v4, 16, v10
	v_cmp_ne_u16_sdwa vcc, v4, v59 src0_sel:BYTE_0 src1_sel:DWORD
	s_and_saveexec_b64 s[28:29], vcc
	s_cbranch_execz .LBB4_4091
; %bb.4086:                             ;   in Loop: Header=BB4_3455 Depth=3
	v_cmp_ne_u16_sdwa vcc, v4, s91 src0_sel:BYTE_0 src1_sel:DWORD
	v_bfrev_b32_e32 v5, 1
	s_and_saveexec_b64 s[36:37], vcc
	s_cbranch_execz .LBB4_4090
; %bb.4087:                             ;   in Loop: Header=BB4_3455 Depth=3
	v_bfe_u32 v1, v10, 16, 7
	v_cmp_ne_u32_e32 vcc, s92, v1
	v_mov_b32_e32 v5, 0x7f800001
	s_and_saveexec_b64 s[66:67], vcc
	s_cbranch_execz .LBB4_4089
; %bb.4088:                             ;   in Loop: Header=BB4_3455 Depth=3
	v_and_b32_e32 v31, 7, v4
	v_ffbh_u32_e32 v5, v31
	v_min_u32_e32 v33, 32, v5
	v_subrev_u32_e32 v5, 28, v33
	v_lshlrev_b64 v[4:5], v5, v[4:5]
	v_lshrrev_b32_e32 v32, 3, v1
	v_sub_u32_e32 v5, 29, v33
	v_and_b32_e32 v4, 7, v4
	v_cmp_gt_u32_e32 vcc, 8, v1
	v_cndmask_b32_e32 v1, v32, v5, vcc
	v_cndmask_b32_e32 v4, v31, v4, vcc
	v_lshlrev_b32_e32 v5, 8, v10
	v_bfrev_b32_e32 v31, 60
	v_lshlrev_b32_e32 v4, 20, v4
	v_and_b32_e32 v5, 0x80000000, v5
	v_lshl_add_u32 v1, v1, 23, v31
	v_or3_b32 v5, v5, v1, v4
.LBB4_4089:                             ;   in Loop: Header=BB4_3455 Depth=3
	s_or_b64 exec, exec, s[66:67]
.LBB4_4090:                             ;   in Loop: Header=BB4_3455 Depth=3
	s_or_b64 exec, exec, s[36:37]
.LBB4_4091:                             ;   in Loop: Header=BB4_3455 Depth=3
	s_or_b64 exec, exec, s[28:29]
	v_add_f32_e32 v4, v8, v5
	v_and_b32_sdwa v8, v4, s91 dst_sel:DWORD dst_unused:UNUSED_PAD src0_sel:BYTE_3 src1_sel:DWORD
	v_and_b32_e32 v32, 0x7f800000, v4
	v_mov_b32_e32 v33, v59
	v_and_b32_e32 v58, 0x7fffff, v4
	v_or_b32_e32 v54, 0x7e, v8
	v_cmp_ne_u64_e32 vcc, s[54:55], v[32:33]
	s_and_saveexec_b64 s[28:29], vcc
	s_xor_b64 s[36:37], exec, s[28:29]
	s_cbranch_execz .LBB4_4101
; %bb.4092:                             ;   in Loop: Header=BB4_3455 Depth=3
	v_and_b32_e32 v32, 0x7fffffff, v4
	v_mov_b32_e32 v33, v59
	v_cmp_gt_u64_e32 vcc, s[56:57], v[32:33]
	s_and_saveexec_b64 s[66:67], vcc
	s_cbranch_execz .LBB4_4100
; %bb.4093:                             ;   in Loop: Header=BB4_3455 Depth=3
	v_cmp_ne_u32_e32 vcc, 0, v4
	v_mov_b32_e32 v54, 0
	s_and_saveexec_b64 s[68:69], vcc
	s_cbranch_execz .LBB4_4099
; %bb.4094:                             ;   in Loop: Header=BB4_3455 Depth=3
	v_bfe_u32 v1, v4, 23, 8
	v_sub_u32_e32 v5, 0x79, v1
	v_cmp_gt_u32_e32 vcc, s93, v1
	v_add_u32_e32 v4, 0xffffff81, v1
	v_cndmask_b32_e32 v5, 0, v5, vcc
	v_cmp_eq_u32_e32 vcc, 0, v1
	v_mov_b32_e32 v1, 0xffffff82
	v_cndmask_b32_e32 v1, v4, v1, vcc
	v_mov_b32_e32 v4, 0x78
	v_or_b32_e32 v31, 0x800000, v58
	v_cndmask_b32_e32 v37, v5, v4, vcc
	v_cndmask_b32_e32 v58, v31, v58, vcc
	v_add_u32_e32 v4, 20, v37
	v_lshlrev_b64 v[4:5], v4, -1
	v_add_u32_e32 v31, 19, v37
	v_lshrrev_b64 v[34:35], v37, v[58:59]
	v_not_b32_e32 v5, v5
	v_not_b32_e32 v4, v4
	v_lshlrev_b64 v[32:33], v31, 1
	v_lshrrev_b32_e32 v31, 23, v34
	v_and_b32_e32 v5, 0, v5
	v_and_b32_e32 v4, v58, v4
	v_add3_u32 v55, v37, v1, v31
	v_bfe_u32 v1, v34, 20, 1
	v_add_u32_e32 v1, -1, v1
	v_cmp_eq_u64_e32 vcc, v[4:5], v[32:33]
	v_cndmask_b32_e32 v1, 0, v1, vcc
	v_add_u32_e32 v1, v1, v34
	v_and_b32_e32 v1, 0xfffff, v1
	v_add_co_u32_e32 v4, vcc, v1, v34
	v_add_u32_e32 v54, 6, v55
	v_addc_co_u32_e32 v5, vcc, 0, v35, vcc
	v_cmp_ne_u32_e32 vcc, 0, v54
                                        ; implicit-def: $vgpr31
	s_and_saveexec_b64 s[28:29], vcc
	s_xor_b64 s[28:29], exec, s[28:29]
; %bb.4095:                             ;   in Loop: Header=BB4_3455 Depth=3
	v_add_u32_e32 v1, 7, v55
	v_cmp_lt_u64_e32 vcc, s[58:59], v[4:5]
	v_cndmask_b32_e32 v31, v54, v1, vcc
	v_cndmask_b32_e64 v1, 0, 1, vcc
	v_lshrrev_b64 v[4:5], v1, v[4:5]
; %bb.4096:                             ;   in Loop: Header=BB4_3455 Depth=3
	s_andn2_saveexec_b64 s[28:29], s[28:29]
; %bb.4097:                             ;   in Loop: Header=BB4_3455 Depth=3
	v_bfe_u32 v31, v4, 23, 1
; %bb.4098:                             ;   in Loop: Header=BB4_3455 Depth=3
	s_or_b64 exec, exec, s[28:29]
	v_lshrrev_b64 v[4:5], 20, v[4:5]
	v_cmp_gt_i32_e32 vcc, 16, v31
	v_cndmask_b32_e32 v5, 0, v5, vcc
	v_cndmask_b32_e32 v4, 7, v4, vcc
	v_min_i32_e32 v1, 15, v31
	v_cmp_eq_u32_e32 vcc, 0, v31
	v_cmp_eq_u64_e64 s[28:29], 0, v[4:5]
	v_lshlrev_b32_e32 v1, 3, v1
	v_and_or_b32 v1, v4, 7, v1
	s_and_b64 s[28:29], vcc, s[28:29]
	v_cndmask_b32_e64 v1, v1, 0, s[28:29]
	v_or_b32_e32 v54, v1, v8
.LBB4_4099:                             ;   in Loop: Header=BB4_3455 Depth=3
	s_or_b64 exec, exec, s[68:69]
.LBB4_4100:                             ;   in Loop: Header=BB4_3455 Depth=3
	s_or_b64 exec, exec, s[66:67]
                                        ; implicit-def: $vgpr4
.LBB4_4101:                             ;   in Loop: Header=BB4_3455 Depth=3
	s_andn2_saveexec_b64 s[28:29], s[36:37]
; %bb.4102:                             ;   in Loop: Header=BB4_3455 Depth=3
	v_or_b32_sdwa v1, v4, s92 dst_sel:DWORD dst_unused:UNUSED_PAD src0_sel:BYTE_3 src1_sel:DWORD
	v_cmp_eq_u64_e32 vcc, 0, v[58:59]
	v_cndmask_b32_e32 v54, v1, v54, vcc
; %bb.4103:                             ;   in Loop: Header=BB4_3455 Depth=3
	s_or_b64 exec, exec, s[28:29]
	v_cmp_lt_u32_e32 vcc, s45, v14
	v_mov_b32_e32 v5, 0
	v_mov_b32_e32 v8, 0
	s_and_saveexec_b64 s[28:29], vcc
	s_cbranch_execz .LBB4_4109
; %bb.4104:                             ;   in Loop: Header=BB4_3455 Depth=3
	v_lshrrev_b32_e32 v4, 24, v14
	v_cmp_ne_u32_e32 vcc, s91, v4
	v_bfrev_b32_e32 v8, 1
	s_and_saveexec_b64 s[36:37], vcc
	s_cbranch_execz .LBB4_4108
; %bb.4105:                             ;   in Loop: Header=BB4_3455 Depth=3
	v_bfe_u32 v1, v14, 24, 7
	v_cmp_ne_u32_e32 vcc, s92, v1
	v_mov_b32_e32 v8, 0x7f800001
	s_and_saveexec_b64 s[66:67], vcc
	s_cbranch_execz .LBB4_4107
; %bb.4106:                             ;   in Loop: Header=BB4_3455 Depth=3
	v_and_b32_e32 v8, 7, v4
	v_ffbh_u32_e32 v32, v8
	v_min_u32_e32 v34, 32, v32
	v_subrev_u32_e32 v32, 28, v34
	v_lshlrev_b64 v[32:33], v32, v[4:5]
	v_lshrrev_b32_e32 v31, 3, v1
	v_sub_u32_e32 v33, 29, v34
	v_and_b32_e32 v32, 7, v32
	v_cmp_gt_u32_e32 vcc, 8, v1
	v_cndmask_b32_e32 v1, v31, v33, vcc
	v_cndmask_b32_e32 v8, v8, v32, vcc
	v_lshlrev_b32_e32 v4, 24, v4
	v_bfrev_b32_e32 v31, 60
	v_lshlrev_b32_e32 v8, 20, v8
	v_and_b32_e32 v4, 0x80000000, v4
	v_lshl_add_u32 v1, v1, 23, v31
	v_or3_b32 v8, v4, v1, v8
.LBB4_4107:                             ;   in Loop: Header=BB4_3455 Depth=3
	s_or_b64 exec, exec, s[66:67]
.LBB4_4108:                             ;   in Loop: Header=BB4_3455 Depth=3
	s_or_b64 exec, exec, s[36:37]
.LBB4_4109:                             ;   in Loop: Header=BB4_3455 Depth=3
	s_or_b64 exec, exec, s[28:29]
	v_cmp_lt_u32_e32 vcc, s45, v10
	s_and_saveexec_b64 s[28:29], vcc
	s_cbranch_execz .LBB4_4115
; %bb.4110:                             ;   in Loop: Header=BB4_3455 Depth=3
	v_lshrrev_b32_e32 v4, 24, v10
	v_cmp_ne_u32_e32 vcc, s91, v4
	v_bfrev_b32_e32 v5, 1
	s_and_saveexec_b64 s[36:37], vcc
	s_cbranch_execz .LBB4_4114
; %bb.4111:                             ;   in Loop: Header=BB4_3455 Depth=3
	v_bfe_u32 v1, v10, 24, 7
	v_cmp_ne_u32_e32 vcc, s92, v1
	v_mov_b32_e32 v5, 0x7f800001
	s_and_saveexec_b64 s[66:67], vcc
	s_cbranch_execz .LBB4_4113
; %bb.4112:                             ;   in Loop: Header=BB4_3455 Depth=3
	v_and_b32_e32 v5, 7, v4
	v_ffbh_u32_e32 v32, v5
	v_min_u32_e32 v34, 32, v32
	v_subrev_u32_e32 v32, 28, v34
	v_lshlrev_b64 v[32:33], v32, v[4:5]
	v_lshrrev_b32_e32 v31, 3, v1
	v_sub_u32_e32 v33, 29, v34
	v_and_b32_e32 v32, 7, v32
	v_cmp_gt_u32_e32 vcc, 8, v1
	v_cndmask_b32_e32 v1, v31, v33, vcc
	v_cndmask_b32_e32 v5, v5, v32, vcc
	v_lshlrev_b32_e32 v4, 24, v4
	v_bfrev_b32_e32 v31, 60
	v_lshlrev_b32_e32 v5, 20, v5
	v_and_b32_e32 v4, 0x80000000, v4
	v_lshl_add_u32 v1, v1, 23, v31
	v_or3_b32 v5, v4, v1, v5
.LBB4_4113:                             ;   in Loop: Header=BB4_3455 Depth=3
	s_or_b64 exec, exec, s[66:67]
.LBB4_4114:                             ;   in Loop: Header=BB4_3455 Depth=3
	s_or_b64 exec, exec, s[36:37]
.LBB4_4115:                             ;   in Loop: Header=BB4_3455 Depth=3
	s_or_b64 exec, exec, s[28:29]
	v_add_f32_e32 v4, v8, v5
	v_and_b32_sdwa v8, v4, s91 dst_sel:DWORD dst_unused:UNUSED_PAD src0_sel:BYTE_3 src1_sel:DWORD
	v_and_b32_e32 v32, 0x7f800000, v4
	v_mov_b32_e32 v33, v59
	v_and_b32_e32 v58, 0x7fffff, v4
	v_or_b32_e32 v56, 0x7e, v8
	v_cmp_ne_u64_e32 vcc, s[54:55], v[32:33]
	s_and_saveexec_b64 s[28:29], vcc
	s_xor_b64 s[36:37], exec, s[28:29]
	s_cbranch_execz .LBB4_4125
; %bb.4116:                             ;   in Loop: Header=BB4_3455 Depth=3
	v_and_b32_e32 v32, 0x7fffffff, v4
	v_mov_b32_e32 v33, v59
	v_cmp_gt_u64_e32 vcc, s[56:57], v[32:33]
	s_and_saveexec_b64 s[66:67], vcc
	s_cbranch_execz .LBB4_4124
; %bb.4117:                             ;   in Loop: Header=BB4_3455 Depth=3
	v_cmp_ne_u32_e32 vcc, 0, v4
	v_mov_b32_e32 v56, 0
	s_and_saveexec_b64 s[68:69], vcc
	s_cbranch_execz .LBB4_4123
; %bb.4118:                             ;   in Loop: Header=BB4_3455 Depth=3
	v_bfe_u32 v1, v4, 23, 8
	v_sub_u32_e32 v5, 0x79, v1
	v_cmp_gt_u32_e32 vcc, s93, v1
	v_add_u32_e32 v4, 0xffffff81, v1
	v_cndmask_b32_e32 v5, 0, v5, vcc
	v_cmp_eq_u32_e32 vcc, 0, v1
	v_mov_b32_e32 v1, 0xffffff82
	v_cndmask_b32_e32 v1, v4, v1, vcc
	v_mov_b32_e32 v4, 0x78
	v_or_b32_e32 v31, 0x800000, v58
	v_cndmask_b32_e32 v37, v5, v4, vcc
	v_cndmask_b32_e32 v58, v31, v58, vcc
	v_add_u32_e32 v4, 20, v37
	v_lshlrev_b64 v[4:5], v4, -1
	v_add_u32_e32 v31, 19, v37
	v_lshrrev_b64 v[34:35], v37, v[58:59]
	v_not_b32_e32 v5, v5
	v_not_b32_e32 v4, v4
	v_lshlrev_b64 v[32:33], v31, 1
	v_lshrrev_b32_e32 v31, 23, v34
	v_and_b32_e32 v5, 0, v5
	v_and_b32_e32 v4, v58, v4
	v_add3_u32 v46, v37, v1, v31
	v_bfe_u32 v1, v34, 20, 1
	v_add_u32_e32 v1, -1, v1
	v_cmp_eq_u64_e32 vcc, v[4:5], v[32:33]
	v_cndmask_b32_e32 v1, 0, v1, vcc
	v_add_u32_e32 v1, v1, v34
	v_and_b32_e32 v1, 0xfffff, v1
	v_add_co_u32_e32 v4, vcc, v1, v34
	v_add_u32_e32 v55, 6, v46
	v_addc_co_u32_e32 v5, vcc, 0, v35, vcc
	v_cmp_ne_u32_e32 vcc, 0, v55
                                        ; implicit-def: $vgpr31
	s_and_saveexec_b64 s[28:29], vcc
	s_xor_b64 s[28:29], exec, s[28:29]
; %bb.4119:                             ;   in Loop: Header=BB4_3455 Depth=3
	v_add_u32_e32 v1, 7, v46
	v_cmp_lt_u64_e32 vcc, s[58:59], v[4:5]
	v_cndmask_b32_e32 v31, v55, v1, vcc
	v_cndmask_b32_e64 v1, 0, 1, vcc
	v_lshrrev_b64 v[4:5], v1, v[4:5]
; %bb.4120:                             ;   in Loop: Header=BB4_3455 Depth=3
	s_andn2_saveexec_b64 s[28:29], s[28:29]
; %bb.4121:                             ;   in Loop: Header=BB4_3455 Depth=3
	v_bfe_u32 v31, v4, 23, 1
; %bb.4122:                             ;   in Loop: Header=BB4_3455 Depth=3
	s_or_b64 exec, exec, s[28:29]
	v_lshrrev_b64 v[4:5], 20, v[4:5]
	v_cmp_gt_i32_e32 vcc, 16, v31
	v_cndmask_b32_e32 v5, 0, v5, vcc
	v_cndmask_b32_e32 v4, 7, v4, vcc
	v_min_i32_e32 v1, 15, v31
	v_cmp_eq_u32_e32 vcc, 0, v31
	v_cmp_eq_u64_e64 s[28:29], 0, v[4:5]
	v_lshlrev_b32_e32 v1, 3, v1
	v_and_or_b32 v1, v4, 7, v1
	s_and_b64 s[28:29], vcc, s[28:29]
	v_cndmask_b32_e64 v1, v1, 0, s[28:29]
	v_or_b32_e32 v56, v1, v8
.LBB4_4123:                             ;   in Loop: Header=BB4_3455 Depth=3
	s_or_b64 exec, exec, s[68:69]
.LBB4_4124:                             ;   in Loop: Header=BB4_3455 Depth=3
	s_or_b64 exec, exec, s[66:67]
                                        ; implicit-def: $vgpr4
.LBB4_4125:                             ;   in Loop: Header=BB4_3455 Depth=3
	s_andn2_saveexec_b64 s[28:29], s[36:37]
; %bb.4126:                             ;   in Loop: Header=BB4_3455 Depth=3
	v_or_b32_sdwa v1, v4, s92 dst_sel:DWORD dst_unused:UNUSED_PAD src0_sel:BYTE_3 src1_sel:DWORD
	v_cmp_eq_u64_e32 vcc, 0, v[58:59]
	v_cndmask_b32_e32 v56, v1, v56, vcc
; %bb.4127:                             ;   in Loop: Header=BB4_3455 Depth=3
	s_or_b64 exec, exec, s[28:29]
	v_mov_b32_e32 v58, v15
	v_cmp_ne_u16_sdwa vcc, v15, v59 src0_sel:BYTE_0 src1_sel:DWORD
	v_mov_b32_e32 v5, 0
	v_mov_b32_e32 v4, 0
	s_and_saveexec_b64 s[28:29], vcc
	s_cbranch_execz .LBB4_4133
; %bb.4128:                             ;   in Loop: Header=BB4_3455 Depth=3
	v_cmp_ne_u16_sdwa vcc, v15, s91 src0_sel:BYTE_0 src1_sel:DWORD
	v_bfrev_b32_e32 v4, 1
	s_and_saveexec_b64 s[36:37], vcc
	s_cbranch_execz .LBB4_4132
; %bb.4129:                             ;   in Loop: Header=BB4_3455 Depth=3
	v_and_b32_e32 v1, 0x7f, v15
	v_cmp_ne_u32_e32 vcc, s92, v1
	v_mov_b32_e32 v4, 0x7f800001
	s_and_saveexec_b64 s[66:67], vcc
	s_cbranch_execz .LBB4_4131
; %bb.4130:                             ;   in Loop: Header=BB4_3455 Depth=3
	v_and_b32_e32 v4, 7, v15
	v_ffbh_u32_e32 v4, v4
	v_min_u32_e32 v4, 32, v4
	v_lshrrev_b32_e32 v8, 3, v1
	v_subrev_u32_e32 v31, 28, v4
	v_sub_u32_e32 v4, 29, v4
	v_cmp_gt_u32_e32 vcc, 8, v1
	v_cndmask_b32_e32 v1, v8, v4, vcc
	v_cndmask_b32_e32 v4, 0, v31, vcc
	v_lshlrev_b64 v[32:33], v4, v[58:59]
	v_lshlrev_b32_e32 v4, 20, v32
	v_lshlrev_b32_e32 v8, 24, v58
	v_bfrev_b32_e32 v31, 60
	v_and_b32_e32 v4, 0x700000, v4
	v_and_b32_e32 v8, 0x80000000, v8
	v_lshl_add_u32 v1, v1, 23, v31
	v_or3_b32 v4, v8, v1, v4
.LBB4_4131:                             ;   in Loop: Header=BB4_3455 Depth=3
	s_or_b64 exec, exec, s[66:67]
.LBB4_4132:                             ;   in Loop: Header=BB4_3455 Depth=3
	s_or_b64 exec, exec, s[36:37]
.LBB4_4133:                             ;   in Loop: Header=BB4_3455 Depth=3
	s_or_b64 exec, exec, s[28:29]
	v_cmp_ne_u16_sdwa vcc, v11, v59 src0_sel:BYTE_0 src1_sel:DWORD
	s_and_saveexec_b64 s[28:29], vcc
	s_cbranch_execz .LBB4_4139
; %bb.4134:                             ;   in Loop: Header=BB4_3455 Depth=3
	v_cmp_ne_u16_sdwa vcc, v11, s91 src0_sel:BYTE_0 src1_sel:DWORD
	v_bfrev_b32_e32 v5, 1
	s_and_saveexec_b64 s[36:37], vcc
	s_cbranch_execz .LBB4_4138
; %bb.4135:                             ;   in Loop: Header=BB4_3455 Depth=3
	v_and_b32_e32 v1, 0x7f, v11
	v_cmp_ne_u32_e32 vcc, s92, v1
	v_mov_b32_e32 v5, 0x7f800001
	s_and_saveexec_b64 s[66:67], vcc
	s_cbranch_execz .LBB4_4137
; %bb.4136:                             ;   in Loop: Header=BB4_3455 Depth=3
	v_and_b32_e32 v5, 7, v11
	v_ffbh_u32_e32 v5, v5
	v_min_u32_e32 v5, 32, v5
	v_lshrrev_b32_e32 v8, 3, v1
	v_subrev_u32_e32 v31, 28, v5
	v_sub_u32_e32 v5, 29, v5
	v_cmp_gt_u32_e32 vcc, 8, v1
	v_mov_b32_e32 v32, v11
	v_mov_b32_e32 v33, v59
	v_cndmask_b32_e32 v1, v8, v5, vcc
	v_cndmask_b32_e32 v5, 0, v31, vcc
	v_lshlrev_b64 v[34:35], v5, v[32:33]
	v_lshlrev_b32_e32 v5, 20, v34
	v_lshlrev_b32_e32 v8, 24, v32
	v_bfrev_b32_e32 v31, 60
	v_and_b32_e32 v5, 0x700000, v5
	v_and_b32_e32 v8, 0x80000000, v8
	v_lshl_add_u32 v1, v1, 23, v31
	v_or3_b32 v5, v8, v1, v5
.LBB4_4137:                             ;   in Loop: Header=BB4_3455 Depth=3
	s_or_b64 exec, exec, s[66:67]
.LBB4_4138:                             ;   in Loop: Header=BB4_3455 Depth=3
	s_or_b64 exec, exec, s[36:37]
.LBB4_4139:                             ;   in Loop: Header=BB4_3455 Depth=3
	s_or_b64 exec, exec, s[28:29]
	v_add_f32_e32 v31, v4, v5
	v_and_b32_sdwa v8, v31, s91 dst_sel:DWORD dst_unused:UNUSED_PAD src0_sel:BYTE_3 src1_sel:DWORD
	v_and_b32_e32 v32, 0x7f800000, v31
	v_mov_b32_e32 v33, v59
	v_and_b32_e32 v4, 0x7fffff, v31
	v_mov_b32_e32 v5, v59
	v_or_b32_e32 v46, 0x7e, v8
	v_cmp_ne_u64_e32 vcc, s[54:55], v[32:33]
	s_and_saveexec_b64 s[28:29], vcc
	s_xor_b64 s[36:37], exec, s[28:29]
	s_cbranch_execz .LBB4_4149
; %bb.4140:                             ;   in Loop: Header=BB4_3455 Depth=3
	v_and_b32_e32 v32, 0x7fffffff, v31
	v_mov_b32_e32 v33, v59
	v_cmp_gt_u64_e32 vcc, s[56:57], v[32:33]
	s_and_saveexec_b64 s[66:67], vcc
	s_cbranch_execz .LBB4_4148
; %bb.4141:                             ;   in Loop: Header=BB4_3455 Depth=3
	v_cmp_ne_u32_e32 vcc, 0, v31
	v_mov_b32_e32 v46, 0
	s_and_saveexec_b64 s[68:69], vcc
	s_cbranch_execz .LBB4_4147
; %bb.4142:                             ;   in Loop: Header=BB4_3455 Depth=3
	v_bfe_u32 v1, v31, 23, 8
	v_sub_u32_e32 v32, 0x79, v1
	v_cmp_gt_u32_e32 vcc, s93, v1
	v_add_u32_e32 v31, 0xffffff81, v1
	v_cndmask_b32_e32 v32, 0, v32, vcc
	v_cmp_eq_u32_e32 vcc, 0, v1
	v_mov_b32_e32 v1, 0xffffff82
	v_cndmask_b32_e32 v1, v31, v1, vcc
	v_mov_b32_e32 v31, 0x78
	v_cndmask_b32_e32 v31, v32, v31, vcc
	v_or_b32_e32 v33, 0x800000, v4
	v_add_u32_e32 v32, 20, v31
	v_cndmask_b32_e32 v4, v33, v4, vcc
	v_lshlrev_b64 v[32:33], v32, -1
	v_not_b32_e32 v32, v32
	v_and_b32_e32 v32, v4, v32
	v_lshrrev_b64 v[4:5], v31, v[4:5]
	v_not_b32_e32 v33, v33
	v_add_u32_e32 v34, 19, v31
	v_lshrrev_b32_e32 v37, 23, v4
	v_and_b32_e32 v33, 0, v33
	v_lshlrev_b64 v[34:35], v34, 1
	v_add3_u32 v46, v31, v1, v37
	v_bfe_u32 v1, v4, 20, 1
	v_add_u32_e32 v1, -1, v1
	v_cmp_eq_u64_e32 vcc, v[32:33], v[34:35]
	v_cndmask_b32_e32 v1, 0, v1, vcc
	v_add_u32_e32 v1, v1, v4
	v_and_b32_e32 v1, 0xfffff, v1
	v_add_co_u32_e32 v4, vcc, v1, v4
	v_add_u32_e32 v55, 6, v46
	v_addc_co_u32_e32 v5, vcc, 0, v5, vcc
	v_cmp_ne_u32_e32 vcc, 0, v55
                                        ; implicit-def: $vgpr31
	s_and_saveexec_b64 s[28:29], vcc
	s_xor_b64 s[28:29], exec, s[28:29]
; %bb.4143:                             ;   in Loop: Header=BB4_3455 Depth=3
	v_add_u32_e32 v1, 7, v46
	v_cmp_lt_u64_e32 vcc, s[58:59], v[4:5]
	v_cndmask_b32_e32 v31, v55, v1, vcc
	v_cndmask_b32_e64 v1, 0, 1, vcc
	v_lshrrev_b64 v[4:5], v1, v[4:5]
; %bb.4144:                             ;   in Loop: Header=BB4_3455 Depth=3
	s_andn2_saveexec_b64 s[28:29], s[28:29]
; %bb.4145:                             ;   in Loop: Header=BB4_3455 Depth=3
	v_bfe_u32 v31, v4, 23, 1
; %bb.4146:                             ;   in Loop: Header=BB4_3455 Depth=3
	s_or_b64 exec, exec, s[28:29]
	v_lshrrev_b64 v[4:5], 20, v[4:5]
	v_cmp_gt_i32_e32 vcc, 16, v31
	v_cndmask_b32_e32 v5, 0, v5, vcc
	v_cndmask_b32_e32 v4, 7, v4, vcc
	v_min_i32_e32 v1, 15, v31
	v_cmp_eq_u32_e32 vcc, 0, v31
	v_cmp_eq_u64_e64 s[28:29], 0, v[4:5]
	v_lshlrev_b32_e32 v1, 3, v1
	v_and_or_b32 v1, v4, 7, v1
	s_and_b64 s[28:29], vcc, s[28:29]
	v_cndmask_b32_e64 v1, v1, 0, s[28:29]
	v_or_b32_e32 v46, v1, v8
.LBB4_4147:                             ;   in Loop: Header=BB4_3455 Depth=3
	s_or_b64 exec, exec, s[68:69]
.LBB4_4148:                             ;   in Loop: Header=BB4_3455 Depth=3
	s_or_b64 exec, exec, s[66:67]
                                        ; implicit-def: $vgpr31
                                        ; implicit-def: $vgpr4_vgpr5
.LBB4_4149:                             ;   in Loop: Header=BB4_3455 Depth=3
	s_andn2_saveexec_b64 s[28:29], s[36:37]
; %bb.4150:                             ;   in Loop: Header=BB4_3455 Depth=3
	v_or_b32_sdwa v1, v31, s92 dst_sel:DWORD dst_unused:UNUSED_PAD src0_sel:BYTE_3 src1_sel:DWORD
	v_cmp_eq_u64_e32 vcc, 0, v[4:5]
	v_cndmask_b32_e32 v46, v1, v46, vcc
; %bb.4151:                             ;   in Loop: Header=BB4_3455 Depth=3
	s_or_b64 exec, exec, s[28:29]
	v_lshrrev_b16_e32 v4, 8, v58
	v_cmp_ne_u16_e32 vcc, 0, v4
	v_mov_b32_e32 v5, 0
	v_mov_b32_e32 v31, 0
	s_and_saveexec_b64 s[28:29], vcc
	s_cbranch_execz .LBB4_4157
; %bb.4152:                             ;   in Loop: Header=BB4_3455 Depth=3
	v_cmp_ne_u16_e32 vcc, s91, v4
	v_bfrev_b32_e32 v31, 1
	s_and_saveexec_b64 s[36:37], vcc
	s_cbranch_execz .LBB4_4156
; %bb.4153:                             ;   in Loop: Header=BB4_3455 Depth=3
	v_and_b32_e32 v1, 0x7f, v4
	v_cmp_ne_u32_e32 vcc, s92, v1
	v_mov_b32_e32 v31, 0x7f800001
	s_and_saveexec_b64 s[66:67], vcc
	s_cbranch_execz .LBB4_4155
; %bb.4154:                             ;   in Loop: Header=BB4_3455 Depth=3
	v_and_b32_e32 v8, 7, v4
	v_ffbh_u32_e32 v32, v8
	v_min_u32_e32 v34, 32, v32
	v_subrev_u32_e32 v32, 28, v34
	v_lshlrev_b64 v[32:33], v32, v[4:5]
	v_lshrrev_b32_e32 v31, 3, v1
	v_sub_u32_e32 v4, 29, v34
	v_and_b32_e32 v32, 7, v32
	v_cmp_gt_u32_e32 vcc, 8, v1
	v_cndmask_b32_e32 v1, v31, v4, vcc
	v_cndmask_b32_e32 v4, v8, v32, vcc
	v_lshlrev_b32_e32 v8, 16, v58
	v_bfrev_b32_e32 v31, 60
	v_lshlrev_b32_e32 v4, 20, v4
	v_and_b32_e32 v8, 0x80000000, v8
	v_lshl_add_u32 v1, v1, 23, v31
	v_or3_b32 v31, v8, v1, v4
.LBB4_4155:                             ;   in Loop: Header=BB4_3455 Depth=3
	s_or_b64 exec, exec, s[66:67]
.LBB4_4156:                             ;   in Loop: Header=BB4_3455 Depth=3
	s_or_b64 exec, exec, s[36:37]
.LBB4_4157:                             ;   in Loop: Header=BB4_3455 Depth=3
	s_or_b64 exec, exec, s[28:29]
	v_mov_b32_e32 v4, v11
	v_lshrrev_b16_e32 v8, 8, v4
	v_cmp_ne_u16_e32 vcc, 0, v8
	s_and_saveexec_b64 s[28:29], vcc
	s_cbranch_execz .LBB4_4163
; %bb.4158:                             ;   in Loop: Header=BB4_3455 Depth=3
	v_cmp_ne_u16_e32 vcc, s91, v8
	v_bfrev_b32_e32 v5, 1
	s_and_saveexec_b64 s[36:37], vcc
	s_cbranch_execz .LBB4_4162
; %bb.4159:                             ;   in Loop: Header=BB4_3455 Depth=3
	v_and_b32_e32 v1, 0x7f, v8
	v_cmp_ne_u32_e32 vcc, s92, v1
	v_mov_b32_e32 v5, 0x7f800001
	s_and_saveexec_b64 s[66:67], vcc
	s_cbranch_execz .LBB4_4161
; %bb.4160:                             ;   in Loop: Header=BB4_3455 Depth=3
	v_and_b32_e32 v5, 7, v8
	v_ffbh_u32_e32 v32, v5
	v_min_u32_e32 v35, 32, v32
	v_subrev_u32_e32 v32, 28, v35
	v_lshlrev_b64 v[32:33], v32, v[8:9]
	v_lshrrev_b32_e32 v34, 3, v1
	v_sub_u32_e32 v8, 29, v35
	v_and_b32_e32 v32, 7, v32
	v_cmp_gt_u32_e32 vcc, 8, v1
	v_cndmask_b32_e32 v1, v34, v8, vcc
	v_cndmask_b32_e32 v5, v5, v32, vcc
	v_lshlrev_b32_e32 v4, 16, v4
	v_bfrev_b32_e32 v8, 60
	v_lshlrev_b32_e32 v5, 20, v5
	v_and_b32_e32 v4, 0x80000000, v4
	v_lshl_add_u32 v1, v1, 23, v8
	v_or3_b32 v5, v4, v1, v5
.LBB4_4161:                             ;   in Loop: Header=BB4_3455 Depth=3
	s_or_b64 exec, exec, s[66:67]
.LBB4_4162:                             ;   in Loop: Header=BB4_3455 Depth=3
	s_or_b64 exec, exec, s[36:37]
.LBB4_4163:                             ;   in Loop: Header=BB4_3455 Depth=3
	s_or_b64 exec, exec, s[28:29]
	v_add_f32_e32 v4, v31, v5
	v_and_b32_sdwa v31, v4, s91 dst_sel:DWORD dst_unused:UNUSED_PAD src0_sel:BYTE_3 src1_sel:DWORD
	v_and_b32_e32 v32, 0x7f800000, v4
	v_mov_b32_e32 v33, v59
	v_and_b32_e32 v58, 0x7fffff, v4
	v_or_b32_e32 v8, 0x7e, v31
	v_cmp_ne_u64_e32 vcc, s[54:55], v[32:33]
	s_and_saveexec_b64 s[28:29], vcc
	s_xor_b64 s[36:37], exec, s[28:29]
	s_cbranch_execz .LBB4_4173
; %bb.4164:                             ;   in Loop: Header=BB4_3455 Depth=3
	v_and_b32_e32 v32, 0x7fffffff, v4
	v_mov_b32_e32 v33, v59
	v_cmp_gt_u64_e32 vcc, s[56:57], v[32:33]
	s_and_saveexec_b64 s[66:67], vcc
	s_cbranch_execz .LBB4_4172
; %bb.4165:                             ;   in Loop: Header=BB4_3455 Depth=3
	v_cmp_ne_u32_e32 vcc, 0, v4
	v_mov_b32_e32 v8, 0
	s_and_saveexec_b64 s[68:69], vcc
	s_cbranch_execz .LBB4_4171
; %bb.4166:                             ;   in Loop: Header=BB4_3455 Depth=3
	v_bfe_u32 v1, v4, 23, 8
	v_sub_u32_e32 v5, 0x79, v1
	v_cmp_gt_u32_e32 vcc, s93, v1
	v_add_u32_e32 v4, 0xffffff81, v1
	v_cndmask_b32_e32 v5, 0, v5, vcc
	v_cmp_eq_u32_e32 vcc, 0, v1
	v_mov_b32_e32 v1, 0xffffff82
	v_cndmask_b32_e32 v1, v4, v1, vcc
	v_mov_b32_e32 v4, 0x78
	v_or_b32_e32 v8, 0x800000, v58
	v_cndmask_b32_e32 v37, v5, v4, vcc
	v_cndmask_b32_e32 v58, v8, v58, vcc
	v_add_u32_e32 v4, 20, v37
	v_lshlrev_b64 v[4:5], v4, -1
	v_add_u32_e32 v8, 19, v37
	v_lshrrev_b64 v[34:35], v37, v[58:59]
	v_not_b32_e32 v5, v5
	v_not_b32_e32 v4, v4
	v_lshlrev_b64 v[32:33], v8, 1
	v_lshrrev_b32_e32 v8, 23, v34
	v_and_b32_e32 v5, 0, v5
	v_and_b32_e32 v4, v58, v4
	v_add3_u32 v47, v37, v1, v8
	v_bfe_u32 v1, v34, 20, 1
	v_add_u32_e32 v1, -1, v1
	v_cmp_eq_u64_e32 vcc, v[4:5], v[32:33]
	v_cndmask_b32_e32 v1, 0, v1, vcc
	v_add_u32_e32 v1, v1, v34
	v_and_b32_e32 v1, 0xfffff, v1
	v_add_co_u32_e32 v4, vcc, v1, v34
	v_add_u32_e32 v55, 6, v47
	v_addc_co_u32_e32 v5, vcc, 0, v35, vcc
	v_cmp_ne_u32_e32 vcc, 0, v55
                                        ; implicit-def: $vgpr8
	s_and_saveexec_b64 s[28:29], vcc
	s_xor_b64 s[28:29], exec, s[28:29]
; %bb.4167:                             ;   in Loop: Header=BB4_3455 Depth=3
	v_add_u32_e32 v1, 7, v47
	v_cmp_lt_u64_e32 vcc, s[58:59], v[4:5]
	v_cndmask_b32_e32 v8, v55, v1, vcc
	v_cndmask_b32_e64 v1, 0, 1, vcc
	v_lshrrev_b64 v[4:5], v1, v[4:5]
; %bb.4168:                             ;   in Loop: Header=BB4_3455 Depth=3
	s_andn2_saveexec_b64 s[28:29], s[28:29]
; %bb.4169:                             ;   in Loop: Header=BB4_3455 Depth=3
	v_bfe_u32 v8, v4, 23, 1
; %bb.4170:                             ;   in Loop: Header=BB4_3455 Depth=3
	s_or_b64 exec, exec, s[28:29]
	v_lshrrev_b64 v[4:5], 20, v[4:5]
	v_cmp_gt_i32_e32 vcc, 16, v8
	v_cndmask_b32_e32 v5, 0, v5, vcc
	v_cndmask_b32_e32 v4, 7, v4, vcc
	v_min_i32_e32 v1, 15, v8
	v_cmp_eq_u32_e32 vcc, 0, v8
	v_cmp_eq_u64_e64 s[28:29], 0, v[4:5]
	v_lshlrev_b32_e32 v1, 3, v1
	v_and_or_b32 v1, v4, 7, v1
	s_and_b64 s[28:29], vcc, s[28:29]
	v_cndmask_b32_e64 v1, v1, 0, s[28:29]
	v_or_b32_e32 v8, v1, v31
.LBB4_4171:                             ;   in Loop: Header=BB4_3455 Depth=3
	s_or_b64 exec, exec, s[68:69]
.LBB4_4172:                             ;   in Loop: Header=BB4_3455 Depth=3
	s_or_b64 exec, exec, s[66:67]
                                        ; implicit-def: $vgpr4
.LBB4_4173:                             ;   in Loop: Header=BB4_3455 Depth=3
	s_andn2_saveexec_b64 s[28:29], s[36:37]
; %bb.4174:                             ;   in Loop: Header=BB4_3455 Depth=3
	v_or_b32_sdwa v1, v4, s92 dst_sel:DWORD dst_unused:UNUSED_PAD src0_sel:BYTE_3 src1_sel:DWORD
	v_cmp_eq_u64_e32 vcc, 0, v[58:59]
	v_cndmask_b32_e32 v8, v1, v8, vcc
; %bb.4175:                             ;   in Loop: Header=BB4_3455 Depth=3
	s_or_b64 exec, exec, s[28:29]
	v_lshrrev_b32_e32 v4, 16, v15
	v_cmp_ne_u16_sdwa vcc, v4, v59 src0_sel:BYTE_0 src1_sel:DWORD
	v_mov_b32_e32 v5, 0
	v_mov_b32_e32 v31, 0
	s_and_saveexec_b64 s[28:29], vcc
	s_cbranch_execz .LBB4_4181
; %bb.4176:                             ;   in Loop: Header=BB4_3455 Depth=3
	v_cmp_ne_u16_sdwa vcc, v4, s91 src0_sel:BYTE_0 src1_sel:DWORD
	v_bfrev_b32_e32 v31, 1
	s_and_saveexec_b64 s[36:37], vcc
	s_cbranch_execz .LBB4_4180
; %bb.4177:                             ;   in Loop: Header=BB4_3455 Depth=3
	v_bfe_u32 v1, v15, 16, 7
	v_cmp_ne_u32_e32 vcc, s92, v1
	v_mov_b32_e32 v31, 0x7f800001
	s_and_saveexec_b64 s[66:67], vcc
	s_cbranch_execz .LBB4_4179
; %bb.4178:                             ;   in Loop: Header=BB4_3455 Depth=3
	v_and_b32_e32 v31, 7, v4
	v_ffbh_u32_e32 v32, v31
	v_min_u32_e32 v35, 32, v32
	v_subrev_u32_e32 v32, 28, v35
	v_lshlrev_b64 v[32:33], v32, v[4:5]
	v_lshrrev_b32_e32 v34, 3, v1
	v_sub_u32_e32 v33, 29, v35
	v_and_b32_e32 v32, 7, v32
	v_cmp_gt_u32_e32 vcc, 8, v1
	v_cndmask_b32_e32 v1, v34, v33, vcc
	v_cndmask_b32_e32 v31, v31, v32, vcc
	v_lshlrev_b32_e32 v4, 24, v4
	v_bfrev_b32_e32 v32, 60
	v_lshlrev_b32_e32 v31, 20, v31
	v_and_b32_e32 v4, 0x80000000, v4
	v_lshl_add_u32 v1, v1, 23, v32
	v_or3_b32 v31, v4, v1, v31
.LBB4_4179:                             ;   in Loop: Header=BB4_3455 Depth=3
	s_or_b64 exec, exec, s[66:67]
.LBB4_4180:                             ;   in Loop: Header=BB4_3455 Depth=3
	s_or_b64 exec, exec, s[36:37]
.LBB4_4181:                             ;   in Loop: Header=BB4_3455 Depth=3
	s_or_b64 exec, exec, s[28:29]
	v_lshrrev_b32_e32 v4, 16, v11
	v_cmp_ne_u16_sdwa vcc, v4, v59 src0_sel:BYTE_0 src1_sel:DWORD
	s_and_saveexec_b64 s[28:29], vcc
	s_cbranch_execz .LBB4_4187
; %bb.4182:                             ;   in Loop: Header=BB4_3455 Depth=3
	v_cmp_ne_u16_sdwa vcc, v4, s91 src0_sel:BYTE_0 src1_sel:DWORD
	v_bfrev_b32_e32 v5, 1
	s_and_saveexec_b64 s[36:37], vcc
	s_cbranch_execz .LBB4_4186
; %bb.4183:                             ;   in Loop: Header=BB4_3455 Depth=3
	v_bfe_u32 v1, v11, 16, 7
	v_cmp_ne_u32_e32 vcc, s92, v1
	v_mov_b32_e32 v5, 0x7f800001
	s_and_saveexec_b64 s[66:67], vcc
	s_cbranch_execz .LBB4_4185
; %bb.4184:                             ;   in Loop: Header=BB4_3455 Depth=3
	v_and_b32_e32 v32, 7, v4
	v_ffbh_u32_e32 v5, v32
	v_min_u32_e32 v34, 32, v5
	v_subrev_u32_e32 v5, 28, v34
	v_lshlrev_b64 v[4:5], v5, v[4:5]
	v_lshrrev_b32_e32 v33, 3, v1
	v_sub_u32_e32 v5, 29, v34
	v_and_b32_e32 v4, 7, v4
	v_cmp_gt_u32_e32 vcc, 8, v1
	v_cndmask_b32_e32 v1, v33, v5, vcc
	v_cndmask_b32_e32 v4, v32, v4, vcc
	v_lshlrev_b32_e32 v5, 8, v11
	v_bfrev_b32_e32 v32, 60
	v_lshlrev_b32_e32 v4, 20, v4
	v_and_b32_e32 v5, 0x80000000, v5
	v_lshl_add_u32 v1, v1, 23, v32
	v_or3_b32 v5, v5, v1, v4
.LBB4_4185:                             ;   in Loop: Header=BB4_3455 Depth=3
	s_or_b64 exec, exec, s[66:67]
.LBB4_4186:                             ;   in Loop: Header=BB4_3455 Depth=3
	s_or_b64 exec, exec, s[36:37]
.LBB4_4187:                             ;   in Loop: Header=BB4_3455 Depth=3
	s_or_b64 exec, exec, s[28:29]
	v_add_f32_e32 v4, v31, v5
	v_and_b32_sdwa v47, v4, s91 dst_sel:DWORD dst_unused:UNUSED_PAD src0_sel:BYTE_3 src1_sel:DWORD
	v_and_b32_e32 v32, 0x7f800000, v4
	v_mov_b32_e32 v33, v59
	v_and_b32_e32 v58, 0x7fffff, v4
	v_or_b32_e32 v31, 0x7e, v47
	v_cmp_ne_u64_e32 vcc, s[54:55], v[32:33]
	s_and_saveexec_b64 s[28:29], vcc
	s_xor_b64 s[36:37], exec, s[28:29]
	s_cbranch_execz .LBB4_4197
; %bb.4188:                             ;   in Loop: Header=BB4_3455 Depth=3
	v_and_b32_e32 v32, 0x7fffffff, v4
	v_mov_b32_e32 v33, v59
	v_cmp_gt_u64_e32 vcc, s[56:57], v[32:33]
	s_and_saveexec_b64 s[66:67], vcc
	s_cbranch_execz .LBB4_4196
; %bb.4189:                             ;   in Loop: Header=BB4_3455 Depth=3
	v_cmp_ne_u32_e32 vcc, 0, v4
	v_mov_b32_e32 v31, 0
	s_and_saveexec_b64 s[68:69], vcc
	s_cbranch_execz .LBB4_4195
; %bb.4190:                             ;   in Loop: Header=BB4_3455 Depth=3
	v_bfe_u32 v1, v4, 23, 8
	v_sub_u32_e32 v5, 0x79, v1
	v_cmp_gt_u32_e32 vcc, s93, v1
	v_add_u32_e32 v4, 0xffffff81, v1
	v_cndmask_b32_e32 v5, 0, v5, vcc
	v_cmp_eq_u32_e32 vcc, 0, v1
	v_mov_b32_e32 v1, 0xffffff82
	v_cndmask_b32_e32 v1, v4, v1, vcc
	v_mov_b32_e32 v4, 0x78
	v_or_b32_e32 v31, 0x800000, v58
	v_cndmask_b32_e32 v37, v5, v4, vcc
	v_cndmask_b32_e32 v58, v31, v58, vcc
	v_add_u32_e32 v4, 20, v37
	v_lshlrev_b64 v[4:5], v4, -1
	v_add_u32_e32 v31, 19, v37
	v_lshrrev_b64 v[34:35], v37, v[58:59]
	v_not_b32_e32 v5, v5
	v_not_b32_e32 v4, v4
	v_lshlrev_b64 v[32:33], v31, 1
	v_lshrrev_b32_e32 v31, 23, v34
	v_accvgpr_write_b32 a56, v57
	v_and_b32_e32 v5, 0, v5
	v_and_b32_e32 v4, v58, v4
	v_add3_u32 v57, v37, v1, v31
	v_bfe_u32 v1, v34, 20, 1
	v_add_u32_e32 v1, -1, v1
	v_cmp_eq_u64_e32 vcc, v[4:5], v[32:33]
	v_cndmask_b32_e32 v1, 0, v1, vcc
	v_add_u32_e32 v1, v1, v34
	v_and_b32_e32 v1, 0xfffff, v1
	v_add_co_u32_e32 v4, vcc, v1, v34
	v_add_u32_e32 v55, 6, v57
	v_addc_co_u32_e32 v5, vcc, 0, v35, vcc
	v_cmp_ne_u32_e32 vcc, 0, v55
                                        ; implicit-def: $vgpr31
	s_and_saveexec_b64 s[28:29], vcc
	s_xor_b64 s[28:29], exec, s[28:29]
; %bb.4191:                             ;   in Loop: Header=BB4_3455 Depth=3
	v_add_u32_e32 v1, 7, v57
	v_cmp_lt_u64_e32 vcc, s[58:59], v[4:5]
	v_cndmask_b32_e32 v31, v55, v1, vcc
	v_cndmask_b32_e64 v1, 0, 1, vcc
	v_lshrrev_b64 v[4:5], v1, v[4:5]
; %bb.4192:                             ;   in Loop: Header=BB4_3455 Depth=3
	s_andn2_saveexec_b64 s[28:29], s[28:29]
; %bb.4193:                             ;   in Loop: Header=BB4_3455 Depth=3
	v_bfe_u32 v31, v4, 23, 1
; %bb.4194:                             ;   in Loop: Header=BB4_3455 Depth=3
	s_or_b64 exec, exec, s[28:29]
	v_lshrrev_b64 v[4:5], 20, v[4:5]
	v_cmp_gt_i32_e32 vcc, 16, v31
	v_min_i32_e32 v1, 15, v31
	v_cndmask_b32_e32 v5, 0, v5, vcc
	v_cndmask_b32_e32 v4, 7, v4, vcc
	v_lshlrev_b32_e32 v1, 3, v1
	v_cmp_eq_u32_e32 vcc, 0, v31
	v_cmp_eq_u64_e64 s[28:29], 0, v[4:5]
	v_and_b32_e32 v1, 0xf8, v1
	v_and_or_b32 v1, v4, 7, v1
	s_and_b64 s[28:29], vcc, s[28:29]
	v_cndmask_b32_e64 v1, v1, 0, s[28:29]
	v_or_b32_e32 v31, v1, v47
	v_accvgpr_read_b32 v57, a56
.LBB4_4195:                             ;   in Loop: Header=BB4_3455 Depth=3
	s_or_b64 exec, exec, s[68:69]
.LBB4_4196:                             ;   in Loop: Header=BB4_3455 Depth=3
	s_or_b64 exec, exec, s[66:67]
                                        ; implicit-def: $vgpr4
.LBB4_4197:                             ;   in Loop: Header=BB4_3455 Depth=3
	s_andn2_saveexec_b64 s[28:29], s[36:37]
; %bb.4198:                             ;   in Loop: Header=BB4_3455 Depth=3
	v_or_b32_sdwa v1, v4, s92 dst_sel:DWORD dst_unused:UNUSED_PAD src0_sel:BYTE_3 src1_sel:DWORD
	v_cmp_eq_u64_e32 vcc, 0, v[58:59]
	v_cndmask_b32_e32 v31, v1, v31, vcc
; %bb.4199:                             ;   in Loop: Header=BB4_3455 Depth=3
	s_or_b64 exec, exec, s[28:29]
	v_cmp_lt_u64_e32 vcc, s[44:45], v[14:15]
	v_mov_b32_e32 v5, 0
	v_mov_b32_e32 v14, 0
	s_and_saveexec_b64 s[28:29], vcc
	s_cbranch_execz .LBB4_4205
; %bb.4200:                             ;   in Loop: Header=BB4_3455 Depth=3
	v_lshrrev_b32_e32 v4, 24, v15
	v_cmp_ne_u32_e32 vcc, s91, v4
	v_bfrev_b32_e32 v14, 1
	s_and_saveexec_b64 s[36:37], vcc
	s_cbranch_execz .LBB4_4204
; %bb.4201:                             ;   in Loop: Header=BB4_3455 Depth=3
	v_bfe_u32 v1, v15, 24, 7
	v_cmp_ne_u32_e32 vcc, s92, v1
	v_mov_b32_e32 v14, 0x7f800001
	s_and_saveexec_b64 s[66:67], vcc
	s_cbranch_execz .LBB4_4203
; %bb.4202:                             ;   in Loop: Header=BB4_3455 Depth=3
	v_and_b32_e32 v32, 7, v4
	v_ffbh_u32_e32 v14, v32
	v_min_u32_e32 v34, 32, v14
	v_subrev_u32_e32 v14, 28, v34
	v_lshlrev_b64 v[14:15], v14, v[4:5]
	v_lshrrev_b32_e32 v33, 3, v1
	v_sub_u32_e32 v15, 29, v34
	v_and_b32_e32 v14, 7, v14
	v_cmp_gt_u32_e32 vcc, 8, v1
	v_cndmask_b32_e32 v1, v33, v15, vcc
	v_cndmask_b32_e32 v14, v32, v14, vcc
	v_lshlrev_b32_e32 v4, 24, v4
	v_bfrev_b32_e32 v15, 60
	v_lshlrev_b32_e32 v14, 20, v14
	v_and_b32_e32 v4, 0x80000000, v4
	v_lshl_add_u32 v1, v1, 23, v15
	v_or3_b32 v14, v4, v1, v14
.LBB4_4203:                             ;   in Loop: Header=BB4_3455 Depth=3
	s_or_b64 exec, exec, s[66:67]
.LBB4_4204:                             ;   in Loop: Header=BB4_3455 Depth=3
	s_or_b64 exec, exec, s[36:37]
.LBB4_4205:                             ;   in Loop: Header=BB4_3455 Depth=3
	s_or_b64 exec, exec, s[28:29]
	v_cmp_lt_u64_e32 vcc, s[44:45], v[10:11]
	s_and_saveexec_b64 s[28:29], vcc
	s_cbranch_execz .LBB4_4211
; %bb.4206:                             ;   in Loop: Header=BB4_3455 Depth=3
	v_lshrrev_b32_e32 v4, 24, v11
	v_cmp_ne_u32_e32 vcc, s91, v4
	v_bfrev_b32_e32 v5, 1
	s_and_saveexec_b64 s[36:37], vcc
	s_cbranch_execz .LBB4_4210
; %bb.4207:                             ;   in Loop: Header=BB4_3455 Depth=3
	v_bfe_u32 v1, v11, 24, 7
	v_cmp_ne_u32_e32 vcc, s92, v1
	v_mov_b32_e32 v5, 0x7f800001
	s_and_saveexec_b64 s[66:67], vcc
	s_cbranch_execz .LBB4_4209
; %bb.4208:                             ;   in Loop: Header=BB4_3455 Depth=3
	v_and_b32_e32 v5, 7, v4
	v_ffbh_u32_e32 v10, v5
	v_min_u32_e32 v32, 32, v10
	v_subrev_u32_e32 v10, 28, v32
	v_lshlrev_b64 v[10:11], v10, v[4:5]
	v_lshrrev_b32_e32 v15, 3, v1
	v_sub_u32_e32 v11, 29, v32
	v_and_b32_e32 v10, 7, v10
	v_cmp_gt_u32_e32 vcc, 8, v1
	v_cndmask_b32_e32 v1, v15, v11, vcc
	v_cndmask_b32_e32 v5, v5, v10, vcc
	v_lshlrev_b32_e32 v4, 24, v4
	v_bfrev_b32_e32 v10, 60
	v_lshlrev_b32_e32 v5, 20, v5
	v_and_b32_e32 v4, 0x80000000, v4
	v_lshl_add_u32 v1, v1, 23, v10
	v_or3_b32 v5, v4, v1, v5
.LBB4_4209:                             ;   in Loop: Header=BB4_3455 Depth=3
	s_or_b64 exec, exec, s[66:67]
.LBB4_4210:                             ;   in Loop: Header=BB4_3455 Depth=3
	s_or_b64 exec, exec, s[36:37]
.LBB4_4211:                             ;   in Loop: Header=BB4_3455 Depth=3
	s_or_b64 exec, exec, s[28:29]
	v_add_f32_e32 v5, v14, v5
	v_and_b32_sdwa v10, v5, s91 dst_sel:DWORD dst_unused:UNUSED_PAD src0_sel:BYTE_3 src1_sel:DWORD
	v_and_b32_e32 v14, 0x7f800000, v5
	v_mov_b32_e32 v15, v59
	v_and_b32_e32 v58, 0x7fffff, v5
	v_or_b32_e32 v4, 0x7e, v10
	v_cmp_ne_u64_e32 vcc, s[54:55], v[14:15]
	s_and_saveexec_b64 s[28:29], vcc
	s_xor_b64 s[36:37], exec, s[28:29]
	s_cbranch_execz .LBB4_4221
; %bb.4212:                             ;   in Loop: Header=BB4_3455 Depth=3
	v_and_b32_e32 v14, 0x7fffffff, v5
	v_mov_b32_e32 v15, v59
	v_cmp_gt_u64_e32 vcc, s[56:57], v[14:15]
	s_and_saveexec_b64 s[66:67], vcc
	s_cbranch_execz .LBB4_4220
; %bb.4213:                             ;   in Loop: Header=BB4_3455 Depth=3
	v_cmp_ne_u32_e32 vcc, 0, v5
	v_mov_b32_e32 v4, 0
	s_and_saveexec_b64 s[68:69], vcc
	s_cbranch_execz .LBB4_4219
; %bb.4214:                             ;   in Loop: Header=BB4_3455 Depth=3
	v_bfe_u32 v1, v5, 23, 8
	v_sub_u32_e32 v5, 0x79, v1
	v_cmp_gt_u32_e32 vcc, s93, v1
	v_add_u32_e32 v4, 0xffffff81, v1
	v_cndmask_b32_e32 v5, 0, v5, vcc
	v_cmp_eq_u32_e32 vcc, 0, v1
	v_mov_b32_e32 v1, 0xffffff82
	v_cndmask_b32_e32 v1, v4, v1, vcc
	v_mov_b32_e32 v4, 0x78
	v_or_b32_e32 v11, 0x800000, v58
	v_cndmask_b32_e32 v14, v5, v4, vcc
	v_cndmask_b32_e32 v58, v11, v58, vcc
	v_add_u32_e32 v4, 20, v14
	v_lshlrev_b64 v[4:5], v4, -1
	v_add_u32_e32 v11, 19, v14
	v_lshrrev_b64 v[34:35], v14, v[58:59]
	v_not_b32_e32 v5, v5
	v_not_b32_e32 v4, v4
	v_lshlrev_b64 v[32:33], v11, 1
	v_lshrrev_b32_e32 v11, 23, v34
	v_and_b32_e32 v5, 0, v5
	v_and_b32_e32 v4, v58, v4
	v_add3_u32 v15, v14, v1, v11
	v_bfe_u32 v1, v34, 20, 1
	v_add_u32_e32 v1, -1, v1
	v_cmp_eq_u64_e32 vcc, v[4:5], v[32:33]
	v_cndmask_b32_e32 v1, 0, v1, vcc
	v_add_u32_e32 v1, v1, v34
	v_and_b32_e32 v1, 0xfffff, v1
	v_add_co_u32_e32 v4, vcc, v1, v34
	v_add_u32_e32 v14, 6, v15
	v_addc_co_u32_e32 v5, vcc, 0, v35, vcc
	v_cmp_ne_u32_e32 vcc, 0, v14
                                        ; implicit-def: $vgpr11
	s_and_saveexec_b64 s[28:29], vcc
	s_xor_b64 s[28:29], exec, s[28:29]
; %bb.4215:                             ;   in Loop: Header=BB4_3455 Depth=3
	v_add_u32_e32 v1, 7, v15
	v_cmp_lt_u64_e32 vcc, s[58:59], v[4:5]
	v_cndmask_b32_e32 v11, v14, v1, vcc
	v_cndmask_b32_e64 v1, 0, 1, vcc
	v_lshrrev_b64 v[4:5], v1, v[4:5]
; %bb.4216:                             ;   in Loop: Header=BB4_3455 Depth=3
	s_andn2_saveexec_b64 s[28:29], s[28:29]
; %bb.4217:                             ;   in Loop: Header=BB4_3455 Depth=3
	v_bfe_u32 v11, v4, 23, 1
; %bb.4218:                             ;   in Loop: Header=BB4_3455 Depth=3
	s_or_b64 exec, exec, s[28:29]
	v_lshrrev_b64 v[4:5], 20, v[4:5]
	v_cmp_gt_i32_e32 vcc, 16, v11
	v_min_i32_e32 v1, 15, v11
	v_cndmask_b32_e32 v5, 0, v5, vcc
	v_cndmask_b32_e32 v4, 7, v4, vcc
	v_lshlrev_b32_e32 v1, 3, v1
	v_cmp_eq_u32_e32 vcc, 0, v11
	v_cmp_eq_u64_e64 s[28:29], 0, v[4:5]
	v_and_b32_e32 v1, 0xf8, v1
	v_and_or_b32 v1, v4, 7, v1
	s_and_b64 s[28:29], vcc, s[28:29]
	v_cndmask_b32_e64 v1, v1, 0, s[28:29]
	v_or_b32_e32 v4, v1, v10
.LBB4_4219:                             ;   in Loop: Header=BB4_3455 Depth=3
	s_or_b64 exec, exec, s[68:69]
.LBB4_4220:                             ;   in Loop: Header=BB4_3455 Depth=3
	s_or_b64 exec, exec, s[66:67]
                                        ; implicit-def: $vgpr5
.LBB4_4221:                             ;   in Loop: Header=BB4_3455 Depth=3
	s_andn2_saveexec_b64 s[28:29], s[36:37]
	s_cbranch_execz .LBB4_3454
; %bb.4222:                             ;   in Loop: Header=BB4_3455 Depth=3
	v_or_b32_sdwa v1, v5, s92 dst_sel:DWORD dst_unused:UNUSED_PAD src0_sel:BYTE_3 src1_sel:DWORD
	v_cmp_eq_u64_e32 vcc, 0, v[58:59]
	v_cndmask_b32_e32 v4, v1, v4, vcc
	s_branch .LBB4_3454
.LBB4_4223:                             ;   in Loop: Header=BB4_1895 Depth=2
	s_or_b64 exec, exec, s[34:35]
	v_accvgpr_read_b32 v40, a3
	v_accvgpr_read_b32 v24, a22
	;; [unrolled: 1-line block ×4, first 2 shown]
.LBB4_4224:                             ;   in Loop: Header=BB4_1895 Depth=2
	s_or_b64 exec, exec, s[30:31]
	buffer_load_dword v0, off, s[0:3], s33 offset:168 ; 4-byte Folded Reload
	v_lshlrev_b32_e32 v2, 11, v1
	s_mov_b64 s[28:29], 0
                                        ; implicit-def: $vgpr14
                                        ; implicit-def: $vgpr15
                                        ; implicit-def: $vgpr4
	s_waitcnt vmcnt(0)
	v_cmp_ne_u32_e32 vcc, v0, v2
	v_mov_b32_e32 v0, 0
	s_and_saveexec_b64 s[34:35], vcc
	s_cbranch_execz .LBB4_4616
; %bb.4225:                             ;   in Loop: Header=BB4_1895 Depth=2
	buffer_load_dword v0, off, s[0:3], s33 offset:168 ; 4-byte Folded Reload
	v_accvgpr_read_b32 v3, a38
	s_waitcnt vmcnt(0)
	v_sub_u32_e32 v1, v0, v2
	v_lshlrev_b32_e32 v0, 6, v27
	v_sub_u32_e32 v0, v3, v0
	v_ashrrev_i32_e32 v3, 31, v0
	v_lshrrev_b32_e32 v3, 26, v3
	v_ashrrev_i32_e32 v5, 31, v1
	v_add_u32_e32 v3, v0, v3
	v_lshrrev_b32_e32 v5, 22, v5
	v_ashrrev_i32_e32 v4, 6, v3
	v_and_b32_e32 v3, 0xffffffc0, v3
	v_add_u32_e32 v5, v1, v5
	v_sub_u32_e32 v3, v0, v3
	v_and_b32_e32 v6, 0xfffffc00, v5
	v_lshlrev_b32_e32 v0, 4, v3
	v_sub_u32_e32 v23, v1, v6
	v_lshl_add_u32 v0, v4, 10, v0
	v_ashrrev_i32_e32 v7, 10, v5
	v_cmp_lt_i32_e32 vcc, 15, v23
	v_sub_u32_e32 v24, v1, v0
	v_addc_co_u32_e64 v1, s[28:29], 0, v7, vcc
	v_sub_u32_e32 v7, v1, v4
	v_cmp_lt_i32_e64 s[28:29], 15, v24
	s_and_saveexec_b64 s[36:37], s[28:29]
	s_cbranch_execz .LBB4_4613
; %bb.4226:                             ;   in Loop: Header=BB4_1895 Depth=2
	s_trap 2
	ds_read_b128 v[8:11], v0
	v_add_u32_e32 v12, v0, v2
	ds_read_b64 v[0:1], v0
	v_ashrrev_i32_e32 v13, 31, v12
	s_mov_b64 s[66:67], 0
	s_waitcnt lgkmcnt(0)
	v_add_co_u32_e64 v4, s[28:29], v8, v12
	v_addc_co_u32_e64 v5, s[28:29], v9, v13, s[28:29]
	v_add_co_u32_e64 v16, s[28:29], v10, v12
	v_addc_co_u32_e64 v17, s[28:29], v11, v13, s[28:29]
	;; [unrolled: 2-line block ×3, first 2 shown]
	s_branch .LBB4_4228
.LBB4_4227:                             ;   in Loop: Header=BB4_4228 Depth=3
	s_or_b64 exec, exec, s[30:31]
	v_lshlrev_b32_e32 v1, 8, v22
	v_perm_b32 v1, v1, v28, s94
	v_lshl_or_b32 v1, v20, 16, v1
	v_lshl_or_b32 v53, v13, 24, v1
	v_and_b32_e32 v1, 0xff, v27
	v_lshlrev_b32_e32 v9, 8, v26
	v_lshlrev_b32_e32 v0, 24, v0
	;; [unrolled: 1-line block ×3, first 2 shown]
	v_perm_b32 v9, v9, v25, s94
	v_or3_b32 v52, v0, v1, v9
	v_and_b32_e32 v0, 0xff, v30
	v_lshlrev_b32_e32 v9, 8, v29
	v_lshlrev_b32_e32 v1, 24, v36
	;; [unrolled: 1-line block ×3, first 2 shown]
	v_perm_b32 v9, v9, v21, s94
	v_or3_b32 v54, v1, v0, v9
	v_lshlrev_b32_e32 v0, 8, v12
	v_perm_b32 v0, v0, v31, s94
	v_lshl_or_b32 v0, v37, 16, v0
	v_lshl_or_b32 v55, v8, 24, v0
	v_accvgpr_read_b32 v0, a39
	v_add_co_u32_e64 v4, s[28:29], v4, v0
	v_accvgpr_read_b32 v1, a40
	v_addc_co_u32_e64 v5, s[28:29], v5, v1, s[28:29]
	v_add_co_u32_e64 v16, s[28:29], v16, v0
	v_addc_co_u32_e64 v17, s[28:29], v17, v1, s[28:29]
	global_store_dwordx4 v[18:19], v[52:55], off glc slc
	v_add_co_u32_e64 v18, s[28:29], v18, v0
	v_accvgpr_read_b32 v0, a26
	v_addc_co_u32_e64 v19, s[28:29], v19, v1, s[28:29]
	v_sub_u32_e32 v24, v24, v0
	v_cmp_gt_i32_e64 s[28:29], 16, v24
	v_accvgpr_read_b32 v0, a22
	s_or_b64 s[66:67], s[28:29], s[66:67]
	v_sub_u32_e32 v7, v7, v0
	s_andn2_b64 exec, exec, s[66:67]
	s_cbranch_execz .LBB4_4612
.LBB4_4228:                             ;   Parent Loop BB4_47 Depth=1
                                        ;     Parent Loop BB4_1895 Depth=2
                                        ; =>    This Inner Loop Header: Depth=3
	global_load_dwordx4 v[12:15], v[4:5], off glc slc
	global_load_dwordx4 v[8:11], v[16:17], off glc slc
	v_mov_b32_e32 v0, 0
	v_mov_b32_e32 v20, 0
	s_waitcnt vmcnt(1)
	v_cmp_ne_u16_sdwa s[28:29], v12, v59 src0_sel:BYTE_0 src1_sel:DWORD
	s_and_saveexec_b64 s[30:31], s[28:29]
	s_cbranch_execz .LBB4_4234
; %bb.4229:                             ;   in Loop: Header=BB4_4228 Depth=3
	v_cmp_ne_u16_sdwa s[28:29], v12, s91 src0_sel:BYTE_0 src1_sel:DWORD
	v_bfrev_b32_e32 v20, 1
	s_and_saveexec_b64 s[68:69], s[28:29]
	s_cbranch_execz .LBB4_4233
; %bb.4230:                             ;   in Loop: Header=BB4_4228 Depth=3
	v_and_b32_e32 v1, 0x7f, v12
	v_cmp_ne_u32_e64 s[28:29], s92, v1
	v_mov_b32_e32 v20, 0x7f800001
	s_and_saveexec_b64 s[70:71], s[28:29]
	s_cbranch_execz .LBB4_4232
; %bb.4231:                             ;   in Loop: Header=BB4_4228 Depth=3
	v_and_b32_e32 v20, 7, v12
	v_ffbh_u32_e32 v20, v20
	v_min_u32_e32 v20, 32, v20
	v_lshrrev_b32_e32 v21, 3, v1
	v_subrev_u32_e32 v22, 28, v20
	v_sub_u32_e32 v20, 29, v20
	v_cmp_gt_u32_e64 s[28:29], 8, v1
	v_cndmask_b32_e64 v1, v21, v20, s[28:29]
	v_cndmask_b32_e64 v20, 0, v22, s[28:29]
	v_lshlrev_b64 v[20:21], v20, v[12:13]
	v_lshlrev_b32_e32 v20, 20, v20
	v_lshlrev_b32_e32 v21, 24, v12
	v_bfrev_b32_e32 v22, 60
	v_and_b32_e32 v20, 0x700000, v20
	v_and_b32_e32 v21, 0x80000000, v21
	v_lshl_add_u32 v1, v1, 23, v22
	v_or3_b32 v20, v21, v1, v20
.LBB4_4232:                             ;   in Loop: Header=BB4_4228 Depth=3
	s_or_b64 exec, exec, s[70:71]
.LBB4_4233:                             ;   in Loop: Header=BB4_4228 Depth=3
	s_or_b64 exec, exec, s[68:69]
.LBB4_4234:                             ;   in Loop: Header=BB4_4228 Depth=3
	s_or_b64 exec, exec, s[30:31]
	s_waitcnt vmcnt(0)
	v_cmp_ne_u16_sdwa s[28:29], v8, v59 src0_sel:BYTE_0 src1_sel:DWORD
	s_and_saveexec_b64 s[30:31], s[28:29]
	s_cbranch_execz .LBB4_4240
; %bb.4235:                             ;   in Loop: Header=BB4_4228 Depth=3
	v_cmp_ne_u16_sdwa s[28:29], v8, s91 src0_sel:BYTE_0 src1_sel:DWORD
	v_bfrev_b32_e32 v0, 1
	s_and_saveexec_b64 s[68:69], s[28:29]
	s_cbranch_execz .LBB4_4239
; %bb.4236:                             ;   in Loop: Header=BB4_4228 Depth=3
	v_and_b32_e32 v1, 0x7f, v8
	v_cmp_ne_u32_e64 s[28:29], s92, v1
	v_mov_b32_e32 v0, 0x7f800001
	s_and_saveexec_b64 s[70:71], s[28:29]
	s_cbranch_execz .LBB4_4238
; %bb.4237:                             ;   in Loop: Header=BB4_4228 Depth=3
	v_and_b32_e32 v0, 7, v8
	v_ffbh_u32_e32 v0, v0
	v_min_u32_e32 v0, 32, v0
	v_lshrrev_b32_e32 v21, 3, v1
	v_subrev_u32_e32 v22, 28, v0
	v_sub_u32_e32 v0, 29, v0
	v_cmp_gt_u32_e64 s[28:29], 8, v1
	v_cndmask_b32_e64 v21, v21, v0, s[28:29]
	v_cndmask_b32_e64 v0, 0, v22, s[28:29]
	v_lshlrev_b64 v[0:1], v0, v[8:9]
	v_lshlrev_b32_e32 v0, 20, v0
	v_lshlrev_b32_e32 v1, 24, v8
	v_bfrev_b32_e32 v22, 60
	v_and_b32_e32 v0, 0x700000, v0
	v_and_b32_e32 v1, 0x80000000, v1
	v_lshl_add_u32 v21, v21, 23, v22
	v_or3_b32 v0, v1, v21, v0
.LBB4_4238:                             ;   in Loop: Header=BB4_4228 Depth=3
	s_or_b64 exec, exec, s[70:71]
.LBB4_4239:                             ;   in Loop: Header=BB4_4228 Depth=3
	s_or_b64 exec, exec, s[68:69]
.LBB4_4240:                             ;   in Loop: Header=BB4_4228 Depth=3
	s_or_b64 exec, exec, s[30:31]
	v_add_f32_e32 v20, v20, v0
	v_and_b32_sdwa v0, v20, s91 dst_sel:DWORD dst_unused:UNUSED_PAD src0_sel:BYTE_3 src1_sel:DWORD
	v_and_b32_e32 v26, 0x7f800000, v20
	v_mov_b32_e32 v27, v59
	v_and_b32_e32 v58, 0x7fffff, v20
	v_or_b32_e32 v25, 0x7e, v0
	v_cmp_ne_u64_e64 s[28:29], s[54:55], v[26:27]
	s_and_saveexec_b64 s[30:31], s[28:29]
	s_xor_b64 s[68:69], exec, s[30:31]
	s_cbranch_execz .LBB4_4250
; %bb.4241:                             ;   in Loop: Header=BB4_4228 Depth=3
	v_and_b32_e32 v26, 0x7fffffff, v20
	v_mov_b32_e32 v27, v59
	v_cmp_gt_u64_e64 s[28:29], s[56:57], v[26:27]
	s_and_saveexec_b64 s[70:71], s[28:29]
	s_cbranch_execz .LBB4_4249
; %bb.4242:                             ;   in Loop: Header=BB4_4228 Depth=3
	v_cmp_ne_u32_e64 s[28:29], 0, v20
	v_mov_b32_e32 v25, 0
	s_and_saveexec_b64 s[72:73], s[28:29]
	s_cbranch_execz .LBB4_4248
; %bb.4243:                             ;   in Loop: Header=BB4_4228 Depth=3
	v_bfe_u32 v1, v20, 23, 8
	v_sub_u32_e32 v21, 0x79, v1
	v_cmp_gt_u32_e64 s[28:29], s93, v1
	v_add_u32_e32 v20, 0xffffff81, v1
	v_cndmask_b32_e64 v21, 0, v21, s[28:29]
	v_cmp_eq_u32_e64 s[28:29], 0, v1
	v_mov_b32_e32 v1, 0xffffff82
	v_cndmask_b32_e64 v1, v20, v1, s[28:29]
	v_mov_b32_e32 v20, 0x78
	v_or_b32_e32 v22, 0x800000, v58
	v_cndmask_b32_e64 v25, v21, v20, s[28:29]
	v_cndmask_b32_e64 v58, v22, v58, s[28:29]
	v_add_u32_e32 v20, 20, v25
	v_lshlrev_b64 v[20:21], v20, -1
	v_add_u32_e32 v22, 19, v25
	v_lshrrev_b64 v[30:31], v25, v[58:59]
	v_not_b32_e32 v21, v21
	v_not_b32_e32 v20, v20
	v_lshlrev_b64 v[28:29], v22, 1
	v_lshrrev_b32_e32 v22, 23, v30
	v_and_b32_e32 v21, 0, v21
	v_and_b32_e32 v20, v58, v20
	v_add3_u32 v26, v25, v1, v22
	v_bfe_u32 v1, v30, 20, 1
	v_add_u32_e32 v1, -1, v1
	v_cmp_eq_u64_e64 s[28:29], v[20:21], v[28:29]
	v_cndmask_b32_e64 v1, 0, v1, s[28:29]
	v_add_u32_e32 v1, v1, v30
	v_and_b32_e32 v1, 0xfffff, v1
	v_add_co_u32_e64 v20, s[28:29], v1, v30
	v_add_u32_e32 v25, 6, v26
	v_addc_co_u32_e64 v21, s[28:29], 0, v31, s[28:29]
	v_cmp_ne_u32_e64 s[28:29], 0, v25
                                        ; implicit-def: $vgpr22
	s_and_saveexec_b64 s[30:31], s[28:29]
	s_xor_b64 s[30:31], exec, s[30:31]
; %bb.4244:                             ;   in Loop: Header=BB4_4228 Depth=3
	v_add_u32_e32 v1, 7, v26
	v_cmp_lt_u64_e64 s[28:29], s[58:59], v[20:21]
	v_cndmask_b32_e64 v22, v25, v1, s[28:29]
	v_cndmask_b32_e64 v1, 0, 1, s[28:29]
	v_lshrrev_b64 v[20:21], v1, v[20:21]
; %bb.4245:                             ;   in Loop: Header=BB4_4228 Depth=3
	s_andn2_saveexec_b64 s[28:29], s[30:31]
; %bb.4246:                             ;   in Loop: Header=BB4_4228 Depth=3
	v_bfe_u32 v22, v20, 23, 1
; %bb.4247:                             ;   in Loop: Header=BB4_4228 Depth=3
	s_or_b64 exec, exec, s[28:29]
	v_lshrrev_b64 v[20:21], 20, v[20:21]
	v_cmp_gt_i32_e64 s[28:29], 16, v22
	v_cndmask_b32_e64 v21, 0, v21, s[28:29]
	v_cndmask_b32_e64 v20, 7, v20, s[28:29]
	v_min_i32_e32 v1, 15, v22
	v_cmp_eq_u32_e64 s[28:29], 0, v22
	v_cmp_eq_u64_e64 s[30:31], 0, v[20:21]
	v_lshlrev_b32_e32 v1, 3, v1
	v_and_or_b32 v1, v20, 7, v1
	s_and_b64 s[28:29], s[28:29], s[30:31]
	v_cndmask_b32_e64 v1, v1, 0, s[28:29]
	v_or_b32_e32 v25, v1, v0
.LBB4_4248:                             ;   in Loop: Header=BB4_4228 Depth=3
	s_or_b64 exec, exec, s[72:73]
.LBB4_4249:                             ;   in Loop: Header=BB4_4228 Depth=3
	s_or_b64 exec, exec, s[70:71]
                                        ; implicit-def: $vgpr20
.LBB4_4250:                             ;   in Loop: Header=BB4_4228 Depth=3
	s_andn2_saveexec_b64 s[30:31], s[68:69]
; %bb.4251:                             ;   in Loop: Header=BB4_4228 Depth=3
	v_or_b32_sdwa v0, v20, s92 dst_sel:DWORD dst_unused:UNUSED_PAD src0_sel:BYTE_3 src1_sel:DWORD
	v_cmp_eq_u64_e64 s[28:29], 0, v[58:59]
	v_cndmask_b32_e64 v25, v0, v25, s[28:29]
; %bb.4252:                             ;   in Loop: Header=BB4_4228 Depth=3
	s_or_b64 exec, exec, s[30:31]
	v_lshrrev_b16_e32 v20, 8, v12
	v_cmp_ne_u16_e64 s[28:29], 0, v20
	v_mov_b32_e32 v0, 0
	v_mov_b32_e32 v21, 0
	s_and_saveexec_b64 s[30:31], s[28:29]
	s_cbranch_execz .LBB4_4258
; %bb.4253:                             ;   in Loop: Header=BB4_4228 Depth=3
	v_cmp_ne_u16_e64 s[28:29], s91, v20
	v_bfrev_b32_e32 v21, 1
	s_and_saveexec_b64 s[68:69], s[28:29]
	s_cbranch_execz .LBB4_4257
; %bb.4254:                             ;   in Loop: Header=BB4_4228 Depth=3
	v_and_b32_e32 v1, 0x7f, v20
	v_cmp_ne_u32_e64 s[28:29], s92, v1
	v_mov_b32_e32 v21, 0x7f800001
	s_and_saveexec_b64 s[70:71], s[28:29]
	s_cbranch_execz .LBB4_4256
; %bb.4255:                             ;   in Loop: Header=BB4_4228 Depth=3
	v_and_b32_e32 v22, 7, v20
	v_ffbh_u32_e32 v21, v22
	v_min_u32_e32 v27, 32, v21
	v_subrev_u32_e32 v21, 28, v27
	v_lshlrev_b64 v[20:21], v21, v[20:21]
	v_lshrrev_b32_e32 v26, 3, v1
	v_sub_u32_e32 v21, 29, v27
	v_and_b32_e32 v20, 7, v20
	v_cmp_gt_u32_e64 s[28:29], 8, v1
	v_cndmask_b32_e64 v1, v26, v21, s[28:29]
	v_cndmask_b32_e64 v20, v22, v20, s[28:29]
	v_lshlrev_b32_e32 v21, 16, v12
	v_bfrev_b32_e32 v22, 60
	v_lshlrev_b32_e32 v20, 20, v20
	v_and_b32_e32 v21, 0x80000000, v21
	v_lshl_add_u32 v1, v1, 23, v22
	v_or3_b32 v21, v21, v1, v20
.LBB4_4256:                             ;   in Loop: Header=BB4_4228 Depth=3
	s_or_b64 exec, exec, s[70:71]
.LBB4_4257:                             ;   in Loop: Header=BB4_4228 Depth=3
	s_or_b64 exec, exec, s[68:69]
.LBB4_4258:                             ;   in Loop: Header=BB4_4228 Depth=3
	s_or_b64 exec, exec, s[30:31]
	v_lshrrev_b16_e32 v20, 8, v8
	v_cmp_ne_u16_e64 s[28:29], 0, v20
	s_and_saveexec_b64 s[30:31], s[28:29]
	s_cbranch_execz .LBB4_4264
; %bb.4259:                             ;   in Loop: Header=BB4_4228 Depth=3
	v_cmp_ne_u16_e64 s[28:29], s91, v20
	v_bfrev_b32_e32 v0, 1
	s_and_saveexec_b64 s[68:69], s[28:29]
	s_cbranch_execz .LBB4_4263
; %bb.4260:                             ;   in Loop: Header=BB4_4228 Depth=3
	v_and_b32_e32 v1, 0x7f, v20
	v_cmp_ne_u32_e64 s[28:29], s92, v1
	v_mov_b32_e32 v0, 0x7f800001
	s_and_saveexec_b64 s[70:71], s[28:29]
	s_cbranch_execz .LBB4_4262
; %bb.4261:                             ;   in Loop: Header=BB4_4228 Depth=3
	v_and_b32_e32 v0, 7, v20
	v_ffbh_u32_e32 v26, v0
	v_min_u32_e32 v28, 32, v26
	v_subrev_u32_e32 v26, 28, v28
	v_lshlrev_b64 v[26:27], v26, v[20:21]
	v_lshrrev_b32_e32 v22, 3, v1
	v_sub_u32_e32 v20, 29, v28
	v_and_b32_e32 v26, 7, v26
	v_cmp_gt_u32_e64 s[28:29], 8, v1
	v_cndmask_b32_e64 v1, v22, v20, s[28:29]
	v_cndmask_b32_e64 v0, v0, v26, s[28:29]
	v_lshlrev_b32_e32 v20, 16, v8
	v_bfrev_b32_e32 v22, 60
	v_lshlrev_b32_e32 v0, 20, v0
	v_and_b32_e32 v20, 0x80000000, v20
	v_lshl_add_u32 v1, v1, 23, v22
	v_or3_b32 v0, v20, v1, v0
.LBB4_4262:                             ;   in Loop: Header=BB4_4228 Depth=3
	s_or_b64 exec, exec, s[70:71]
.LBB4_4263:                             ;   in Loop: Header=BB4_4228 Depth=3
	s_or_b64 exec, exec, s[68:69]
.LBB4_4264:                             ;   in Loop: Header=BB4_4228 Depth=3
	s_or_b64 exec, exec, s[30:31]
	v_add_f32_e32 v20, v21, v0
	v_and_b32_sdwa v0, v20, s91 dst_sel:DWORD dst_unused:UNUSED_PAD src0_sel:BYTE_3 src1_sel:DWORD
	v_and_b32_e32 v28, 0x7f800000, v20
	v_mov_b32_e32 v29, v59
	v_and_b32_e32 v58, 0x7fffff, v20
	v_or_b32_e32 v26, 0x7e, v0
	v_cmp_ne_u64_e64 s[28:29], s[54:55], v[28:29]
	s_and_saveexec_b64 s[30:31], s[28:29]
	s_xor_b64 s[68:69], exec, s[30:31]
	s_cbranch_execz .LBB4_4274
; %bb.4265:                             ;   in Loop: Header=BB4_4228 Depth=3
	v_and_b32_e32 v28, 0x7fffffff, v20
	v_mov_b32_e32 v29, v59
	v_cmp_gt_u64_e64 s[28:29], s[56:57], v[28:29]
	s_and_saveexec_b64 s[70:71], s[28:29]
	s_cbranch_execz .LBB4_4273
; %bb.4266:                             ;   in Loop: Header=BB4_4228 Depth=3
	v_cmp_ne_u32_e64 s[28:29], 0, v20
	v_mov_b32_e32 v26, 0
	s_and_saveexec_b64 s[72:73], s[28:29]
	s_cbranch_execz .LBB4_4272
; %bb.4267:                             ;   in Loop: Header=BB4_4228 Depth=3
	v_bfe_u32 v1, v20, 23, 8
	v_sub_u32_e32 v21, 0x79, v1
	v_cmp_gt_u32_e64 s[28:29], s93, v1
	v_add_u32_e32 v20, 0xffffff81, v1
	v_cndmask_b32_e64 v21, 0, v21, s[28:29]
	v_cmp_eq_u32_e64 s[28:29], 0, v1
	v_mov_b32_e32 v1, 0xffffff82
	v_cndmask_b32_e64 v1, v20, v1, s[28:29]
	v_mov_b32_e32 v20, 0x78
	v_or_b32_e32 v22, 0x800000, v58
	v_cndmask_b32_e64 v26, v21, v20, s[28:29]
	v_cndmask_b32_e64 v58, v22, v58, s[28:29]
	v_add_u32_e32 v20, 20, v26
	v_lshlrev_b64 v[20:21], v20, -1
	v_add_u32_e32 v22, 19, v26
	v_lshrrev_b64 v[30:31], v26, v[58:59]
	v_not_b32_e32 v21, v21
	v_not_b32_e32 v20, v20
	v_lshlrev_b64 v[28:29], v22, 1
	v_lshrrev_b32_e32 v22, 23, v30
	v_and_b32_e32 v21, 0, v21
	v_and_b32_e32 v20, v58, v20
	v_add3_u32 v27, v26, v1, v22
	v_bfe_u32 v1, v30, 20, 1
	v_add_u32_e32 v1, -1, v1
	v_cmp_eq_u64_e64 s[28:29], v[20:21], v[28:29]
	v_cndmask_b32_e64 v1, 0, v1, s[28:29]
	v_add_u32_e32 v1, v1, v30
	v_and_b32_e32 v1, 0xfffff, v1
	v_add_co_u32_e64 v20, s[28:29], v1, v30
	v_add_u32_e32 v26, 6, v27
	v_addc_co_u32_e64 v21, s[28:29], 0, v31, s[28:29]
	v_cmp_ne_u32_e64 s[28:29], 0, v26
                                        ; implicit-def: $vgpr22
	s_and_saveexec_b64 s[30:31], s[28:29]
	s_xor_b64 s[30:31], exec, s[30:31]
; %bb.4268:                             ;   in Loop: Header=BB4_4228 Depth=3
	v_add_u32_e32 v1, 7, v27
	v_cmp_lt_u64_e64 s[28:29], s[58:59], v[20:21]
	v_cndmask_b32_e64 v22, v26, v1, s[28:29]
	v_cndmask_b32_e64 v1, 0, 1, s[28:29]
	v_lshrrev_b64 v[20:21], v1, v[20:21]
; %bb.4269:                             ;   in Loop: Header=BB4_4228 Depth=3
	s_andn2_saveexec_b64 s[28:29], s[30:31]
; %bb.4270:                             ;   in Loop: Header=BB4_4228 Depth=3
	v_bfe_u32 v22, v20, 23, 1
; %bb.4271:                             ;   in Loop: Header=BB4_4228 Depth=3
	s_or_b64 exec, exec, s[28:29]
	v_lshrrev_b64 v[20:21], 20, v[20:21]
	v_cmp_gt_i32_e64 s[28:29], 16, v22
	v_cndmask_b32_e64 v21, 0, v21, s[28:29]
	v_cndmask_b32_e64 v20, 7, v20, s[28:29]
	v_min_i32_e32 v1, 15, v22
	v_cmp_eq_u32_e64 s[28:29], 0, v22
	v_cmp_eq_u64_e64 s[30:31], 0, v[20:21]
	v_lshlrev_b32_e32 v1, 3, v1
	v_and_or_b32 v1, v20, 7, v1
	s_and_b64 s[28:29], s[28:29], s[30:31]
	v_cndmask_b32_e64 v1, v1, 0, s[28:29]
	v_or_b32_e32 v26, v1, v0
.LBB4_4272:                             ;   in Loop: Header=BB4_4228 Depth=3
	s_or_b64 exec, exec, s[72:73]
.LBB4_4273:                             ;   in Loop: Header=BB4_4228 Depth=3
	s_or_b64 exec, exec, s[70:71]
                                        ; implicit-def: $vgpr20
.LBB4_4274:                             ;   in Loop: Header=BB4_4228 Depth=3
	s_andn2_saveexec_b64 s[30:31], s[68:69]
; %bb.4275:                             ;   in Loop: Header=BB4_4228 Depth=3
	v_or_b32_sdwa v0, v20, s92 dst_sel:DWORD dst_unused:UNUSED_PAD src0_sel:BYTE_3 src1_sel:DWORD
	v_cmp_eq_u64_e64 s[28:29], 0, v[58:59]
	v_cndmask_b32_e64 v26, v0, v26, s[28:29]
; %bb.4276:                             ;   in Loop: Header=BB4_4228 Depth=3
	s_or_b64 exec, exec, s[30:31]
	v_lshrrev_b32_e32 v20, 16, v12
	v_cmp_ne_u16_sdwa s[28:29], v20, v59 src0_sel:BYTE_0 src1_sel:DWORD
	v_mov_b32_e32 v0, 0
	v_mov_b32_e32 v21, 0
	s_and_saveexec_b64 s[30:31], s[28:29]
	s_cbranch_execz .LBB4_4282
; %bb.4277:                             ;   in Loop: Header=BB4_4228 Depth=3
	v_cmp_ne_u16_sdwa s[28:29], v20, s91 src0_sel:BYTE_0 src1_sel:DWORD
	v_bfrev_b32_e32 v21, 1
	s_and_saveexec_b64 s[68:69], s[28:29]
	s_cbranch_execz .LBB4_4281
; %bb.4278:                             ;   in Loop: Header=BB4_4228 Depth=3
	v_bfe_u32 v1, v12, 16, 7
	v_cmp_ne_u32_e64 s[28:29], s92, v1
	v_mov_b32_e32 v21, 0x7f800001
	s_and_saveexec_b64 s[70:71], s[28:29]
	s_cbranch_execz .LBB4_4280
; %bb.4279:                             ;   in Loop: Header=BB4_4228 Depth=3
	v_and_b32_e32 v21, 7, v20
	v_ffbh_u32_e32 v27, v21
	v_min_u32_e32 v27, 32, v27
	v_subrev_u32_e32 v28, 28, v27
	v_lshlrev_b64 v[28:29], v28, v[20:21]
	v_lshrrev_b32_e32 v22, 3, v1
	v_sub_u32_e32 v27, 29, v27
	v_and_b32_e32 v28, 7, v28
	v_cmp_gt_u32_e64 s[28:29], 8, v1
	v_cndmask_b32_e64 v1, v22, v27, s[28:29]
	v_cndmask_b32_e64 v21, v21, v28, s[28:29]
	v_lshlrev_b32_e32 v20, 24, v20
	v_bfrev_b32_e32 v22, 60
	v_lshlrev_b32_e32 v21, 20, v21
	v_and_b32_e32 v20, 0x80000000, v20
	v_lshl_add_u32 v1, v1, 23, v22
	v_or3_b32 v21, v20, v1, v21
.LBB4_4280:                             ;   in Loop: Header=BB4_4228 Depth=3
	s_or_b64 exec, exec, s[70:71]
.LBB4_4281:                             ;   in Loop: Header=BB4_4228 Depth=3
	s_or_b64 exec, exec, s[68:69]
.LBB4_4282:                             ;   in Loop: Header=BB4_4228 Depth=3
	s_or_b64 exec, exec, s[30:31]
	v_lshrrev_b32_e32 v20, 16, v8
	v_cmp_ne_u16_sdwa s[28:29], v20, v59 src0_sel:BYTE_0 src1_sel:DWORD
	s_and_saveexec_b64 s[30:31], s[28:29]
	s_cbranch_execz .LBB4_4288
; %bb.4283:                             ;   in Loop: Header=BB4_4228 Depth=3
	v_cmp_ne_u16_sdwa s[28:29], v20, s91 src0_sel:BYTE_0 src1_sel:DWORD
	v_bfrev_b32_e32 v0, 1
	s_and_saveexec_b64 s[68:69], s[28:29]
	s_cbranch_execz .LBB4_4287
; %bb.4284:                             ;   in Loop: Header=BB4_4228 Depth=3
	v_bfe_u32 v1, v8, 16, 7
	v_cmp_ne_u32_e64 s[28:29], s92, v1
	v_mov_b32_e32 v0, 0x7f800001
	s_and_saveexec_b64 s[70:71], s[28:29]
	s_cbranch_execz .LBB4_4286
; %bb.4285:                             ;   in Loop: Header=BB4_4228 Depth=3
	v_and_b32_e32 v0, 7, v20
	v_ffbh_u32_e32 v27, v0
	v_min_u32_e32 v27, 32, v27
	v_subrev_u32_e32 v28, 28, v27
	v_lshlrev_b64 v[28:29], v28, v[20:21]
	v_lshrrev_b32_e32 v22, 3, v1
	v_sub_u32_e32 v20, 29, v27
	v_and_b32_e32 v27, 7, v28
	v_cmp_gt_u32_e64 s[28:29], 8, v1
	v_cndmask_b32_e64 v1, v22, v20, s[28:29]
	v_cndmask_b32_e64 v0, v0, v27, s[28:29]
	v_lshlrev_b32_e32 v20, 8, v8
	v_bfrev_b32_e32 v22, 60
	v_lshlrev_b32_e32 v0, 20, v0
	v_and_b32_e32 v20, 0x80000000, v20
	v_lshl_add_u32 v1, v1, 23, v22
	v_or3_b32 v0, v20, v1, v0
.LBB4_4286:                             ;   in Loop: Header=BB4_4228 Depth=3
	s_or_b64 exec, exec, s[70:71]
.LBB4_4287:                             ;   in Loop: Header=BB4_4228 Depth=3
	s_or_b64 exec, exec, s[68:69]
.LBB4_4288:                             ;   in Loop: Header=BB4_4228 Depth=3
	s_or_b64 exec, exec, s[30:31]
	v_add_f32_e32 v20, v21, v0
	v_and_b32_sdwa v0, v20, s91 dst_sel:DWORD dst_unused:UNUSED_PAD src0_sel:BYTE_3 src1_sel:DWORD
	v_and_b32_e32 v28, 0x7f800000, v20
	v_mov_b32_e32 v29, v59
	v_and_b32_e32 v58, 0x7fffff, v20
	v_or_b32_e32 v27, 0x7e, v0
	v_cmp_ne_u64_e64 s[28:29], s[54:55], v[28:29]
	s_and_saveexec_b64 s[30:31], s[28:29]
	s_xor_b64 s[68:69], exec, s[30:31]
	s_cbranch_execz .LBB4_4298
; %bb.4289:                             ;   in Loop: Header=BB4_4228 Depth=3
	v_and_b32_e32 v28, 0x7fffffff, v20
	v_mov_b32_e32 v29, v59
	v_cmp_gt_u64_e64 s[28:29], s[56:57], v[28:29]
	s_and_saveexec_b64 s[70:71], s[28:29]
	s_cbranch_execz .LBB4_4297
; %bb.4290:                             ;   in Loop: Header=BB4_4228 Depth=3
	v_cmp_ne_u32_e64 s[28:29], 0, v20
	v_mov_b32_e32 v27, 0
	s_and_saveexec_b64 s[72:73], s[28:29]
	s_cbranch_execz .LBB4_4296
; %bb.4291:                             ;   in Loop: Header=BB4_4228 Depth=3
	v_bfe_u32 v1, v20, 23, 8
	v_sub_u32_e32 v21, 0x79, v1
	v_cmp_gt_u32_e64 s[28:29], s93, v1
	v_add_u32_e32 v20, 0xffffff81, v1
	v_cndmask_b32_e64 v21, 0, v21, s[28:29]
	v_cmp_eq_u32_e64 s[28:29], 0, v1
	v_mov_b32_e32 v1, 0xffffff82
	v_cndmask_b32_e64 v1, v20, v1, s[28:29]
	v_mov_b32_e32 v20, 0x78
	v_or_b32_e32 v22, 0x800000, v58
	v_cndmask_b32_e64 v27, v21, v20, s[28:29]
	v_cndmask_b32_e64 v58, v22, v58, s[28:29]
	v_add_u32_e32 v20, 20, v27
	v_lshlrev_b64 v[20:21], v20, -1
	v_add_u32_e32 v22, 19, v27
	v_lshrrev_b64 v[32:33], v27, v[58:59]
	v_not_b32_e32 v21, v21
	v_not_b32_e32 v20, v20
	v_lshlrev_b64 v[30:31], v22, 1
	v_lshrrev_b32_e32 v22, 23, v32
	v_and_b32_e32 v21, 0, v21
	v_and_b32_e32 v20, v58, v20
	v_add3_u32 v28, v27, v1, v22
	v_bfe_u32 v1, v32, 20, 1
	v_add_u32_e32 v1, -1, v1
	v_cmp_eq_u64_e64 s[28:29], v[20:21], v[30:31]
	v_cndmask_b32_e64 v1, 0, v1, s[28:29]
	v_add_u32_e32 v1, v1, v32
	v_and_b32_e32 v1, 0xfffff, v1
	v_add_co_u32_e64 v20, s[28:29], v1, v32
	v_add_u32_e32 v27, 6, v28
	v_addc_co_u32_e64 v21, s[28:29], 0, v33, s[28:29]
	v_cmp_ne_u32_e64 s[28:29], 0, v27
                                        ; implicit-def: $vgpr22
	s_and_saveexec_b64 s[30:31], s[28:29]
	s_xor_b64 s[30:31], exec, s[30:31]
; %bb.4292:                             ;   in Loop: Header=BB4_4228 Depth=3
	v_add_u32_e32 v1, 7, v28
	v_cmp_lt_u64_e64 s[28:29], s[58:59], v[20:21]
	v_cndmask_b32_e64 v22, v27, v1, s[28:29]
	v_cndmask_b32_e64 v1, 0, 1, s[28:29]
	v_lshrrev_b64 v[20:21], v1, v[20:21]
; %bb.4293:                             ;   in Loop: Header=BB4_4228 Depth=3
	s_andn2_saveexec_b64 s[28:29], s[30:31]
; %bb.4294:                             ;   in Loop: Header=BB4_4228 Depth=3
	v_bfe_u32 v22, v20, 23, 1
; %bb.4295:                             ;   in Loop: Header=BB4_4228 Depth=3
	s_or_b64 exec, exec, s[28:29]
	v_lshrrev_b64 v[20:21], 20, v[20:21]
	v_cmp_gt_i32_e64 s[28:29], 16, v22
	v_cndmask_b32_e64 v21, 0, v21, s[28:29]
	v_cndmask_b32_e64 v20, 7, v20, s[28:29]
	v_min_i32_e32 v1, 15, v22
	v_cmp_eq_u32_e64 s[28:29], 0, v22
	v_cmp_eq_u64_e64 s[30:31], 0, v[20:21]
	v_lshlrev_b32_e32 v1, 3, v1
	v_and_or_b32 v1, v20, 7, v1
	s_and_b64 s[28:29], s[28:29], s[30:31]
	v_cndmask_b32_e64 v1, v1, 0, s[28:29]
	v_or_b32_e32 v27, v1, v0
.LBB4_4296:                             ;   in Loop: Header=BB4_4228 Depth=3
	s_or_b64 exec, exec, s[72:73]
.LBB4_4297:                             ;   in Loop: Header=BB4_4228 Depth=3
	s_or_b64 exec, exec, s[70:71]
                                        ; implicit-def: $vgpr20
.LBB4_4298:                             ;   in Loop: Header=BB4_4228 Depth=3
	s_andn2_saveexec_b64 s[30:31], s[68:69]
; %bb.4299:                             ;   in Loop: Header=BB4_4228 Depth=3
	v_or_b32_sdwa v0, v20, s92 dst_sel:DWORD dst_unused:UNUSED_PAD src0_sel:BYTE_3 src1_sel:DWORD
	v_cmp_eq_u64_e64 s[28:29], 0, v[58:59]
	v_cndmask_b32_e64 v27, v0, v27, s[28:29]
; %bb.4300:                             ;   in Loop: Header=BB4_4228 Depth=3
	s_or_b64 exec, exec, s[30:31]
	v_cmp_lt_u32_e64 s[28:29], s45, v12
	v_mov_b32_e32 v0, 0
	v_mov_b32_e32 v21, 0
	s_and_saveexec_b64 s[30:31], s[28:29]
	s_cbranch_execz .LBB4_4306
; %bb.4301:                             ;   in Loop: Header=BB4_4228 Depth=3
	v_lshrrev_b32_e32 v20, 24, v12
	v_cmp_ne_u32_e64 s[28:29], s91, v20
	v_bfrev_b32_e32 v21, 1
	s_and_saveexec_b64 s[68:69], s[28:29]
	s_cbranch_execz .LBB4_4305
; %bb.4302:                             ;   in Loop: Header=BB4_4228 Depth=3
	v_bfe_u32 v1, v12, 24, 7
	v_cmp_ne_u32_e64 s[28:29], s92, v1
	v_mov_b32_e32 v21, 0x7f800001
	s_and_saveexec_b64 s[70:71], s[28:29]
	s_cbranch_execz .LBB4_4304
; %bb.4303:                             ;   in Loop: Header=BB4_4228 Depth=3
	v_and_b32_e32 v21, 7, v20
	v_ffbh_u32_e32 v28, v21
	v_min_u32_e32 v30, 32, v28
	v_subrev_u32_e32 v28, 28, v30
	v_lshlrev_b64 v[28:29], v28, v[20:21]
	v_lshrrev_b32_e32 v22, 3, v1
	v_sub_u32_e32 v29, 29, v30
	v_and_b32_e32 v28, 7, v28
	v_cmp_gt_u32_e64 s[28:29], 8, v1
	v_cndmask_b32_e64 v1, v22, v29, s[28:29]
	v_cndmask_b32_e64 v21, v21, v28, s[28:29]
	v_lshlrev_b32_e32 v20, 24, v20
	v_bfrev_b32_e32 v22, 60
	v_lshlrev_b32_e32 v21, 20, v21
	v_and_b32_e32 v20, 0x80000000, v20
	v_lshl_add_u32 v1, v1, 23, v22
	v_or3_b32 v21, v20, v1, v21
.LBB4_4304:                             ;   in Loop: Header=BB4_4228 Depth=3
	s_or_b64 exec, exec, s[70:71]
.LBB4_4305:                             ;   in Loop: Header=BB4_4228 Depth=3
	s_or_b64 exec, exec, s[68:69]
.LBB4_4306:                             ;   in Loop: Header=BB4_4228 Depth=3
	s_or_b64 exec, exec, s[30:31]
	v_cmp_lt_u32_e64 s[28:29], s45, v8
	s_and_saveexec_b64 s[30:31], s[28:29]
	s_cbranch_execz .LBB4_4312
; %bb.4307:                             ;   in Loop: Header=BB4_4228 Depth=3
	v_lshrrev_b32_e32 v20, 24, v8
	v_cmp_ne_u32_e64 s[28:29], s91, v20
	v_bfrev_b32_e32 v0, 1
	s_and_saveexec_b64 s[68:69], s[28:29]
	s_cbranch_execz .LBB4_4311
; %bb.4308:                             ;   in Loop: Header=BB4_4228 Depth=3
	v_bfe_u32 v1, v8, 24, 7
	v_cmp_ne_u32_e64 s[28:29], s92, v1
	v_mov_b32_e32 v0, 0x7f800001
	s_and_saveexec_b64 s[70:71], s[28:29]
	s_cbranch_execz .LBB4_4310
; %bb.4309:                             ;   in Loop: Header=BB4_4228 Depth=3
	v_and_b32_e32 v0, 7, v20
	v_ffbh_u32_e32 v28, v0
	v_min_u32_e32 v30, 32, v28
	v_subrev_u32_e32 v28, 28, v30
	v_lshlrev_b64 v[28:29], v28, v[20:21]
	v_lshrrev_b32_e32 v22, 3, v1
	v_sub_u32_e32 v29, 29, v30
	v_and_b32_e32 v28, 7, v28
	v_cmp_gt_u32_e64 s[28:29], 8, v1
	v_cndmask_b32_e64 v1, v22, v29, s[28:29]
	v_cndmask_b32_e64 v0, v0, v28, s[28:29]
	v_lshlrev_b32_e32 v20, 24, v20
	v_bfrev_b32_e32 v22, 60
	v_lshlrev_b32_e32 v0, 20, v0
	v_and_b32_e32 v20, 0x80000000, v20
	v_lshl_add_u32 v1, v1, 23, v22
	v_or3_b32 v0, v20, v1, v0
.LBB4_4310:                             ;   in Loop: Header=BB4_4228 Depth=3
	s_or_b64 exec, exec, s[70:71]
.LBB4_4311:                             ;   in Loop: Header=BB4_4228 Depth=3
	s_or_b64 exec, exec, s[68:69]
.LBB4_4312:                             ;   in Loop: Header=BB4_4228 Depth=3
	s_or_b64 exec, exec, s[30:31]
	v_add_f32_e32 v20, v21, v0
	v_and_b32_sdwa v22, v20, s91 dst_sel:DWORD dst_unused:UNUSED_PAD src0_sel:BYTE_3 src1_sel:DWORD
	v_and_b32_e32 v28, 0x7f800000, v20
	v_mov_b32_e32 v29, v59
	v_and_b32_e32 v58, 0x7fffff, v20
	v_or_b32_e32 v0, 0x7e, v22
	v_cmp_ne_u64_e64 s[28:29], s[54:55], v[28:29]
	s_and_saveexec_b64 s[30:31], s[28:29]
	s_xor_b64 s[68:69], exec, s[30:31]
	s_cbranch_execz .LBB4_4322
; %bb.4313:                             ;   in Loop: Header=BB4_4228 Depth=3
	v_and_b32_e32 v28, 0x7fffffff, v20
	v_mov_b32_e32 v29, v59
	v_cmp_gt_u64_e64 s[28:29], s[56:57], v[28:29]
	s_and_saveexec_b64 s[70:71], s[28:29]
	s_cbranch_execz .LBB4_4321
; %bb.4314:                             ;   in Loop: Header=BB4_4228 Depth=3
	v_cmp_ne_u32_e64 s[28:29], 0, v20
	v_mov_b32_e32 v0, 0
	s_and_saveexec_b64 s[72:73], s[28:29]
	s_cbranch_execz .LBB4_4320
; %bb.4315:                             ;   in Loop: Header=BB4_4228 Depth=3
	v_bfe_u32 v0, v20, 23, 8
	v_sub_u32_e32 v20, 0x79, v0
	v_cmp_gt_u32_e64 s[28:29], s93, v0
	v_add_u32_e32 v1, 0xffffff81, v0
	v_cndmask_b32_e64 v20, 0, v20, s[28:29]
	v_cmp_eq_u32_e64 s[28:29], 0, v0
	v_mov_b32_e32 v0, 0xffffff82
	v_cndmask_b32_e64 v28, v1, v0, s[28:29]
	v_mov_b32_e32 v0, 0x78
	v_or_b32_e32 v21, 0x800000, v58
	v_cndmask_b32_e64 v29, v20, v0, s[28:29]
	v_cndmask_b32_e64 v58, v21, v58, s[28:29]
	v_add_u32_e32 v0, 20, v29
	v_lshlrev_b64 v[0:1], v0, -1
	v_lshrrev_b64 v[30:31], v29, v[58:59]
	v_not_b32_e32 v1, v1
	v_not_b32_e32 v0, v0
	v_add_u32_e32 v20, 19, v29
	v_lshrrev_b32_e32 v32, 23, v30
	v_and_b32_e32 v1, 0, v1
	v_and_b32_e32 v0, v58, v0
	v_lshlrev_b64 v[20:21], v20, 1
	v_add3_u32 v29, v29, v28, v32
	v_bfe_u32 v32, v30, 20, 1
	v_add_u32_e32 v32, -1, v32
	v_cmp_eq_u64_e64 s[28:29], v[0:1], v[20:21]
	v_cndmask_b32_e64 v0, 0, v32, s[28:29]
	v_add_u32_e32 v0, v0, v30
	v_and_b32_e32 v0, 0xfffff, v0
	v_add_co_u32_e64 v20, s[28:29], v0, v30
	v_add_u32_e32 v28, 6, v29
	v_addc_co_u32_e64 v21, s[28:29], 0, v31, s[28:29]
	v_cmp_ne_u32_e64 s[28:29], 0, v28
                                        ; implicit-def: $vgpr0
	s_and_saveexec_b64 s[30:31], s[28:29]
	s_xor_b64 s[30:31], exec, s[30:31]
; %bb.4316:                             ;   in Loop: Header=BB4_4228 Depth=3
	v_cmp_lt_u64_e64 s[28:29], s[58:59], v[20:21]
	v_add_u32_e32 v0, 7, v29
	v_cndmask_b32_e64 v1, 0, 1, s[28:29]
	v_cndmask_b32_e64 v0, v28, v0, s[28:29]
	v_lshrrev_b64 v[20:21], v1, v[20:21]
; %bb.4317:                             ;   in Loop: Header=BB4_4228 Depth=3
	s_andn2_saveexec_b64 s[28:29], s[30:31]
; %bb.4318:                             ;   in Loop: Header=BB4_4228 Depth=3
	v_bfe_u32 v0, v20, 23, 1
; %bb.4319:                             ;   in Loop: Header=BB4_4228 Depth=3
	s_or_b64 exec, exec, s[28:29]
	v_lshrrev_b64 v[20:21], 20, v[20:21]
	v_cmp_gt_i32_e64 s[28:29], 16, v0
	v_cndmask_b32_e64 v21, 0, v21, s[28:29]
	v_cndmask_b32_e64 v20, 7, v20, s[28:29]
	v_cmp_eq_u32_e64 s[28:29], 0, v0
	v_min_i32_e32 v0, 15, v0
	v_cmp_eq_u64_e64 s[30:31], 0, v[20:21]
	v_lshlrev_b32_e32 v0, 3, v0
	v_and_or_b32 v0, v20, 7, v0
	s_and_b64 s[28:29], s[28:29], s[30:31]
	v_cndmask_b32_e64 v0, v0, 0, s[28:29]
	v_or_b32_e32 v0, v0, v22
.LBB4_4320:                             ;   in Loop: Header=BB4_4228 Depth=3
	s_or_b64 exec, exec, s[72:73]
.LBB4_4321:                             ;   in Loop: Header=BB4_4228 Depth=3
	s_or_b64 exec, exec, s[70:71]
                                        ; implicit-def: $vgpr20
.LBB4_4322:                             ;   in Loop: Header=BB4_4228 Depth=3
	s_andn2_saveexec_b64 s[30:31], s[68:69]
; %bb.4323:                             ;   in Loop: Header=BB4_4228 Depth=3
	v_or_b32_sdwa v1, v20, s92 dst_sel:DWORD dst_unused:UNUSED_PAD src0_sel:BYTE_3 src1_sel:DWORD
	v_cmp_eq_u64_e64 s[28:29], 0, v[58:59]
	v_cndmask_b32_e64 v0, v1, v0, s[28:29]
; %bb.4324:                             ;   in Loop: Header=BB4_4228 Depth=3
	s_or_b64 exec, exec, s[30:31]
	v_mov_b32_e32 v58, v13
	v_cmp_ne_u16_sdwa s[28:29], v13, v59 src0_sel:BYTE_0 src1_sel:DWORD
	v_mov_b32_e32 v21, 0
	v_mov_b32_e32 v20, 0
	s_and_saveexec_b64 s[30:31], s[28:29]
	s_cbranch_execz .LBB4_4330
; %bb.4325:                             ;   in Loop: Header=BB4_4228 Depth=3
	v_cmp_ne_u16_sdwa s[28:29], v13, s91 src0_sel:BYTE_0 src1_sel:DWORD
	v_bfrev_b32_e32 v20, 1
	s_and_saveexec_b64 s[68:69], s[28:29]
	s_cbranch_execz .LBB4_4329
; %bb.4326:                             ;   in Loop: Header=BB4_4228 Depth=3
	v_and_b32_e32 v1, 0x7f, v13
	v_cmp_ne_u32_e64 s[28:29], s92, v1
	v_mov_b32_e32 v20, 0x7f800001
	s_and_saveexec_b64 s[70:71], s[28:29]
	s_cbranch_execz .LBB4_4328
; %bb.4327:                             ;   in Loop: Header=BB4_4228 Depth=3
	v_and_b32_e32 v20, 7, v13
	v_ffbh_u32_e32 v20, v20
	v_min_u32_e32 v20, 32, v20
	v_lshrrev_b32_e32 v22, 3, v1
	v_subrev_u32_e32 v28, 28, v20
	v_sub_u32_e32 v20, 29, v20
	v_cmp_gt_u32_e64 s[28:29], 8, v1
	v_cndmask_b32_e64 v1, v22, v20, s[28:29]
	v_cndmask_b32_e64 v20, 0, v28, s[28:29]
	v_lshlrev_b64 v[28:29], v20, v[58:59]
	v_lshlrev_b32_e32 v20, 20, v28
	v_lshlrev_b32_e32 v22, 24, v58
	v_bfrev_b32_e32 v28, 60
	v_and_b32_e32 v20, 0x700000, v20
	v_and_b32_e32 v22, 0x80000000, v22
	v_lshl_add_u32 v1, v1, 23, v28
	v_or3_b32 v20, v22, v1, v20
.LBB4_4328:                             ;   in Loop: Header=BB4_4228 Depth=3
	s_or_b64 exec, exec, s[70:71]
.LBB4_4329:                             ;   in Loop: Header=BB4_4228 Depth=3
	s_or_b64 exec, exec, s[68:69]
.LBB4_4330:                             ;   in Loop: Header=BB4_4228 Depth=3
	s_or_b64 exec, exec, s[30:31]
	v_cmp_ne_u16_sdwa s[28:29], v9, v59 src0_sel:BYTE_0 src1_sel:DWORD
	s_and_saveexec_b64 s[30:31], s[28:29]
	s_cbranch_execz .LBB4_4336
; %bb.4331:                             ;   in Loop: Header=BB4_4228 Depth=3
	v_cmp_ne_u16_sdwa s[28:29], v9, s91 src0_sel:BYTE_0 src1_sel:DWORD
	v_bfrev_b32_e32 v21, 1
	s_and_saveexec_b64 s[68:69], s[28:29]
	s_cbranch_execz .LBB4_4335
; %bb.4332:                             ;   in Loop: Header=BB4_4228 Depth=3
	v_and_b32_e32 v1, 0x7f, v9
	v_cmp_ne_u32_e64 s[28:29], s92, v1
	v_mov_b32_e32 v21, 0x7f800001
	s_and_saveexec_b64 s[70:71], s[28:29]
	s_cbranch_execz .LBB4_4334
; %bb.4333:                             ;   in Loop: Header=BB4_4228 Depth=3
	v_and_b32_e32 v21, 7, v9
	v_ffbh_u32_e32 v21, v21
	v_min_u32_e32 v21, 32, v21
	v_lshrrev_b32_e32 v22, 3, v1
	v_subrev_u32_e32 v30, 28, v21
	v_sub_u32_e32 v21, 29, v21
	v_cmp_gt_u32_e64 s[28:29], 8, v1
	v_mov_b32_e32 v28, v9
	v_mov_b32_e32 v29, v59
	v_cndmask_b32_e64 v1, v22, v21, s[28:29]
	v_cndmask_b32_e64 v21, 0, v30, s[28:29]
	v_lshlrev_b64 v[30:31], v21, v[28:29]
	v_lshlrev_b32_e32 v21, 20, v30
	v_lshlrev_b32_e32 v22, 24, v28
	v_bfrev_b32_e32 v28, 60
	v_and_b32_e32 v21, 0x700000, v21
	v_and_b32_e32 v22, 0x80000000, v22
	v_lshl_add_u32 v1, v1, 23, v28
	v_or3_b32 v21, v22, v1, v21
.LBB4_4334:                             ;   in Loop: Header=BB4_4228 Depth=3
	s_or_b64 exec, exec, s[70:71]
.LBB4_4335:                             ;   in Loop: Header=BB4_4228 Depth=3
	s_or_b64 exec, exec, s[68:69]
.LBB4_4336:                             ;   in Loop: Header=BB4_4228 Depth=3
	s_or_b64 exec, exec, s[30:31]
	v_add_f32_e32 v29, v20, v21
	v_and_b32_sdwa v22, v29, s91 dst_sel:DWORD dst_unused:UNUSED_PAD src0_sel:BYTE_3 src1_sel:DWORD
	v_and_b32_e32 v30, 0x7f800000, v29
	v_mov_b32_e32 v31, v59
	v_and_b32_e32 v20, 0x7fffff, v29
	v_mov_b32_e32 v21, v59
	v_or_b32_e32 v28, 0x7e, v22
	v_cmp_ne_u64_e64 s[28:29], s[54:55], v[30:31]
	s_and_saveexec_b64 s[30:31], s[28:29]
	s_xor_b64 s[68:69], exec, s[30:31]
	s_cbranch_execz .LBB4_4346
; %bb.4337:                             ;   in Loop: Header=BB4_4228 Depth=3
	v_and_b32_e32 v30, 0x7fffffff, v29
	v_mov_b32_e32 v31, v59
	v_cmp_gt_u64_e64 s[28:29], s[56:57], v[30:31]
	s_and_saveexec_b64 s[70:71], s[28:29]
	s_cbranch_execz .LBB4_4345
; %bb.4338:                             ;   in Loop: Header=BB4_4228 Depth=3
	v_cmp_ne_u32_e64 s[28:29], 0, v29
	v_mov_b32_e32 v28, 0
	s_and_saveexec_b64 s[72:73], s[28:29]
	s_cbranch_execz .LBB4_4344
; %bb.4339:                             ;   in Loop: Header=BB4_4228 Depth=3
	v_bfe_u32 v1, v29, 23, 8
	v_sub_u32_e32 v29, 0x79, v1
	v_cmp_gt_u32_e64 s[28:29], s93, v1
	v_add_u32_e32 v28, 0xffffff81, v1
	v_cndmask_b32_e64 v29, 0, v29, s[28:29]
	v_cmp_eq_u32_e64 s[28:29], 0, v1
	v_mov_b32_e32 v1, 0xffffff82
	v_cndmask_b32_e64 v1, v28, v1, s[28:29]
	v_mov_b32_e32 v28, 0x78
	v_cndmask_b32_e64 v31, v29, v28, s[28:29]
	v_add_u32_e32 v28, 20, v31
	v_or_b32_e32 v30, 0x800000, v20
	v_lshlrev_b64 v[28:29], v28, -1
	v_cndmask_b32_e64 v20, v30, v20, s[28:29]
	v_not_b32_e32 v28, v28
	v_and_b32_e32 v32, v20, v28
	v_add_u32_e32 v28, 19, v31
	v_lshrrev_b64 v[20:21], v31, v[20:21]
	v_not_b32_e32 v29, v29
	v_lshlrev_b64 v[34:35], v28, 1
	v_lshrrev_b32_e32 v28, 23, v20
	v_and_b32_e32 v33, 0, v29
	v_add3_u32 v30, v31, v1, v28
	v_bfe_u32 v1, v20, 20, 1
	v_add_u32_e32 v1, -1, v1
	v_cmp_eq_u64_e64 s[28:29], v[32:33], v[34:35]
	v_cndmask_b32_e64 v1, 0, v1, s[28:29]
	v_add_u32_e32 v1, v1, v20
	v_and_b32_e32 v1, 0xfffff, v1
	v_add_co_u32_e64 v20, s[28:29], v1, v20
	v_add_u32_e32 v29, 6, v30
	v_addc_co_u32_e64 v21, s[28:29], 0, v21, s[28:29]
	v_cmp_ne_u32_e64 s[28:29], 0, v29
                                        ; implicit-def: $vgpr28
	s_and_saveexec_b64 s[30:31], s[28:29]
	s_xor_b64 s[30:31], exec, s[30:31]
; %bb.4340:                             ;   in Loop: Header=BB4_4228 Depth=3
	v_add_u32_e32 v1, 7, v30
	v_cmp_lt_u64_e64 s[28:29], s[58:59], v[20:21]
	v_cndmask_b32_e64 v28, v29, v1, s[28:29]
	v_cndmask_b32_e64 v1, 0, 1, s[28:29]
	v_lshrrev_b64 v[20:21], v1, v[20:21]
; %bb.4341:                             ;   in Loop: Header=BB4_4228 Depth=3
	s_andn2_saveexec_b64 s[28:29], s[30:31]
; %bb.4342:                             ;   in Loop: Header=BB4_4228 Depth=3
	v_bfe_u32 v28, v20, 23, 1
; %bb.4343:                             ;   in Loop: Header=BB4_4228 Depth=3
	s_or_b64 exec, exec, s[28:29]
	v_lshrrev_b64 v[20:21], 20, v[20:21]
	v_cmp_gt_i32_e64 s[28:29], 16, v28
	v_cndmask_b32_e64 v21, 0, v21, s[28:29]
	v_cndmask_b32_e64 v20, 7, v20, s[28:29]
	v_min_i32_e32 v1, 15, v28
	v_cmp_eq_u32_e64 s[28:29], 0, v28
	v_cmp_eq_u64_e64 s[30:31], 0, v[20:21]
	v_lshlrev_b32_e32 v1, 3, v1
	v_and_or_b32 v1, v20, 7, v1
	s_and_b64 s[28:29], s[28:29], s[30:31]
	v_cndmask_b32_e64 v1, v1, 0, s[28:29]
	v_or_b32_e32 v28, v1, v22
.LBB4_4344:                             ;   in Loop: Header=BB4_4228 Depth=3
	s_or_b64 exec, exec, s[72:73]
.LBB4_4345:                             ;   in Loop: Header=BB4_4228 Depth=3
	s_or_b64 exec, exec, s[70:71]
                                        ; implicit-def: $vgpr29
                                        ; implicit-def: $vgpr20_vgpr21
.LBB4_4346:                             ;   in Loop: Header=BB4_4228 Depth=3
	s_andn2_saveexec_b64 s[30:31], s[68:69]
; %bb.4347:                             ;   in Loop: Header=BB4_4228 Depth=3
	v_or_b32_sdwa v1, v29, s92 dst_sel:DWORD dst_unused:UNUSED_PAD src0_sel:BYTE_3 src1_sel:DWORD
	v_cmp_eq_u64_e64 s[28:29], 0, v[20:21]
	v_cndmask_b32_e64 v28, v1, v28, s[28:29]
; %bb.4348:                             ;   in Loop: Header=BB4_4228 Depth=3
	s_or_b64 exec, exec, s[30:31]
	v_lshrrev_b16_e32 v20, 8, v58
	v_cmp_ne_u16_e64 s[28:29], 0, v20
	v_mov_b32_e32 v21, 0
	v_mov_b32_e32 v29, 0
	s_and_saveexec_b64 s[30:31], s[28:29]
	s_cbranch_execz .LBB4_4354
; %bb.4349:                             ;   in Loop: Header=BB4_4228 Depth=3
	v_cmp_ne_u16_e64 s[28:29], s91, v20
	v_bfrev_b32_e32 v29, 1
	s_and_saveexec_b64 s[68:69], s[28:29]
	s_cbranch_execz .LBB4_4353
; %bb.4350:                             ;   in Loop: Header=BB4_4228 Depth=3
	v_and_b32_e32 v1, 0x7f, v20
	v_cmp_ne_u32_e64 s[28:29], s92, v1
	v_mov_b32_e32 v29, 0x7f800001
	s_and_saveexec_b64 s[70:71], s[28:29]
	s_cbranch_execz .LBB4_4352
; %bb.4351:                             ;   in Loop: Header=BB4_4228 Depth=3
	v_and_b32_e32 v22, 7, v20
	v_ffbh_u32_e32 v30, v22
	v_min_u32_e32 v32, 32, v30
	v_subrev_u32_e32 v30, 28, v32
	v_lshlrev_b64 v[30:31], v30, v[20:21]
	v_lshrrev_b32_e32 v29, 3, v1
	v_sub_u32_e32 v20, 29, v32
	v_and_b32_e32 v30, 7, v30
	v_cmp_gt_u32_e64 s[28:29], 8, v1
	v_cndmask_b32_e64 v1, v29, v20, s[28:29]
	v_cndmask_b32_e64 v20, v22, v30, s[28:29]
	v_lshlrev_b32_e32 v22, 16, v58
	v_bfrev_b32_e32 v29, 60
	v_lshlrev_b32_e32 v20, 20, v20
	v_and_b32_e32 v22, 0x80000000, v22
	v_lshl_add_u32 v1, v1, 23, v29
	v_or3_b32 v29, v22, v1, v20
.LBB4_4352:                             ;   in Loop: Header=BB4_4228 Depth=3
	s_or_b64 exec, exec, s[70:71]
.LBB4_4353:                             ;   in Loop: Header=BB4_4228 Depth=3
	s_or_b64 exec, exec, s[68:69]
.LBB4_4354:                             ;   in Loop: Header=BB4_4228 Depth=3
	s_or_b64 exec, exec, s[30:31]
	v_mov_b32_e32 v20, v9
	v_lshrrev_b16_e32 v22, 8, v20
	v_cmp_ne_u16_e64 s[28:29], 0, v22
	s_and_saveexec_b64 s[30:31], s[28:29]
	s_cbranch_execz .LBB4_4360
; %bb.4355:                             ;   in Loop: Header=BB4_4228 Depth=3
	v_cmp_ne_u16_e64 s[28:29], s91, v22
	v_bfrev_b32_e32 v21, 1
	s_and_saveexec_b64 s[68:69], s[28:29]
	s_cbranch_execz .LBB4_4359
; %bb.4356:                             ;   in Loop: Header=BB4_4228 Depth=3
	v_and_b32_e32 v1, 0x7f, v22
	v_cmp_ne_u32_e64 s[28:29], s92, v1
	v_mov_b32_e32 v21, 0x7f800001
	s_and_saveexec_b64 s[70:71], s[28:29]
	s_cbranch_execz .LBB4_4358
; %bb.4357:                             ;   in Loop: Header=BB4_4228 Depth=3
	v_and_b32_e32 v21, 7, v22
	v_ffbh_u32_e32 v30, v21
	v_min_u32_e32 v33, 32, v30
	v_subrev_u32_e32 v30, 28, v33
	v_lshlrev_b64 v[30:31], v30, v[22:23]
	v_lshrrev_b32_e32 v32, 3, v1
	v_sub_u32_e32 v22, 29, v33
	v_and_b32_e32 v30, 7, v30
	v_cmp_gt_u32_e64 s[28:29], 8, v1
	v_cndmask_b32_e64 v1, v32, v22, s[28:29]
	v_cndmask_b32_e64 v21, v21, v30, s[28:29]
	v_lshlrev_b32_e32 v20, 16, v20
	v_bfrev_b32_e32 v22, 60
	v_lshlrev_b32_e32 v21, 20, v21
	v_and_b32_e32 v20, 0x80000000, v20
	v_lshl_add_u32 v1, v1, 23, v22
	v_or3_b32 v21, v20, v1, v21
.LBB4_4358:                             ;   in Loop: Header=BB4_4228 Depth=3
	s_or_b64 exec, exec, s[70:71]
.LBB4_4359:                             ;   in Loop: Header=BB4_4228 Depth=3
	s_or_b64 exec, exec, s[68:69]
.LBB4_4360:                             ;   in Loop: Header=BB4_4228 Depth=3
	s_or_b64 exec, exec, s[30:31]
	v_add_f32_e32 v20, v29, v21
	v_and_b32_sdwa v29, v20, s91 dst_sel:DWORD dst_unused:UNUSED_PAD src0_sel:BYTE_3 src1_sel:DWORD
	v_and_b32_e32 v30, 0x7f800000, v20
	v_mov_b32_e32 v31, v59
	v_and_b32_e32 v58, 0x7fffff, v20
	v_or_b32_e32 v22, 0x7e, v29
	v_cmp_ne_u64_e64 s[28:29], s[54:55], v[30:31]
	s_and_saveexec_b64 s[30:31], s[28:29]
	s_xor_b64 s[68:69], exec, s[30:31]
	s_cbranch_execz .LBB4_4370
; %bb.4361:                             ;   in Loop: Header=BB4_4228 Depth=3
	v_and_b32_e32 v30, 0x7fffffff, v20
	v_mov_b32_e32 v31, v59
	v_cmp_gt_u64_e64 s[28:29], s[56:57], v[30:31]
	s_and_saveexec_b64 s[70:71], s[28:29]
	s_cbranch_execz .LBB4_4369
; %bb.4362:                             ;   in Loop: Header=BB4_4228 Depth=3
	v_cmp_ne_u32_e64 s[28:29], 0, v20
	v_mov_b32_e32 v22, 0
	s_and_saveexec_b64 s[72:73], s[28:29]
	s_cbranch_execz .LBB4_4368
; %bb.4363:                             ;   in Loop: Header=BB4_4228 Depth=3
	v_bfe_u32 v1, v20, 23, 8
	v_sub_u32_e32 v21, 0x79, v1
	v_cmp_gt_u32_e64 s[28:29], s93, v1
	v_add_u32_e32 v20, 0xffffff81, v1
	v_cndmask_b32_e64 v21, 0, v21, s[28:29]
	v_cmp_eq_u32_e64 s[28:29], 0, v1
	v_mov_b32_e32 v1, 0xffffff82
	v_cndmask_b32_e64 v1, v20, v1, s[28:29]
	v_mov_b32_e32 v20, 0x78
	v_or_b32_e32 v22, 0x800000, v58
	v_cndmask_b32_e64 v30, v21, v20, s[28:29]
	v_cndmask_b32_e64 v58, v22, v58, s[28:29]
	v_add_u32_e32 v20, 20, v30
	v_lshlrev_b64 v[20:21], v20, -1
	v_add_u32_e32 v22, 19, v30
	v_lshrrev_b64 v[34:35], v30, v[58:59]
	v_not_b32_e32 v21, v21
	v_not_b32_e32 v20, v20
	v_lshlrev_b64 v[32:33], v22, 1
	v_lshrrev_b32_e32 v22, 23, v34
	v_and_b32_e32 v21, 0, v21
	v_and_b32_e32 v20, v58, v20
	v_add3_u32 v31, v30, v1, v22
	v_bfe_u32 v1, v34, 20, 1
	v_add_u32_e32 v1, -1, v1
	v_cmp_eq_u64_e64 s[28:29], v[20:21], v[32:33]
	v_cndmask_b32_e64 v1, 0, v1, s[28:29]
	v_add_u32_e32 v1, v1, v34
	v_and_b32_e32 v1, 0xfffff, v1
	v_add_co_u32_e64 v20, s[28:29], v1, v34
	v_add_u32_e32 v30, 6, v31
	v_addc_co_u32_e64 v21, s[28:29], 0, v35, s[28:29]
	v_cmp_ne_u32_e64 s[28:29], 0, v30
                                        ; implicit-def: $vgpr22
	s_and_saveexec_b64 s[30:31], s[28:29]
	s_xor_b64 s[30:31], exec, s[30:31]
; %bb.4364:                             ;   in Loop: Header=BB4_4228 Depth=3
	v_add_u32_e32 v1, 7, v31
	v_cmp_lt_u64_e64 s[28:29], s[58:59], v[20:21]
	v_cndmask_b32_e64 v22, v30, v1, s[28:29]
	v_cndmask_b32_e64 v1, 0, 1, s[28:29]
	v_lshrrev_b64 v[20:21], v1, v[20:21]
; %bb.4365:                             ;   in Loop: Header=BB4_4228 Depth=3
	s_andn2_saveexec_b64 s[28:29], s[30:31]
; %bb.4366:                             ;   in Loop: Header=BB4_4228 Depth=3
	v_bfe_u32 v22, v20, 23, 1
; %bb.4367:                             ;   in Loop: Header=BB4_4228 Depth=3
	s_or_b64 exec, exec, s[28:29]
	v_lshrrev_b64 v[20:21], 20, v[20:21]
	v_cmp_gt_i32_e64 s[28:29], 16, v22
	v_cndmask_b32_e64 v21, 0, v21, s[28:29]
	v_cndmask_b32_e64 v20, 7, v20, s[28:29]
	v_min_i32_e32 v1, 15, v22
	v_cmp_eq_u32_e64 s[28:29], 0, v22
	v_cmp_eq_u64_e64 s[30:31], 0, v[20:21]
	v_lshlrev_b32_e32 v1, 3, v1
	v_and_or_b32 v1, v20, 7, v1
	s_and_b64 s[28:29], s[28:29], s[30:31]
	v_cndmask_b32_e64 v1, v1, 0, s[28:29]
	v_or_b32_e32 v22, v1, v29
.LBB4_4368:                             ;   in Loop: Header=BB4_4228 Depth=3
	s_or_b64 exec, exec, s[72:73]
.LBB4_4369:                             ;   in Loop: Header=BB4_4228 Depth=3
	s_or_b64 exec, exec, s[70:71]
                                        ; implicit-def: $vgpr20
.LBB4_4370:                             ;   in Loop: Header=BB4_4228 Depth=3
	s_andn2_saveexec_b64 s[30:31], s[68:69]
; %bb.4371:                             ;   in Loop: Header=BB4_4228 Depth=3
	v_or_b32_sdwa v1, v20, s92 dst_sel:DWORD dst_unused:UNUSED_PAD src0_sel:BYTE_3 src1_sel:DWORD
	v_cmp_eq_u64_e64 s[28:29], 0, v[58:59]
	v_cndmask_b32_e64 v22, v1, v22, s[28:29]
; %bb.4372:                             ;   in Loop: Header=BB4_4228 Depth=3
	s_or_b64 exec, exec, s[30:31]
	v_lshrrev_b32_e32 v20, 16, v13
	v_cmp_ne_u16_sdwa s[28:29], v20, v59 src0_sel:BYTE_0 src1_sel:DWORD
	v_mov_b32_e32 v21, 0
	v_mov_b32_e32 v29, 0
	s_and_saveexec_b64 s[30:31], s[28:29]
	s_cbranch_execz .LBB4_4378
; %bb.4373:                             ;   in Loop: Header=BB4_4228 Depth=3
	v_cmp_ne_u16_sdwa s[28:29], v20, s91 src0_sel:BYTE_0 src1_sel:DWORD
	v_bfrev_b32_e32 v29, 1
	s_and_saveexec_b64 s[68:69], s[28:29]
	s_cbranch_execz .LBB4_4377
; %bb.4374:                             ;   in Loop: Header=BB4_4228 Depth=3
	v_bfe_u32 v1, v13, 16, 7
	v_cmp_ne_u32_e64 s[28:29], s92, v1
	v_mov_b32_e32 v29, 0x7f800001
	s_and_saveexec_b64 s[70:71], s[28:29]
	s_cbranch_execz .LBB4_4376
; %bb.4375:                             ;   in Loop: Header=BB4_4228 Depth=3
	v_and_b32_e32 v29, 7, v20
	v_ffbh_u32_e32 v30, v29
	v_min_u32_e32 v33, 32, v30
	v_subrev_u32_e32 v30, 28, v33
	v_lshlrev_b64 v[30:31], v30, v[20:21]
	v_lshrrev_b32_e32 v32, 3, v1
	v_sub_u32_e32 v31, 29, v33
	v_and_b32_e32 v30, 7, v30
	v_cmp_gt_u32_e64 s[28:29], 8, v1
	v_cndmask_b32_e64 v1, v32, v31, s[28:29]
	v_cndmask_b32_e64 v29, v29, v30, s[28:29]
	v_lshlrev_b32_e32 v20, 24, v20
	v_bfrev_b32_e32 v30, 60
	v_lshlrev_b32_e32 v29, 20, v29
	v_and_b32_e32 v20, 0x80000000, v20
	v_lshl_add_u32 v1, v1, 23, v30
	v_or3_b32 v29, v20, v1, v29
.LBB4_4376:                             ;   in Loop: Header=BB4_4228 Depth=3
	s_or_b64 exec, exec, s[70:71]
.LBB4_4377:                             ;   in Loop: Header=BB4_4228 Depth=3
	s_or_b64 exec, exec, s[68:69]
.LBB4_4378:                             ;   in Loop: Header=BB4_4228 Depth=3
	s_or_b64 exec, exec, s[30:31]
	v_lshrrev_b32_e32 v20, 16, v9
	v_cmp_ne_u16_sdwa s[28:29], v20, v59 src0_sel:BYTE_0 src1_sel:DWORD
	s_and_saveexec_b64 s[30:31], s[28:29]
	s_cbranch_execz .LBB4_4384
; %bb.4379:                             ;   in Loop: Header=BB4_4228 Depth=3
	v_cmp_ne_u16_sdwa s[28:29], v20, s91 src0_sel:BYTE_0 src1_sel:DWORD
	v_bfrev_b32_e32 v21, 1
	s_and_saveexec_b64 s[68:69], s[28:29]
	s_cbranch_execz .LBB4_4383
; %bb.4380:                             ;   in Loop: Header=BB4_4228 Depth=3
	v_bfe_u32 v1, v9, 16, 7
	v_cmp_ne_u32_e64 s[28:29], s92, v1
	v_mov_b32_e32 v21, 0x7f800001
	s_and_saveexec_b64 s[70:71], s[28:29]
	s_cbranch_execz .LBB4_4382
; %bb.4381:                             ;   in Loop: Header=BB4_4228 Depth=3
	v_and_b32_e32 v30, 7, v20
	v_ffbh_u32_e32 v21, v30
	v_min_u32_e32 v32, 32, v21
	v_subrev_u32_e32 v21, 28, v32
	v_lshlrev_b64 v[20:21], v21, v[20:21]
	v_lshrrev_b32_e32 v31, 3, v1
	v_sub_u32_e32 v21, 29, v32
	v_and_b32_e32 v20, 7, v20
	v_cmp_gt_u32_e64 s[28:29], 8, v1
	v_cndmask_b32_e64 v1, v31, v21, s[28:29]
	v_cndmask_b32_e64 v20, v30, v20, s[28:29]
	v_lshlrev_b32_e32 v21, 8, v9
	v_bfrev_b32_e32 v30, 60
	v_lshlrev_b32_e32 v20, 20, v20
	v_and_b32_e32 v21, 0x80000000, v21
	v_lshl_add_u32 v1, v1, 23, v30
	v_or3_b32 v21, v21, v1, v20
.LBB4_4382:                             ;   in Loop: Header=BB4_4228 Depth=3
	s_or_b64 exec, exec, s[70:71]
.LBB4_4383:                             ;   in Loop: Header=BB4_4228 Depth=3
	s_or_b64 exec, exec, s[68:69]
.LBB4_4384:                             ;   in Loop: Header=BB4_4228 Depth=3
	s_or_b64 exec, exec, s[30:31]
	v_add_f32_e32 v21, v29, v21
	v_and_b32_sdwa v29, v21, s91 dst_sel:DWORD dst_unused:UNUSED_PAD src0_sel:BYTE_3 src1_sel:DWORD
	v_and_b32_e32 v30, 0x7f800000, v21
	v_mov_b32_e32 v31, v59
	v_and_b32_e32 v58, 0x7fffff, v21
	v_or_b32_e32 v20, 0x7e, v29
	v_cmp_ne_u64_e64 s[28:29], s[54:55], v[30:31]
	s_and_saveexec_b64 s[30:31], s[28:29]
	s_xor_b64 s[68:69], exec, s[30:31]
	s_cbranch_execz .LBB4_4394
; %bb.4385:                             ;   in Loop: Header=BB4_4228 Depth=3
	v_and_b32_e32 v30, 0x7fffffff, v21
	v_mov_b32_e32 v31, v59
	v_cmp_gt_u64_e64 s[28:29], s[56:57], v[30:31]
	s_and_saveexec_b64 s[70:71], s[28:29]
	s_cbranch_execz .LBB4_4393
; %bb.4386:                             ;   in Loop: Header=BB4_4228 Depth=3
	v_cmp_ne_u32_e64 s[28:29], 0, v21
	v_mov_b32_e32 v20, 0
	s_and_saveexec_b64 s[72:73], s[28:29]
	s_cbranch_execz .LBB4_4392
; %bb.4387:                             ;   in Loop: Header=BB4_4228 Depth=3
	v_bfe_u32 v1, v21, 23, 8
	v_sub_u32_e32 v21, 0x79, v1
	v_cmp_gt_u32_e64 s[28:29], s93, v1
	v_add_u32_e32 v20, 0xffffff81, v1
	v_cndmask_b32_e64 v21, 0, v21, s[28:29]
	v_cmp_eq_u32_e64 s[28:29], 0, v1
	v_mov_b32_e32 v1, 0xffffff82
	v_cndmask_b32_e64 v1, v20, v1, s[28:29]
	v_mov_b32_e32 v20, 0x78
	v_or_b32_e32 v30, 0x800000, v58
	v_cndmask_b32_e64 v31, v21, v20, s[28:29]
	v_cndmask_b32_e64 v58, v30, v58, s[28:29]
	v_add_u32_e32 v20, 20, v31
	v_lshlrev_b64 v[20:21], v20, -1
	v_add_u32_e32 v30, 19, v31
	v_lshrrev_b64 v[34:35], v31, v[58:59]
	v_not_b32_e32 v21, v21
	v_not_b32_e32 v20, v20
	v_lshlrev_b64 v[32:33], v30, 1
	v_lshrrev_b32_e32 v30, 23, v34
	v_and_b32_e32 v21, 0, v21
	v_and_b32_e32 v20, v58, v20
	v_add3_u32 v36, v31, v1, v30
	v_bfe_u32 v1, v34, 20, 1
	v_add_u32_e32 v1, -1, v1
	v_cmp_eq_u64_e64 s[28:29], v[20:21], v[32:33]
	v_cndmask_b32_e64 v1, 0, v1, s[28:29]
	v_add_u32_e32 v1, v1, v34
	v_and_b32_e32 v1, 0xfffff, v1
	v_add_co_u32_e64 v20, s[28:29], v1, v34
	v_add_u32_e32 v31, 6, v36
	v_addc_co_u32_e64 v21, s[28:29], 0, v35, s[28:29]
	v_cmp_ne_u32_e64 s[28:29], 0, v31
                                        ; implicit-def: $vgpr30
	s_and_saveexec_b64 s[30:31], s[28:29]
	s_xor_b64 s[30:31], exec, s[30:31]
; %bb.4388:                             ;   in Loop: Header=BB4_4228 Depth=3
	v_add_u32_e32 v1, 7, v36
	v_cmp_lt_u64_e64 s[28:29], s[58:59], v[20:21]
	v_cndmask_b32_e64 v30, v31, v1, s[28:29]
	v_cndmask_b32_e64 v1, 0, 1, s[28:29]
	v_lshrrev_b64 v[20:21], v1, v[20:21]
; %bb.4389:                             ;   in Loop: Header=BB4_4228 Depth=3
	s_andn2_saveexec_b64 s[28:29], s[30:31]
; %bb.4390:                             ;   in Loop: Header=BB4_4228 Depth=3
	v_bfe_u32 v30, v20, 23, 1
; %bb.4391:                             ;   in Loop: Header=BB4_4228 Depth=3
	s_or_b64 exec, exec, s[28:29]
	v_lshrrev_b64 v[20:21], 20, v[20:21]
	v_cmp_gt_i32_e64 s[28:29], 16, v30
	v_min_i32_e32 v1, 15, v30
	v_cndmask_b32_e64 v21, 0, v21, s[28:29]
	v_cndmask_b32_e64 v20, 7, v20, s[28:29]
	v_lshlrev_b32_e32 v1, 3, v1
	v_cmp_eq_u32_e64 s[28:29], 0, v30
	v_cmp_eq_u64_e64 s[30:31], 0, v[20:21]
	v_and_b32_e32 v1, 0xf8, v1
	v_and_or_b32 v1, v20, 7, v1
	s_and_b64 s[28:29], s[28:29], s[30:31]
	v_cndmask_b32_e64 v1, v1, 0, s[28:29]
	v_or_b32_e32 v20, v1, v29
.LBB4_4392:                             ;   in Loop: Header=BB4_4228 Depth=3
	s_or_b64 exec, exec, s[72:73]
.LBB4_4393:                             ;   in Loop: Header=BB4_4228 Depth=3
	s_or_b64 exec, exec, s[70:71]
                                        ; implicit-def: $vgpr21
.LBB4_4394:                             ;   in Loop: Header=BB4_4228 Depth=3
	s_andn2_saveexec_b64 s[30:31], s[68:69]
; %bb.4395:                             ;   in Loop: Header=BB4_4228 Depth=3
	v_or_b32_sdwa v1, v21, s92 dst_sel:DWORD dst_unused:UNUSED_PAD src0_sel:BYTE_3 src1_sel:DWORD
	v_cmp_eq_u64_e64 s[28:29], 0, v[58:59]
	v_cndmask_b32_e64 v20, v1, v20, s[28:29]
; %bb.4396:                             ;   in Loop: Header=BB4_4228 Depth=3
	s_or_b64 exec, exec, s[30:31]
	v_cmp_lt_u64_e64 s[28:29], s[44:45], v[12:13]
	v_mov_b32_e32 v21, 0
	v_mov_b32_e32 v29, 0
	s_and_saveexec_b64 s[30:31], s[28:29]
	s_cbranch_execz .LBB4_4402
; %bb.4397:                             ;   in Loop: Header=BB4_4228 Depth=3
	v_lshrrev_b32_e32 v12, 24, v13
	v_cmp_ne_u32_e64 s[28:29], s91, v12
	v_bfrev_b32_e32 v29, 1
	s_and_saveexec_b64 s[68:69], s[28:29]
	s_cbranch_execz .LBB4_4401
; %bb.4398:                             ;   in Loop: Header=BB4_4228 Depth=3
	v_bfe_u32 v1, v13, 24, 7
	v_cmp_ne_u32_e64 s[28:29], s92, v1
	v_mov_b32_e32 v29, 0x7f800001
	s_and_saveexec_b64 s[70:71], s[28:29]
	s_cbranch_execz .LBB4_4400
; %bb.4399:                             ;   in Loop: Header=BB4_4228 Depth=3
	v_and_b32_e32 v13, 7, v12
	v_ffbh_u32_e32 v30, v13
	v_min_u32_e32 v32, 32, v30
	v_subrev_u32_e32 v30, 28, v32
	v_lshlrev_b64 v[30:31], v30, v[12:13]
	v_lshrrev_b32_e32 v29, 3, v1
	v_sub_u32_e32 v31, 29, v32
	v_and_b32_e32 v30, 7, v30
	v_cmp_gt_u32_e64 s[28:29], 8, v1
	v_cndmask_b32_e64 v1, v29, v31, s[28:29]
	v_cndmask_b32_e64 v13, v13, v30, s[28:29]
	v_lshlrev_b32_e32 v12, 24, v12
	v_bfrev_b32_e32 v29, 60
	v_lshlrev_b32_e32 v13, 20, v13
	v_and_b32_e32 v12, 0x80000000, v12
	v_lshl_add_u32 v1, v1, 23, v29
	v_or3_b32 v29, v12, v1, v13
.LBB4_4400:                             ;   in Loop: Header=BB4_4228 Depth=3
	s_or_b64 exec, exec, s[70:71]
.LBB4_4401:                             ;   in Loop: Header=BB4_4228 Depth=3
	s_or_b64 exec, exec, s[68:69]
.LBB4_4402:                             ;   in Loop: Header=BB4_4228 Depth=3
	s_or_b64 exec, exec, s[30:31]
	v_cmp_lt_u64_e64 s[28:29], s[44:45], v[8:9]
	s_and_saveexec_b64 s[30:31], s[28:29]
	s_cbranch_execz .LBB4_4408
; %bb.4403:                             ;   in Loop: Header=BB4_4228 Depth=3
	v_lshrrev_b32_e32 v8, 24, v9
	v_cmp_ne_u32_e64 s[28:29], s91, v8
	v_bfrev_b32_e32 v21, 1
	s_and_saveexec_b64 s[68:69], s[28:29]
	s_cbranch_execz .LBB4_4407
; %bb.4404:                             ;   in Loop: Header=BB4_4228 Depth=3
	v_bfe_u32 v1, v9, 24, 7
	v_cmp_ne_u32_e64 s[28:29], s92, v1
	v_mov_b32_e32 v21, 0x7f800001
	s_and_saveexec_b64 s[70:71], s[28:29]
	s_cbranch_execz .LBB4_4406
; %bb.4405:                             ;   in Loop: Header=BB4_4228 Depth=3
	v_and_b32_e32 v9, 7, v8
	v_ffbh_u32_e32 v12, v9
	v_min_u32_e32 v30, 32, v12
	v_subrev_u32_e32 v12, 28, v30
	v_lshlrev_b64 v[12:13], v12, v[8:9]
	v_lshrrev_b32_e32 v21, 3, v1
	v_sub_u32_e32 v13, 29, v30
	v_and_b32_e32 v12, 7, v12
	v_cmp_gt_u32_e64 s[28:29], 8, v1
	v_cndmask_b32_e64 v1, v21, v13, s[28:29]
	v_cndmask_b32_e64 v9, v9, v12, s[28:29]
	v_lshlrev_b32_e32 v8, 24, v8
	v_bfrev_b32_e32 v12, 60
	v_lshlrev_b32_e32 v9, 20, v9
	v_and_b32_e32 v8, 0x80000000, v8
	v_lshl_add_u32 v1, v1, 23, v12
	v_or3_b32 v21, v8, v1, v9
.LBB4_4406:                             ;   in Loop: Header=BB4_4228 Depth=3
	s_or_b64 exec, exec, s[70:71]
.LBB4_4407:                             ;   in Loop: Header=BB4_4228 Depth=3
	s_or_b64 exec, exec, s[68:69]
.LBB4_4408:                             ;   in Loop: Header=BB4_4228 Depth=3
	s_or_b64 exec, exec, s[30:31]
	v_add_f32_e32 v8, v29, v21
	v_and_b32_sdwa v12, v8, s91 dst_sel:DWORD dst_unused:UNUSED_PAD src0_sel:BYTE_3 src1_sel:DWORD
	v_and_b32_e32 v30, 0x7f800000, v8
	v_mov_b32_e32 v31, v59
	v_and_b32_e32 v58, 0x7fffff, v8
	v_or_b32_e32 v13, 0x7e, v12
	v_cmp_ne_u64_e64 s[28:29], s[54:55], v[30:31]
	s_and_saveexec_b64 s[30:31], s[28:29]
	s_xor_b64 s[68:69], exec, s[30:31]
	s_cbranch_execz .LBB4_4418
; %bb.4409:                             ;   in Loop: Header=BB4_4228 Depth=3
	v_and_b32_e32 v30, 0x7fffffff, v8
	v_mov_b32_e32 v31, v59
	v_cmp_gt_u64_e64 s[28:29], s[56:57], v[30:31]
	s_and_saveexec_b64 s[70:71], s[28:29]
	s_cbranch_execz .LBB4_4417
; %bb.4410:                             ;   in Loop: Header=BB4_4228 Depth=3
	v_cmp_ne_u32_e64 s[28:29], 0, v8
	v_mov_b32_e32 v13, 0
	s_and_saveexec_b64 s[72:73], s[28:29]
	s_cbranch_execz .LBB4_4416
; %bb.4411:                             ;   in Loop: Header=BB4_4228 Depth=3
	v_bfe_u32 v1, v8, 23, 8
	v_sub_u32_e32 v9, 0x79, v1
	v_cmp_gt_u32_e64 s[28:29], s93, v1
	v_add_u32_e32 v8, 0xffffff81, v1
	v_cndmask_b32_e64 v9, 0, v9, s[28:29]
	v_cmp_eq_u32_e64 s[28:29], 0, v1
	v_mov_b32_e32 v1, 0xffffff82
	v_cndmask_b32_e64 v1, v8, v1, s[28:29]
	v_mov_b32_e32 v8, 0x78
	v_or_b32_e32 v13, 0x800000, v58
	v_cndmask_b32_e64 v21, v9, v8, s[28:29]
	v_cndmask_b32_e64 v58, v13, v58, s[28:29]
	v_add_u32_e32 v8, 20, v21
	v_lshlrev_b64 v[8:9], v8, -1
	v_add_u32_e32 v13, 19, v21
	v_lshrrev_b64 v[32:33], v21, v[58:59]
	v_not_b32_e32 v9, v9
	v_not_b32_e32 v8, v8
	v_lshlrev_b64 v[30:31], v13, 1
	v_lshrrev_b32_e32 v13, 23, v32
	v_and_b32_e32 v9, 0, v9
	v_and_b32_e32 v8, v58, v8
	v_add3_u32 v29, v21, v1, v13
	v_bfe_u32 v1, v32, 20, 1
	v_add_u32_e32 v1, -1, v1
	v_cmp_eq_u64_e64 s[28:29], v[8:9], v[30:31]
	v_cndmask_b32_e64 v1, 0, v1, s[28:29]
	v_add_u32_e32 v1, v1, v32
	v_and_b32_e32 v1, 0xfffff, v1
	v_add_co_u32_e64 v8, s[28:29], v1, v32
	v_add_u32_e32 v21, 6, v29
	v_addc_co_u32_e64 v9, s[28:29], 0, v33, s[28:29]
	v_cmp_ne_u32_e64 s[28:29], 0, v21
                                        ; implicit-def: $vgpr13
	s_and_saveexec_b64 s[30:31], s[28:29]
	s_xor_b64 s[30:31], exec, s[30:31]
; %bb.4412:                             ;   in Loop: Header=BB4_4228 Depth=3
	v_add_u32_e32 v1, 7, v29
	v_cmp_lt_u64_e64 s[28:29], s[58:59], v[8:9]
	v_cndmask_b32_e64 v13, v21, v1, s[28:29]
	v_cndmask_b32_e64 v1, 0, 1, s[28:29]
	v_lshrrev_b64 v[8:9], v1, v[8:9]
; %bb.4413:                             ;   in Loop: Header=BB4_4228 Depth=3
	s_andn2_saveexec_b64 s[28:29], s[30:31]
; %bb.4414:                             ;   in Loop: Header=BB4_4228 Depth=3
	v_bfe_u32 v13, v8, 23, 1
; %bb.4415:                             ;   in Loop: Header=BB4_4228 Depth=3
	s_or_b64 exec, exec, s[28:29]
	v_lshrrev_b64 v[8:9], 20, v[8:9]
	v_cmp_gt_i32_e64 s[28:29], 16, v13
	v_min_i32_e32 v1, 15, v13
	v_cndmask_b32_e64 v9, 0, v9, s[28:29]
	v_cndmask_b32_e64 v8, 7, v8, s[28:29]
	v_lshlrev_b32_e32 v1, 3, v1
	v_cmp_eq_u32_e64 s[28:29], 0, v13
	v_cmp_eq_u64_e64 s[30:31], 0, v[8:9]
	v_and_b32_e32 v1, 0xf8, v1
	v_and_or_b32 v1, v8, 7, v1
	s_and_b64 s[28:29], s[28:29], s[30:31]
	v_cndmask_b32_e64 v1, v1, 0, s[28:29]
	v_or_b32_e32 v13, v1, v12
.LBB4_4416:                             ;   in Loop: Header=BB4_4228 Depth=3
	s_or_b64 exec, exec, s[72:73]
.LBB4_4417:                             ;   in Loop: Header=BB4_4228 Depth=3
	s_or_b64 exec, exec, s[70:71]
                                        ; implicit-def: $vgpr8
.LBB4_4418:                             ;   in Loop: Header=BB4_4228 Depth=3
	s_andn2_saveexec_b64 s[30:31], s[68:69]
; %bb.4419:                             ;   in Loop: Header=BB4_4228 Depth=3
	v_or_b32_sdwa v1, v8, s92 dst_sel:DWORD dst_unused:UNUSED_PAD src0_sel:BYTE_3 src1_sel:DWORD
	v_cmp_eq_u64_e64 s[28:29], 0, v[58:59]
	v_cndmask_b32_e64 v13, v1, v13, s[28:29]
; %bb.4420:                             ;   in Loop: Header=BB4_4228 Depth=3
	s_or_b64 exec, exec, s[30:31]
	v_cmp_ne_u16_sdwa s[28:29], v14, v59 src0_sel:BYTE_0 src1_sel:DWORD
	v_mov_b32_e32 v8, 0
	v_mov_b32_e32 v9, 0
	s_and_saveexec_b64 s[30:31], s[28:29]
	s_cbranch_execz .LBB4_4426
; %bb.4421:                             ;   in Loop: Header=BB4_4228 Depth=3
	v_cmp_ne_u16_sdwa s[28:29], v14, s91 src0_sel:BYTE_0 src1_sel:DWORD
	v_bfrev_b32_e32 v9, 1
	s_and_saveexec_b64 s[68:69], s[28:29]
	s_cbranch_execz .LBB4_4425
; %bb.4422:                             ;   in Loop: Header=BB4_4228 Depth=3
	v_and_b32_e32 v1, 0x7f, v14
	v_cmp_ne_u32_e64 s[28:29], s92, v1
	v_mov_b32_e32 v9, 0x7f800001
	s_and_saveexec_b64 s[70:71], s[28:29]
	s_cbranch_execz .LBB4_4424
; %bb.4423:                             ;   in Loop: Header=BB4_4228 Depth=3
	v_and_b32_e32 v9, 7, v14
	v_ffbh_u32_e32 v9, v9
	v_min_u32_e32 v9, 32, v9
	v_lshrrev_b32_e32 v12, 3, v1
	v_subrev_u32_e32 v21, 28, v9
	v_sub_u32_e32 v9, 29, v9
	v_cmp_gt_u32_e64 s[28:29], 8, v1
	v_cndmask_b32_e64 v1, v12, v9, s[28:29]
	v_cndmask_b32_e64 v9, 0, v21, s[28:29]
	v_lshlrev_b64 v[30:31], v9, v[14:15]
	v_lshlrev_b32_e32 v9, 20, v30
	v_lshlrev_b32_e32 v12, 24, v14
	v_bfrev_b32_e32 v21, 60
	v_and_b32_e32 v9, 0x700000, v9
	v_and_b32_e32 v12, 0x80000000, v12
	v_lshl_add_u32 v1, v1, 23, v21
	v_or3_b32 v9, v12, v1, v9
.LBB4_4424:                             ;   in Loop: Header=BB4_4228 Depth=3
	s_or_b64 exec, exec, s[70:71]
.LBB4_4425:                             ;   in Loop: Header=BB4_4228 Depth=3
	s_or_b64 exec, exec, s[68:69]
.LBB4_4426:                             ;   in Loop: Header=BB4_4228 Depth=3
	s_or_b64 exec, exec, s[30:31]
	v_cmp_ne_u16_sdwa s[28:29], v10, v59 src0_sel:BYTE_0 src1_sel:DWORD
	s_and_saveexec_b64 s[30:31], s[28:29]
	s_cbranch_execz .LBB4_4432
; %bb.4427:                             ;   in Loop: Header=BB4_4228 Depth=3
	v_cmp_ne_u16_sdwa s[28:29], v10, s91 src0_sel:BYTE_0 src1_sel:DWORD
	v_bfrev_b32_e32 v8, 1
	s_and_saveexec_b64 s[68:69], s[28:29]
	s_cbranch_execz .LBB4_4431
; %bb.4428:                             ;   in Loop: Header=BB4_4228 Depth=3
	v_and_b32_e32 v1, 0x7f, v10
	v_cmp_ne_u32_e64 s[28:29], s92, v1
	v_mov_b32_e32 v8, 0x7f800001
	s_and_saveexec_b64 s[70:71], s[28:29]
	s_cbranch_execz .LBB4_4430
; %bb.4429:                             ;   in Loop: Header=BB4_4228 Depth=3
	v_and_b32_e32 v8, 7, v10
	v_ffbh_u32_e32 v8, v8
	v_min_u32_e32 v8, 32, v8
	v_lshrrev_b32_e32 v12, 3, v1
	v_subrev_u32_e32 v21, 28, v8
	v_sub_u32_e32 v8, 29, v8
	v_cmp_gt_u32_e64 s[28:29], 8, v1
	v_cndmask_b32_e64 v1, v12, v8, s[28:29]
	v_cndmask_b32_e64 v8, 0, v21, s[28:29]
	v_lshlrev_b64 v[30:31], v8, v[10:11]
	v_lshlrev_b32_e32 v8, 20, v30
	v_lshlrev_b32_e32 v12, 24, v10
	v_bfrev_b32_e32 v21, 60
	v_and_b32_e32 v8, 0x700000, v8
	v_and_b32_e32 v12, 0x80000000, v12
	v_lshl_add_u32 v1, v1, 23, v21
	v_or3_b32 v8, v12, v1, v8
.LBB4_4430:                             ;   in Loop: Header=BB4_4228 Depth=3
	s_or_b64 exec, exec, s[70:71]
.LBB4_4431:                             ;   in Loop: Header=BB4_4228 Depth=3
	s_or_b64 exec, exec, s[68:69]
.LBB4_4432:                             ;   in Loop: Header=BB4_4228 Depth=3
	s_or_b64 exec, exec, s[30:31]
	v_add_f32_e32 v8, v9, v8
	v_and_b32_sdwa v12, v8, s91 dst_sel:DWORD dst_unused:UNUSED_PAD src0_sel:BYTE_3 src1_sel:DWORD
	v_and_b32_e32 v30, 0x7f800000, v8
	v_mov_b32_e32 v31, v59
	v_and_b32_e32 v58, 0x7fffff, v8
	v_or_b32_e32 v21, 0x7e, v12
	v_cmp_ne_u64_e64 s[28:29], s[54:55], v[30:31]
	s_and_saveexec_b64 s[30:31], s[28:29]
	s_xor_b64 s[68:69], exec, s[30:31]
	s_cbranch_execz .LBB4_4442
; %bb.4433:                             ;   in Loop: Header=BB4_4228 Depth=3
	v_and_b32_e32 v30, 0x7fffffff, v8
	v_mov_b32_e32 v31, v59
	v_cmp_gt_u64_e64 s[28:29], s[56:57], v[30:31]
	s_and_saveexec_b64 s[70:71], s[28:29]
	s_cbranch_execz .LBB4_4441
; %bb.4434:                             ;   in Loop: Header=BB4_4228 Depth=3
	v_cmp_ne_u32_e64 s[28:29], 0, v8
	v_mov_b32_e32 v21, 0
	s_and_saveexec_b64 s[72:73], s[28:29]
	s_cbranch_execz .LBB4_4440
; %bb.4435:                             ;   in Loop: Header=BB4_4228 Depth=3
	v_bfe_u32 v1, v8, 23, 8
	v_sub_u32_e32 v9, 0x79, v1
	v_cmp_gt_u32_e64 s[28:29], s93, v1
	v_add_u32_e32 v8, 0xffffff81, v1
	v_cndmask_b32_e64 v9, 0, v9, s[28:29]
	v_cmp_eq_u32_e64 s[28:29], 0, v1
	v_mov_b32_e32 v1, 0xffffff82
	v_cndmask_b32_e64 v1, v8, v1, s[28:29]
	v_mov_b32_e32 v8, 0x78
	v_or_b32_e32 v21, 0x800000, v58
	v_cndmask_b32_e64 v29, v9, v8, s[28:29]
	v_cndmask_b32_e64 v58, v21, v58, s[28:29]
	v_add_u32_e32 v8, 20, v29
	v_lshlrev_b64 v[8:9], v8, -1
	v_add_u32_e32 v21, 19, v29
	v_lshrrev_b64 v[34:35], v29, v[58:59]
	v_not_b32_e32 v9, v9
	v_not_b32_e32 v8, v8
	v_lshlrev_b64 v[32:33], v21, 1
	v_lshrrev_b32_e32 v21, 23, v34
	v_and_b32_e32 v9, 0, v9
	v_and_b32_e32 v8, v58, v8
	v_add3_u32 v30, v29, v1, v21
	v_bfe_u32 v1, v34, 20, 1
	v_add_u32_e32 v1, -1, v1
	v_cmp_eq_u64_e64 s[28:29], v[8:9], v[32:33]
	v_cndmask_b32_e64 v1, 0, v1, s[28:29]
	v_add_u32_e32 v1, v1, v34
	v_and_b32_e32 v1, 0xfffff, v1
	v_add_co_u32_e64 v8, s[28:29], v1, v34
	v_add_u32_e32 v29, 6, v30
	v_addc_co_u32_e64 v9, s[28:29], 0, v35, s[28:29]
	v_cmp_ne_u32_e64 s[28:29], 0, v29
                                        ; implicit-def: $vgpr21
	s_and_saveexec_b64 s[30:31], s[28:29]
	s_xor_b64 s[30:31], exec, s[30:31]
; %bb.4436:                             ;   in Loop: Header=BB4_4228 Depth=3
	v_add_u32_e32 v1, 7, v30
	v_cmp_lt_u64_e64 s[28:29], s[58:59], v[8:9]
	v_cndmask_b32_e64 v21, v29, v1, s[28:29]
	v_cndmask_b32_e64 v1, 0, 1, s[28:29]
	v_lshrrev_b64 v[8:9], v1, v[8:9]
; %bb.4437:                             ;   in Loop: Header=BB4_4228 Depth=3
	s_andn2_saveexec_b64 s[28:29], s[30:31]
; %bb.4438:                             ;   in Loop: Header=BB4_4228 Depth=3
	v_bfe_u32 v21, v8, 23, 1
; %bb.4439:                             ;   in Loop: Header=BB4_4228 Depth=3
	s_or_b64 exec, exec, s[28:29]
	v_lshrrev_b64 v[8:9], 20, v[8:9]
	v_cmp_gt_i32_e64 s[28:29], 16, v21
	v_cndmask_b32_e64 v9, 0, v9, s[28:29]
	v_cndmask_b32_e64 v8, 7, v8, s[28:29]
	v_min_i32_e32 v1, 15, v21
	v_cmp_eq_u32_e64 s[28:29], 0, v21
	v_cmp_eq_u64_e64 s[30:31], 0, v[8:9]
	v_lshlrev_b32_e32 v1, 3, v1
	v_and_or_b32 v1, v8, 7, v1
	s_and_b64 s[28:29], s[28:29], s[30:31]
	v_cndmask_b32_e64 v1, v1, 0, s[28:29]
	v_or_b32_e32 v21, v1, v12
.LBB4_4440:                             ;   in Loop: Header=BB4_4228 Depth=3
	s_or_b64 exec, exec, s[72:73]
.LBB4_4441:                             ;   in Loop: Header=BB4_4228 Depth=3
	s_or_b64 exec, exec, s[70:71]
                                        ; implicit-def: $vgpr8
.LBB4_4442:                             ;   in Loop: Header=BB4_4228 Depth=3
	s_andn2_saveexec_b64 s[30:31], s[68:69]
; %bb.4443:                             ;   in Loop: Header=BB4_4228 Depth=3
	v_or_b32_sdwa v1, v8, s92 dst_sel:DWORD dst_unused:UNUSED_PAD src0_sel:BYTE_3 src1_sel:DWORD
	v_cmp_eq_u64_e64 s[28:29], 0, v[58:59]
	v_cndmask_b32_e64 v21, v1, v21, s[28:29]
; %bb.4444:                             ;   in Loop: Header=BB4_4228 Depth=3
	s_or_b64 exec, exec, s[30:31]
	v_lshrrev_b16_e32 v8, 8, v14
	v_cmp_ne_u16_e64 s[28:29], 0, v8
	v_mov_b32_e32 v9, 0
	v_mov_b32_e32 v12, 0
	s_and_saveexec_b64 s[30:31], s[28:29]
	s_cbranch_execz .LBB4_4450
; %bb.4445:                             ;   in Loop: Header=BB4_4228 Depth=3
	v_cmp_ne_u16_e64 s[28:29], s91, v8
	v_bfrev_b32_e32 v12, 1
	s_and_saveexec_b64 s[68:69], s[28:29]
	s_cbranch_execz .LBB4_4449
; %bb.4446:                             ;   in Loop: Header=BB4_4228 Depth=3
	v_and_b32_e32 v1, 0x7f, v8
	v_cmp_ne_u32_e64 s[28:29], s92, v1
	v_mov_b32_e32 v12, 0x7f800001
	s_and_saveexec_b64 s[70:71], s[28:29]
	s_cbranch_execz .LBB4_4448
; %bb.4447:                             ;   in Loop: Header=BB4_4228 Depth=3
	v_and_b32_e32 v12, 7, v8
	v_ffbh_u32_e32 v30, v12
	v_min_u32_e32 v32, 32, v30
	v_subrev_u32_e32 v30, 28, v32
	v_lshlrev_b64 v[30:31], v30, v[8:9]
	v_lshrrev_b32_e32 v29, 3, v1
	v_sub_u32_e32 v8, 29, v32
	v_and_b32_e32 v30, 7, v30
	v_cmp_gt_u32_e64 s[28:29], 8, v1
	v_cndmask_b32_e64 v1, v29, v8, s[28:29]
	v_cndmask_b32_e64 v8, v12, v30, s[28:29]
	v_lshlrev_b32_e32 v12, 16, v14
	v_bfrev_b32_e32 v29, 60
	v_lshlrev_b32_e32 v8, 20, v8
	v_and_b32_e32 v12, 0x80000000, v12
	v_lshl_add_u32 v1, v1, 23, v29
	v_or3_b32 v12, v12, v1, v8
.LBB4_4448:                             ;   in Loop: Header=BB4_4228 Depth=3
	s_or_b64 exec, exec, s[70:71]
.LBB4_4449:                             ;   in Loop: Header=BB4_4228 Depth=3
	s_or_b64 exec, exec, s[68:69]
.LBB4_4450:                             ;   in Loop: Header=BB4_4228 Depth=3
	s_or_b64 exec, exec, s[30:31]
	v_lshrrev_b16_e32 v8, 8, v10
	v_cmp_ne_u16_e64 s[28:29], 0, v8
	s_and_saveexec_b64 s[30:31], s[28:29]
	s_cbranch_execz .LBB4_4456
; %bb.4451:                             ;   in Loop: Header=BB4_4228 Depth=3
	v_cmp_ne_u16_e64 s[28:29], s91, v8
	v_bfrev_b32_e32 v9, 1
	s_and_saveexec_b64 s[68:69], s[28:29]
	s_cbranch_execz .LBB4_4455
; %bb.4452:                             ;   in Loop: Header=BB4_4228 Depth=3
	v_and_b32_e32 v1, 0x7f, v8
	v_cmp_ne_u32_e64 s[28:29], s92, v1
	v_mov_b32_e32 v9, 0x7f800001
	s_and_saveexec_b64 s[70:71], s[28:29]
	s_cbranch_execz .LBB4_4454
; %bb.4453:                             ;   in Loop: Header=BB4_4228 Depth=3
	v_and_b32_e32 v29, 7, v8
	v_ffbh_u32_e32 v9, v29
	v_min_u32_e32 v31, 32, v9
	v_subrev_u32_e32 v9, 28, v31
	v_lshlrev_b64 v[8:9], v9, v[8:9]
	v_lshrrev_b32_e32 v30, 3, v1
	v_sub_u32_e32 v9, 29, v31
	v_and_b32_e32 v8, 7, v8
	v_cmp_gt_u32_e64 s[28:29], 8, v1
	v_cndmask_b32_e64 v1, v30, v9, s[28:29]
	v_cndmask_b32_e64 v8, v29, v8, s[28:29]
	v_lshlrev_b32_e32 v9, 16, v10
	v_bfrev_b32_e32 v29, 60
	v_lshlrev_b32_e32 v8, 20, v8
	v_and_b32_e32 v9, 0x80000000, v9
	v_lshl_add_u32 v1, v1, 23, v29
	v_or3_b32 v9, v9, v1, v8
.LBB4_4454:                             ;   in Loop: Header=BB4_4228 Depth=3
	s_or_b64 exec, exec, s[70:71]
.LBB4_4455:                             ;   in Loop: Header=BB4_4228 Depth=3
	s_or_b64 exec, exec, s[68:69]
.LBB4_4456:                             ;   in Loop: Header=BB4_4228 Depth=3
	s_or_b64 exec, exec, s[30:31]
	v_add_f32_e32 v8, v12, v9
	v_and_b32_sdwa v12, v8, s91 dst_sel:DWORD dst_unused:UNUSED_PAD src0_sel:BYTE_3 src1_sel:DWORD
	v_and_b32_e32 v30, 0x7f800000, v8
	v_mov_b32_e32 v31, v59
	v_and_b32_e32 v58, 0x7fffff, v8
	v_or_b32_e32 v29, 0x7e, v12
	v_cmp_ne_u64_e64 s[28:29], s[54:55], v[30:31]
	s_and_saveexec_b64 s[30:31], s[28:29]
	s_xor_b64 s[68:69], exec, s[30:31]
	s_cbranch_execz .LBB4_4466
; %bb.4457:                             ;   in Loop: Header=BB4_4228 Depth=3
	v_and_b32_e32 v30, 0x7fffffff, v8
	v_mov_b32_e32 v31, v59
	v_cmp_gt_u64_e64 s[28:29], s[56:57], v[30:31]
	s_and_saveexec_b64 s[70:71], s[28:29]
	s_cbranch_execz .LBB4_4465
; %bb.4458:                             ;   in Loop: Header=BB4_4228 Depth=3
	v_cmp_ne_u32_e64 s[28:29], 0, v8
	v_mov_b32_e32 v29, 0
	s_and_saveexec_b64 s[72:73], s[28:29]
	s_cbranch_execz .LBB4_4464
; %bb.4459:                             ;   in Loop: Header=BB4_4228 Depth=3
	v_bfe_u32 v1, v8, 23, 8
	v_sub_u32_e32 v9, 0x79, v1
	v_cmp_gt_u32_e64 s[28:29], s93, v1
	v_add_u32_e32 v8, 0xffffff81, v1
	v_cndmask_b32_e64 v9, 0, v9, s[28:29]
	v_cmp_eq_u32_e64 s[28:29], 0, v1
	v_mov_b32_e32 v1, 0xffffff82
	v_cndmask_b32_e64 v1, v8, v1, s[28:29]
	v_mov_b32_e32 v8, 0x78
	v_or_b32_e32 v29, 0x800000, v58
	v_cndmask_b32_e64 v30, v9, v8, s[28:29]
	v_cndmask_b32_e64 v58, v29, v58, s[28:29]
	v_add_u32_e32 v8, 20, v30
	v_lshlrev_b64 v[8:9], v8, -1
	v_add_u32_e32 v29, 19, v30
	v_lshrrev_b64 v[34:35], v30, v[58:59]
	v_not_b32_e32 v9, v9
	v_not_b32_e32 v8, v8
	v_lshlrev_b64 v[32:33], v29, 1
	v_lshrrev_b32_e32 v29, 23, v34
	v_and_b32_e32 v9, 0, v9
	v_and_b32_e32 v8, v58, v8
	v_add3_u32 v31, v30, v1, v29
	v_bfe_u32 v1, v34, 20, 1
	v_add_u32_e32 v1, -1, v1
	v_cmp_eq_u64_e64 s[28:29], v[8:9], v[32:33]
	v_cndmask_b32_e64 v1, 0, v1, s[28:29]
	v_add_u32_e32 v1, v1, v34
	v_and_b32_e32 v1, 0xfffff, v1
	v_add_co_u32_e64 v8, s[28:29], v1, v34
	v_add_u32_e32 v30, 6, v31
	v_addc_co_u32_e64 v9, s[28:29], 0, v35, s[28:29]
	v_cmp_ne_u32_e64 s[28:29], 0, v30
                                        ; implicit-def: $vgpr29
	s_and_saveexec_b64 s[30:31], s[28:29]
	s_xor_b64 s[30:31], exec, s[30:31]
; %bb.4460:                             ;   in Loop: Header=BB4_4228 Depth=3
	v_add_u32_e32 v1, 7, v31
	v_cmp_lt_u64_e64 s[28:29], s[58:59], v[8:9]
	v_cndmask_b32_e64 v29, v30, v1, s[28:29]
	v_cndmask_b32_e64 v1, 0, 1, s[28:29]
	v_lshrrev_b64 v[8:9], v1, v[8:9]
; %bb.4461:                             ;   in Loop: Header=BB4_4228 Depth=3
	s_andn2_saveexec_b64 s[28:29], s[30:31]
; %bb.4462:                             ;   in Loop: Header=BB4_4228 Depth=3
	v_bfe_u32 v29, v8, 23, 1
; %bb.4463:                             ;   in Loop: Header=BB4_4228 Depth=3
	s_or_b64 exec, exec, s[28:29]
	v_lshrrev_b64 v[8:9], 20, v[8:9]
	v_cmp_gt_i32_e64 s[28:29], 16, v29
	v_cndmask_b32_e64 v9, 0, v9, s[28:29]
	v_cndmask_b32_e64 v8, 7, v8, s[28:29]
	v_min_i32_e32 v1, 15, v29
	v_cmp_eq_u32_e64 s[28:29], 0, v29
	v_cmp_eq_u64_e64 s[30:31], 0, v[8:9]
	v_lshlrev_b32_e32 v1, 3, v1
	v_and_or_b32 v1, v8, 7, v1
	s_and_b64 s[28:29], s[28:29], s[30:31]
	v_cndmask_b32_e64 v1, v1, 0, s[28:29]
	v_or_b32_e32 v29, v1, v12
.LBB4_4464:                             ;   in Loop: Header=BB4_4228 Depth=3
	s_or_b64 exec, exec, s[72:73]
.LBB4_4465:                             ;   in Loop: Header=BB4_4228 Depth=3
	s_or_b64 exec, exec, s[70:71]
                                        ; implicit-def: $vgpr8
.LBB4_4466:                             ;   in Loop: Header=BB4_4228 Depth=3
	s_andn2_saveexec_b64 s[30:31], s[68:69]
; %bb.4467:                             ;   in Loop: Header=BB4_4228 Depth=3
	v_or_b32_sdwa v1, v8, s92 dst_sel:DWORD dst_unused:UNUSED_PAD src0_sel:BYTE_3 src1_sel:DWORD
	v_cmp_eq_u64_e64 s[28:29], 0, v[58:59]
	v_cndmask_b32_e64 v29, v1, v29, s[28:29]
; %bb.4468:                             ;   in Loop: Header=BB4_4228 Depth=3
	s_or_b64 exec, exec, s[30:31]
	v_lshrrev_b32_e32 v8, 16, v14
	v_cmp_ne_u16_sdwa s[28:29], v8, v59 src0_sel:BYTE_0 src1_sel:DWORD
	v_mov_b32_e32 v9, 0
	v_mov_b32_e32 v12, 0
	s_and_saveexec_b64 s[30:31], s[28:29]
	s_cbranch_execz .LBB4_4474
; %bb.4469:                             ;   in Loop: Header=BB4_4228 Depth=3
	v_cmp_ne_u16_sdwa s[28:29], v8, s91 src0_sel:BYTE_0 src1_sel:DWORD
	v_bfrev_b32_e32 v12, 1
	s_and_saveexec_b64 s[68:69], s[28:29]
	s_cbranch_execz .LBB4_4473
; %bb.4470:                             ;   in Loop: Header=BB4_4228 Depth=3
	v_bfe_u32 v1, v14, 16, 7
	v_cmp_ne_u32_e64 s[28:29], s92, v1
	v_mov_b32_e32 v12, 0x7f800001
	s_and_saveexec_b64 s[70:71], s[28:29]
	s_cbranch_execz .LBB4_4472
; %bb.4471:                             ;   in Loop: Header=BB4_4228 Depth=3
	v_and_b32_e32 v12, 7, v8
	v_ffbh_u32_e32 v30, v12
	v_min_u32_e32 v33, 32, v30
	v_subrev_u32_e32 v30, 28, v33
	v_lshlrev_b64 v[30:31], v30, v[8:9]
	v_lshrrev_b32_e32 v32, 3, v1
	v_sub_u32_e32 v31, 29, v33
	v_and_b32_e32 v30, 7, v30
	v_cmp_gt_u32_e64 s[28:29], 8, v1
	v_cndmask_b32_e64 v1, v32, v31, s[28:29]
	v_cndmask_b32_e64 v12, v12, v30, s[28:29]
	v_lshlrev_b32_e32 v8, 24, v8
	v_bfrev_b32_e32 v30, 60
	v_lshlrev_b32_e32 v12, 20, v12
	v_and_b32_e32 v8, 0x80000000, v8
	v_lshl_add_u32 v1, v1, 23, v30
	v_or3_b32 v12, v8, v1, v12
.LBB4_4472:                             ;   in Loop: Header=BB4_4228 Depth=3
	s_or_b64 exec, exec, s[70:71]
.LBB4_4473:                             ;   in Loop: Header=BB4_4228 Depth=3
	s_or_b64 exec, exec, s[68:69]
.LBB4_4474:                             ;   in Loop: Header=BB4_4228 Depth=3
	s_or_b64 exec, exec, s[30:31]
	v_lshrrev_b32_e32 v8, 16, v10
	v_cmp_ne_u16_sdwa s[28:29], v8, v59 src0_sel:BYTE_0 src1_sel:DWORD
	s_and_saveexec_b64 s[30:31], s[28:29]
	s_cbranch_execz .LBB4_4480
; %bb.4475:                             ;   in Loop: Header=BB4_4228 Depth=3
	v_cmp_ne_u16_sdwa s[28:29], v8, s91 src0_sel:BYTE_0 src1_sel:DWORD
	v_bfrev_b32_e32 v9, 1
	s_and_saveexec_b64 s[68:69], s[28:29]
	s_cbranch_execz .LBB4_4479
; %bb.4476:                             ;   in Loop: Header=BB4_4228 Depth=3
	v_bfe_u32 v1, v10, 16, 7
	v_cmp_ne_u32_e64 s[28:29], s92, v1
	v_mov_b32_e32 v9, 0x7f800001
	s_and_saveexec_b64 s[70:71], s[28:29]
	s_cbranch_execz .LBB4_4478
; %bb.4477:                             ;   in Loop: Header=BB4_4228 Depth=3
	v_and_b32_e32 v30, 7, v8
	v_ffbh_u32_e32 v9, v30
	v_min_u32_e32 v32, 32, v9
	v_subrev_u32_e32 v9, 28, v32
	v_lshlrev_b64 v[8:9], v9, v[8:9]
	v_lshrrev_b32_e32 v31, 3, v1
	v_sub_u32_e32 v9, 29, v32
	v_and_b32_e32 v8, 7, v8
	v_cmp_gt_u32_e64 s[28:29], 8, v1
	v_cndmask_b32_e64 v1, v31, v9, s[28:29]
	v_cndmask_b32_e64 v8, v30, v8, s[28:29]
	v_lshlrev_b32_e32 v9, 8, v10
	v_bfrev_b32_e32 v30, 60
	v_lshlrev_b32_e32 v8, 20, v8
	v_and_b32_e32 v9, 0x80000000, v9
	v_lshl_add_u32 v1, v1, 23, v30
	v_or3_b32 v9, v9, v1, v8
.LBB4_4478:                             ;   in Loop: Header=BB4_4228 Depth=3
	s_or_b64 exec, exec, s[70:71]
.LBB4_4479:                             ;   in Loop: Header=BB4_4228 Depth=3
	s_or_b64 exec, exec, s[68:69]
.LBB4_4480:                             ;   in Loop: Header=BB4_4228 Depth=3
	s_or_b64 exec, exec, s[30:31]
	v_add_f32_e32 v8, v12, v9
	v_and_b32_sdwa v12, v8, s91 dst_sel:DWORD dst_unused:UNUSED_PAD src0_sel:BYTE_3 src1_sel:DWORD
	v_and_b32_e32 v32, 0x7f800000, v8
	v_mov_b32_e32 v33, v59
	v_and_b32_e32 v58, 0x7fffff, v8
	v_or_b32_e32 v30, 0x7e, v12
	v_cmp_ne_u64_e64 s[28:29], s[54:55], v[32:33]
	s_and_saveexec_b64 s[30:31], s[28:29]
	s_xor_b64 s[68:69], exec, s[30:31]
	s_cbranch_execz .LBB4_4490
; %bb.4481:                             ;   in Loop: Header=BB4_4228 Depth=3
	v_and_b32_e32 v32, 0x7fffffff, v8
	v_mov_b32_e32 v33, v59
	v_cmp_gt_u64_e64 s[28:29], s[56:57], v[32:33]
	s_and_saveexec_b64 s[70:71], s[28:29]
	s_cbranch_execz .LBB4_4489
; %bb.4482:                             ;   in Loop: Header=BB4_4228 Depth=3
	v_cmp_ne_u32_e64 s[28:29], 0, v8
	v_mov_b32_e32 v30, 0
	s_and_saveexec_b64 s[72:73], s[28:29]
	s_cbranch_execz .LBB4_4488
; %bb.4483:                             ;   in Loop: Header=BB4_4228 Depth=3
	v_bfe_u32 v1, v8, 23, 8
	v_sub_u32_e32 v9, 0x79, v1
	v_cmp_gt_u32_e64 s[28:29], s93, v1
	v_add_u32_e32 v8, 0xffffff81, v1
	v_cndmask_b32_e64 v9, 0, v9, s[28:29]
	v_cmp_eq_u32_e64 s[28:29], 0, v1
	v_mov_b32_e32 v1, 0xffffff82
	v_cndmask_b32_e64 v1, v8, v1, s[28:29]
	v_mov_b32_e32 v8, 0x78
	v_or_b32_e32 v30, 0x800000, v58
	v_cndmask_b32_e64 v31, v9, v8, s[28:29]
	v_cndmask_b32_e64 v58, v30, v58, s[28:29]
	v_add_u32_e32 v8, 20, v31
	v_lshlrev_b64 v[8:9], v8, -1
	v_add_u32_e32 v30, 19, v31
	v_lshrrev_b64 v[34:35], v31, v[58:59]
	v_not_b32_e32 v9, v9
	v_not_b32_e32 v8, v8
	v_lshlrev_b64 v[32:33], v30, 1
	v_lshrrev_b32_e32 v30, 23, v34
	v_and_b32_e32 v9, 0, v9
	v_and_b32_e32 v8, v58, v8
	v_add3_u32 v36, v31, v1, v30
	v_bfe_u32 v1, v34, 20, 1
	v_add_u32_e32 v1, -1, v1
	v_cmp_eq_u64_e64 s[28:29], v[8:9], v[32:33]
	v_cndmask_b32_e64 v1, 0, v1, s[28:29]
	v_add_u32_e32 v1, v1, v34
	v_and_b32_e32 v1, 0xfffff, v1
	v_add_co_u32_e64 v8, s[28:29], v1, v34
	v_add_u32_e32 v31, 6, v36
	v_addc_co_u32_e64 v9, s[28:29], 0, v35, s[28:29]
	v_cmp_ne_u32_e64 s[28:29], 0, v31
                                        ; implicit-def: $vgpr30
	s_and_saveexec_b64 s[30:31], s[28:29]
	s_xor_b64 s[30:31], exec, s[30:31]
; %bb.4484:                             ;   in Loop: Header=BB4_4228 Depth=3
	v_add_u32_e32 v1, 7, v36
	v_cmp_lt_u64_e64 s[28:29], s[58:59], v[8:9]
	v_cndmask_b32_e64 v30, v31, v1, s[28:29]
	v_cndmask_b32_e64 v1, 0, 1, s[28:29]
	v_lshrrev_b64 v[8:9], v1, v[8:9]
; %bb.4485:                             ;   in Loop: Header=BB4_4228 Depth=3
	s_andn2_saveexec_b64 s[28:29], s[30:31]
; %bb.4486:                             ;   in Loop: Header=BB4_4228 Depth=3
	v_bfe_u32 v30, v8, 23, 1
; %bb.4487:                             ;   in Loop: Header=BB4_4228 Depth=3
	s_or_b64 exec, exec, s[28:29]
	v_lshrrev_b64 v[8:9], 20, v[8:9]
	v_cmp_gt_i32_e64 s[28:29], 16, v30
	v_cndmask_b32_e64 v9, 0, v9, s[28:29]
	v_cndmask_b32_e64 v8, 7, v8, s[28:29]
	v_min_i32_e32 v1, 15, v30
	v_cmp_eq_u32_e64 s[28:29], 0, v30
	v_cmp_eq_u64_e64 s[30:31], 0, v[8:9]
	v_lshlrev_b32_e32 v1, 3, v1
	v_and_or_b32 v1, v8, 7, v1
	s_and_b64 s[28:29], s[28:29], s[30:31]
	v_cndmask_b32_e64 v1, v1, 0, s[28:29]
	v_or_b32_e32 v30, v1, v12
.LBB4_4488:                             ;   in Loop: Header=BB4_4228 Depth=3
	s_or_b64 exec, exec, s[72:73]
.LBB4_4489:                             ;   in Loop: Header=BB4_4228 Depth=3
	s_or_b64 exec, exec, s[70:71]
                                        ; implicit-def: $vgpr8
.LBB4_4490:                             ;   in Loop: Header=BB4_4228 Depth=3
	s_andn2_saveexec_b64 s[30:31], s[68:69]
; %bb.4491:                             ;   in Loop: Header=BB4_4228 Depth=3
	v_or_b32_sdwa v1, v8, s92 dst_sel:DWORD dst_unused:UNUSED_PAD src0_sel:BYTE_3 src1_sel:DWORD
	v_cmp_eq_u64_e64 s[28:29], 0, v[58:59]
	v_cndmask_b32_e64 v30, v1, v30, s[28:29]
; %bb.4492:                             ;   in Loop: Header=BB4_4228 Depth=3
	s_or_b64 exec, exec, s[30:31]
	v_cmp_lt_u32_e64 s[28:29], s45, v14
	v_mov_b32_e32 v9, 0
	v_mov_b32_e32 v12, 0
	s_and_saveexec_b64 s[30:31], s[28:29]
	s_cbranch_execz .LBB4_4498
; %bb.4493:                             ;   in Loop: Header=BB4_4228 Depth=3
	v_lshrrev_b32_e32 v8, 24, v14
	v_cmp_ne_u32_e64 s[28:29], s91, v8
	v_bfrev_b32_e32 v12, 1
	s_and_saveexec_b64 s[68:69], s[28:29]
	s_cbranch_execz .LBB4_4497
; %bb.4494:                             ;   in Loop: Header=BB4_4228 Depth=3
	v_bfe_u32 v1, v14, 24, 7
	v_cmp_ne_u32_e64 s[28:29], s92, v1
	v_mov_b32_e32 v12, 0x7f800001
	s_and_saveexec_b64 s[70:71], s[28:29]
	s_cbranch_execz .LBB4_4496
; %bb.4495:                             ;   in Loop: Header=BB4_4228 Depth=3
	v_and_b32_e32 v12, 7, v8
	v_ffbh_u32_e32 v32, v12
	v_min_u32_e32 v34, 32, v32
	v_subrev_u32_e32 v32, 28, v34
	v_lshlrev_b64 v[32:33], v32, v[8:9]
	v_lshrrev_b32_e32 v31, 3, v1
	v_sub_u32_e32 v33, 29, v34
	v_and_b32_e32 v32, 7, v32
	v_cmp_gt_u32_e64 s[28:29], 8, v1
	v_cndmask_b32_e64 v1, v31, v33, s[28:29]
	v_cndmask_b32_e64 v12, v12, v32, s[28:29]
	v_lshlrev_b32_e32 v8, 24, v8
	v_bfrev_b32_e32 v31, 60
	v_lshlrev_b32_e32 v12, 20, v12
	v_and_b32_e32 v8, 0x80000000, v8
	v_lshl_add_u32 v1, v1, 23, v31
	v_or3_b32 v12, v8, v1, v12
.LBB4_4496:                             ;   in Loop: Header=BB4_4228 Depth=3
	s_or_b64 exec, exec, s[70:71]
.LBB4_4497:                             ;   in Loop: Header=BB4_4228 Depth=3
	s_or_b64 exec, exec, s[68:69]
.LBB4_4498:                             ;   in Loop: Header=BB4_4228 Depth=3
	s_or_b64 exec, exec, s[30:31]
	v_cmp_lt_u32_e64 s[28:29], s45, v10
	s_and_saveexec_b64 s[30:31], s[28:29]
	s_cbranch_execz .LBB4_4504
; %bb.4499:                             ;   in Loop: Header=BB4_4228 Depth=3
	v_lshrrev_b32_e32 v8, 24, v10
	v_cmp_ne_u32_e64 s[28:29], s91, v8
	v_bfrev_b32_e32 v9, 1
	s_and_saveexec_b64 s[68:69], s[28:29]
	s_cbranch_execz .LBB4_4503
; %bb.4500:                             ;   in Loop: Header=BB4_4228 Depth=3
	v_bfe_u32 v1, v10, 24, 7
	v_cmp_ne_u32_e64 s[28:29], s92, v1
	v_mov_b32_e32 v9, 0x7f800001
	s_and_saveexec_b64 s[70:71], s[28:29]
	s_cbranch_execz .LBB4_4502
; %bb.4501:                             ;   in Loop: Header=BB4_4228 Depth=3
	v_and_b32_e32 v9, 7, v8
	v_ffbh_u32_e32 v32, v9
	v_min_u32_e32 v34, 32, v32
	v_subrev_u32_e32 v32, 28, v34
	v_lshlrev_b64 v[32:33], v32, v[8:9]
	v_lshrrev_b32_e32 v31, 3, v1
	v_sub_u32_e32 v33, 29, v34
	v_and_b32_e32 v32, 7, v32
	v_cmp_gt_u32_e64 s[28:29], 8, v1
	v_cndmask_b32_e64 v1, v31, v33, s[28:29]
	v_cndmask_b32_e64 v9, v9, v32, s[28:29]
	v_lshlrev_b32_e32 v8, 24, v8
	v_bfrev_b32_e32 v31, 60
	v_lshlrev_b32_e32 v9, 20, v9
	v_and_b32_e32 v8, 0x80000000, v8
	v_lshl_add_u32 v1, v1, 23, v31
	v_or3_b32 v9, v8, v1, v9
.LBB4_4502:                             ;   in Loop: Header=BB4_4228 Depth=3
	s_or_b64 exec, exec, s[70:71]
.LBB4_4503:                             ;   in Loop: Header=BB4_4228 Depth=3
	s_or_b64 exec, exec, s[68:69]
.LBB4_4504:                             ;   in Loop: Header=BB4_4228 Depth=3
	s_or_b64 exec, exec, s[30:31]
	v_add_f32_e32 v8, v12, v9
	v_and_b32_sdwa v12, v8, s91 dst_sel:DWORD dst_unused:UNUSED_PAD src0_sel:BYTE_3 src1_sel:DWORD
	v_and_b32_e32 v32, 0x7f800000, v8
	v_mov_b32_e32 v33, v59
	v_and_b32_e32 v58, 0x7fffff, v8
	v_or_b32_e32 v36, 0x7e, v12
	v_cmp_ne_u64_e64 s[28:29], s[54:55], v[32:33]
	s_and_saveexec_b64 s[30:31], s[28:29]
	s_xor_b64 s[68:69], exec, s[30:31]
	s_cbranch_execz .LBB4_4514
; %bb.4505:                             ;   in Loop: Header=BB4_4228 Depth=3
	v_and_b32_e32 v32, 0x7fffffff, v8
	v_mov_b32_e32 v33, v59
	v_cmp_gt_u64_e64 s[28:29], s[56:57], v[32:33]
	s_and_saveexec_b64 s[70:71], s[28:29]
	s_cbranch_execz .LBB4_4513
; %bb.4506:                             ;   in Loop: Header=BB4_4228 Depth=3
	v_cmp_ne_u32_e64 s[28:29], 0, v8
	v_mov_b32_e32 v36, 0
	s_and_saveexec_b64 s[72:73], s[28:29]
	s_cbranch_execz .LBB4_4512
; %bb.4507:                             ;   in Loop: Header=BB4_4228 Depth=3
	v_bfe_u32 v1, v8, 23, 8
	v_sub_u32_e32 v9, 0x79, v1
	v_cmp_gt_u32_e64 s[28:29], s93, v1
	v_add_u32_e32 v8, 0xffffff81, v1
	v_cndmask_b32_e64 v9, 0, v9, s[28:29]
	v_cmp_eq_u32_e64 s[28:29], 0, v1
	v_mov_b32_e32 v1, 0xffffff82
	v_cndmask_b32_e64 v1, v8, v1, s[28:29]
	v_mov_b32_e32 v8, 0x78
	v_or_b32_e32 v31, 0x800000, v58
	v_cndmask_b32_e64 v36, v9, v8, s[28:29]
	v_cndmask_b32_e64 v58, v31, v58, s[28:29]
	v_add_u32_e32 v8, 20, v36
	v_lshlrev_b64 v[8:9], v8, -1
	v_add_u32_e32 v31, 19, v36
	v_lshrrev_b64 v[34:35], v36, v[58:59]
	v_not_b32_e32 v9, v9
	v_not_b32_e32 v8, v8
	v_lshlrev_b64 v[32:33], v31, 1
	v_lshrrev_b32_e32 v31, 23, v34
	v_and_b32_e32 v9, 0, v9
	v_and_b32_e32 v8, v58, v8
	v_add3_u32 v37, v36, v1, v31
	v_bfe_u32 v1, v34, 20, 1
	v_add_u32_e32 v1, -1, v1
	v_cmp_eq_u64_e64 s[28:29], v[8:9], v[32:33]
	v_cndmask_b32_e64 v1, 0, v1, s[28:29]
	v_add_u32_e32 v1, v1, v34
	v_and_b32_e32 v1, 0xfffff, v1
	v_add_co_u32_e64 v8, s[28:29], v1, v34
	v_add_u32_e32 v36, 6, v37
	v_addc_co_u32_e64 v9, s[28:29], 0, v35, s[28:29]
	v_cmp_ne_u32_e64 s[28:29], 0, v36
                                        ; implicit-def: $vgpr31
	s_and_saveexec_b64 s[30:31], s[28:29]
	s_xor_b64 s[30:31], exec, s[30:31]
; %bb.4508:                             ;   in Loop: Header=BB4_4228 Depth=3
	v_add_u32_e32 v1, 7, v37
	v_cmp_lt_u64_e64 s[28:29], s[58:59], v[8:9]
	v_cndmask_b32_e64 v31, v36, v1, s[28:29]
	v_cndmask_b32_e64 v1, 0, 1, s[28:29]
	v_lshrrev_b64 v[8:9], v1, v[8:9]
; %bb.4509:                             ;   in Loop: Header=BB4_4228 Depth=3
	s_andn2_saveexec_b64 s[28:29], s[30:31]
; %bb.4510:                             ;   in Loop: Header=BB4_4228 Depth=3
	v_bfe_u32 v31, v8, 23, 1
; %bb.4511:                             ;   in Loop: Header=BB4_4228 Depth=3
	s_or_b64 exec, exec, s[28:29]
	v_lshrrev_b64 v[8:9], 20, v[8:9]
	v_cmp_gt_i32_e64 s[28:29], 16, v31
	v_cndmask_b32_e64 v9, 0, v9, s[28:29]
	v_cndmask_b32_e64 v8, 7, v8, s[28:29]
	v_min_i32_e32 v1, 15, v31
	v_cmp_eq_u32_e64 s[28:29], 0, v31
	v_cmp_eq_u64_e64 s[30:31], 0, v[8:9]
	v_lshlrev_b32_e32 v1, 3, v1
	v_and_or_b32 v1, v8, 7, v1
	s_and_b64 s[28:29], s[28:29], s[30:31]
	v_cndmask_b32_e64 v1, v1, 0, s[28:29]
	v_or_b32_e32 v36, v1, v12
.LBB4_4512:                             ;   in Loop: Header=BB4_4228 Depth=3
	s_or_b64 exec, exec, s[72:73]
.LBB4_4513:                             ;   in Loop: Header=BB4_4228 Depth=3
	s_or_b64 exec, exec, s[70:71]
                                        ; implicit-def: $vgpr8
.LBB4_4514:                             ;   in Loop: Header=BB4_4228 Depth=3
	s_andn2_saveexec_b64 s[30:31], s[68:69]
; %bb.4515:                             ;   in Loop: Header=BB4_4228 Depth=3
	v_or_b32_sdwa v1, v8, s92 dst_sel:DWORD dst_unused:UNUSED_PAD src0_sel:BYTE_3 src1_sel:DWORD
	v_cmp_eq_u64_e64 s[28:29], 0, v[58:59]
	v_cndmask_b32_e64 v36, v1, v36, s[28:29]
; %bb.4516:                             ;   in Loop: Header=BB4_4228 Depth=3
	s_or_b64 exec, exec, s[30:31]
	v_mov_b32_e32 v58, v15
	v_cmp_ne_u16_sdwa s[28:29], v15, v59 src0_sel:BYTE_0 src1_sel:DWORD
	v_mov_b32_e32 v9, 0
	v_mov_b32_e32 v8, 0
	s_and_saveexec_b64 s[30:31], s[28:29]
	s_cbranch_execz .LBB4_4522
; %bb.4517:                             ;   in Loop: Header=BB4_4228 Depth=3
	v_cmp_ne_u16_sdwa s[28:29], v15, s91 src0_sel:BYTE_0 src1_sel:DWORD
	v_bfrev_b32_e32 v8, 1
	s_and_saveexec_b64 s[68:69], s[28:29]
	s_cbranch_execz .LBB4_4521
; %bb.4518:                             ;   in Loop: Header=BB4_4228 Depth=3
	v_and_b32_e32 v1, 0x7f, v15
	v_cmp_ne_u32_e64 s[28:29], s92, v1
	v_mov_b32_e32 v8, 0x7f800001
	s_and_saveexec_b64 s[70:71], s[28:29]
	s_cbranch_execz .LBB4_4520
; %bb.4519:                             ;   in Loop: Header=BB4_4228 Depth=3
	v_and_b32_e32 v8, 7, v15
	v_ffbh_u32_e32 v8, v8
	v_min_u32_e32 v8, 32, v8
	v_lshrrev_b32_e32 v12, 3, v1
	v_subrev_u32_e32 v31, 28, v8
	v_sub_u32_e32 v8, 29, v8
	v_cmp_gt_u32_e64 s[28:29], 8, v1
	v_cndmask_b32_e64 v1, v12, v8, s[28:29]
	v_cndmask_b32_e64 v8, 0, v31, s[28:29]
	v_lshlrev_b64 v[32:33], v8, v[58:59]
	v_lshlrev_b32_e32 v8, 20, v32
	v_lshlrev_b32_e32 v12, 24, v58
	v_bfrev_b32_e32 v31, 60
	v_and_b32_e32 v8, 0x700000, v8
	v_and_b32_e32 v12, 0x80000000, v12
	v_lshl_add_u32 v1, v1, 23, v31
	v_or3_b32 v8, v12, v1, v8
.LBB4_4520:                             ;   in Loop: Header=BB4_4228 Depth=3
	s_or_b64 exec, exec, s[70:71]
.LBB4_4521:                             ;   in Loop: Header=BB4_4228 Depth=3
	s_or_b64 exec, exec, s[68:69]
.LBB4_4522:                             ;   in Loop: Header=BB4_4228 Depth=3
	s_or_b64 exec, exec, s[30:31]
	v_cmp_ne_u16_sdwa s[28:29], v11, v59 src0_sel:BYTE_0 src1_sel:DWORD
	s_and_saveexec_b64 s[30:31], s[28:29]
	s_cbranch_execz .LBB4_4528
; %bb.4523:                             ;   in Loop: Header=BB4_4228 Depth=3
	v_cmp_ne_u16_sdwa s[28:29], v11, s91 src0_sel:BYTE_0 src1_sel:DWORD
	v_bfrev_b32_e32 v9, 1
	s_and_saveexec_b64 s[68:69], s[28:29]
	s_cbranch_execz .LBB4_4527
; %bb.4524:                             ;   in Loop: Header=BB4_4228 Depth=3
	v_and_b32_e32 v1, 0x7f, v11
	v_cmp_ne_u32_e64 s[28:29], s92, v1
	v_mov_b32_e32 v9, 0x7f800001
	s_and_saveexec_b64 s[70:71], s[28:29]
	s_cbranch_execz .LBB4_4526
; %bb.4525:                             ;   in Loop: Header=BB4_4228 Depth=3
	v_and_b32_e32 v9, 7, v11
	v_ffbh_u32_e32 v9, v9
	v_min_u32_e32 v9, 32, v9
	v_lshrrev_b32_e32 v12, 3, v1
	v_subrev_u32_e32 v31, 28, v9
	v_sub_u32_e32 v9, 29, v9
	v_cmp_gt_u32_e64 s[28:29], 8, v1
	v_mov_b32_e32 v32, v11
	v_mov_b32_e32 v33, v59
	v_cndmask_b32_e64 v1, v12, v9, s[28:29]
	v_cndmask_b32_e64 v9, 0, v31, s[28:29]
	v_lshlrev_b64 v[34:35], v9, v[32:33]
	v_lshlrev_b32_e32 v9, 20, v34
	v_lshlrev_b32_e32 v12, 24, v32
	v_bfrev_b32_e32 v31, 60
	v_and_b32_e32 v9, 0x700000, v9
	v_and_b32_e32 v12, 0x80000000, v12
	v_lshl_add_u32 v1, v1, 23, v31
	v_or3_b32 v9, v12, v1, v9
.LBB4_4526:                             ;   in Loop: Header=BB4_4228 Depth=3
	s_or_b64 exec, exec, s[70:71]
.LBB4_4527:                             ;   in Loop: Header=BB4_4228 Depth=3
	s_or_b64 exec, exec, s[68:69]
.LBB4_4528:                             ;   in Loop: Header=BB4_4228 Depth=3
	s_or_b64 exec, exec, s[30:31]
	v_add_f32_e32 v37, v8, v9
	v_and_b32_sdwa v12, v37, s91 dst_sel:DWORD dst_unused:UNUSED_PAD src0_sel:BYTE_3 src1_sel:DWORD
	v_and_b32_e32 v32, 0x7f800000, v37
	v_mov_b32_e32 v33, v59
	v_and_b32_e32 v8, 0x7fffff, v37
	v_mov_b32_e32 v9, v59
	v_or_b32_e32 v31, 0x7e, v12
	v_cmp_ne_u64_e64 s[28:29], s[54:55], v[32:33]
	s_and_saveexec_b64 s[30:31], s[28:29]
	s_xor_b64 s[68:69], exec, s[30:31]
	s_cbranch_execz .LBB4_4538
; %bb.4529:                             ;   in Loop: Header=BB4_4228 Depth=3
	v_and_b32_e32 v32, 0x7fffffff, v37
	v_mov_b32_e32 v33, v59
	v_cmp_gt_u64_e64 s[28:29], s[56:57], v[32:33]
	s_and_saveexec_b64 s[70:71], s[28:29]
	s_cbranch_execz .LBB4_4537
; %bb.4530:                             ;   in Loop: Header=BB4_4228 Depth=3
	v_cmp_ne_u32_e64 s[28:29], 0, v37
	v_mov_b32_e32 v31, 0
	s_and_saveexec_b64 s[72:73], s[28:29]
	s_cbranch_execz .LBB4_4536
; %bb.4531:                             ;   in Loop: Header=BB4_4228 Depth=3
	v_bfe_u32 v1, v37, 23, 8
	v_sub_u32_e32 v32, 0x79, v1
	v_cmp_gt_u32_e64 s[28:29], s93, v1
	v_add_u32_e32 v31, 0xffffff81, v1
	v_cndmask_b32_e64 v32, 0, v32, s[28:29]
	v_cmp_eq_u32_e64 s[28:29], 0, v1
	v_mov_b32_e32 v1, 0xffffff82
	v_cndmask_b32_e64 v1, v31, v1, s[28:29]
	v_mov_b32_e32 v31, 0x78
	v_cndmask_b32_e64 v31, v32, v31, s[28:29]
	v_or_b32_e32 v33, 0x800000, v8
	v_add_u32_e32 v32, 20, v31
	v_cndmask_b32_e64 v8, v33, v8, s[28:29]
	v_lshlrev_b64 v[32:33], v32, -1
	v_not_b32_e32 v32, v32
	v_and_b32_e32 v32, v8, v32
	v_lshrrev_b64 v[8:9], v31, v[8:9]
	v_not_b32_e32 v33, v33
	v_add_u32_e32 v34, 19, v31
	v_lshrrev_b32_e32 v37, 23, v8
	v_and_b32_e32 v33, 0, v33
	v_lshlrev_b64 v[34:35], v34, 1
	v_add3_u32 v38, v31, v1, v37
	v_bfe_u32 v1, v8, 20, 1
	v_add_u32_e32 v1, -1, v1
	v_cmp_eq_u64_e64 s[28:29], v[32:33], v[34:35]
	v_cndmask_b32_e64 v1, 0, v1, s[28:29]
	v_add_u32_e32 v1, v1, v8
	v_and_b32_e32 v1, 0xfffff, v1
	v_add_co_u32_e64 v8, s[28:29], v1, v8
	v_add_u32_e32 v37, 6, v38
	v_addc_co_u32_e64 v9, s[28:29], 0, v9, s[28:29]
	v_cmp_ne_u32_e64 s[28:29], 0, v37
                                        ; implicit-def: $vgpr31
	s_and_saveexec_b64 s[30:31], s[28:29]
	s_xor_b64 s[30:31], exec, s[30:31]
; %bb.4532:                             ;   in Loop: Header=BB4_4228 Depth=3
	v_add_u32_e32 v1, 7, v38
	v_cmp_lt_u64_e64 s[28:29], s[58:59], v[8:9]
	v_cndmask_b32_e64 v31, v37, v1, s[28:29]
	v_cndmask_b32_e64 v1, 0, 1, s[28:29]
	v_lshrrev_b64 v[8:9], v1, v[8:9]
; %bb.4533:                             ;   in Loop: Header=BB4_4228 Depth=3
	s_andn2_saveexec_b64 s[28:29], s[30:31]
; %bb.4534:                             ;   in Loop: Header=BB4_4228 Depth=3
	v_bfe_u32 v31, v8, 23, 1
; %bb.4535:                             ;   in Loop: Header=BB4_4228 Depth=3
	s_or_b64 exec, exec, s[28:29]
	v_lshrrev_b64 v[8:9], 20, v[8:9]
	v_cmp_gt_i32_e64 s[28:29], 16, v31
	v_cndmask_b32_e64 v9, 0, v9, s[28:29]
	v_cndmask_b32_e64 v8, 7, v8, s[28:29]
	v_min_i32_e32 v1, 15, v31
	v_cmp_eq_u32_e64 s[28:29], 0, v31
	v_cmp_eq_u64_e64 s[30:31], 0, v[8:9]
	v_lshlrev_b32_e32 v1, 3, v1
	v_and_or_b32 v1, v8, 7, v1
	s_and_b64 s[28:29], s[28:29], s[30:31]
	v_cndmask_b32_e64 v1, v1, 0, s[28:29]
	v_or_b32_e32 v31, v1, v12
.LBB4_4536:                             ;   in Loop: Header=BB4_4228 Depth=3
	s_or_b64 exec, exec, s[72:73]
.LBB4_4537:                             ;   in Loop: Header=BB4_4228 Depth=3
	s_or_b64 exec, exec, s[70:71]
                                        ; implicit-def: $vgpr37
                                        ; implicit-def: $vgpr8_vgpr9
.LBB4_4538:                             ;   in Loop: Header=BB4_4228 Depth=3
	s_andn2_saveexec_b64 s[30:31], s[68:69]
; %bb.4539:                             ;   in Loop: Header=BB4_4228 Depth=3
	v_or_b32_sdwa v1, v37, s92 dst_sel:DWORD dst_unused:UNUSED_PAD src0_sel:BYTE_3 src1_sel:DWORD
	v_cmp_eq_u64_e64 s[28:29], 0, v[8:9]
	v_cndmask_b32_e64 v31, v1, v31, s[28:29]
; %bb.4540:                             ;   in Loop: Header=BB4_4228 Depth=3
	s_or_b64 exec, exec, s[30:31]
	v_lshrrev_b16_e32 v8, 8, v58
	v_cmp_ne_u16_e64 s[28:29], 0, v8
	v_mov_b32_e32 v9, 0
	v_mov_b32_e32 v37, 0
	s_and_saveexec_b64 s[30:31], s[28:29]
	s_cbranch_execz .LBB4_4546
; %bb.4541:                             ;   in Loop: Header=BB4_4228 Depth=3
	v_cmp_ne_u16_e64 s[28:29], s91, v8
	v_bfrev_b32_e32 v37, 1
	s_and_saveexec_b64 s[68:69], s[28:29]
	s_cbranch_execz .LBB4_4545
; %bb.4542:                             ;   in Loop: Header=BB4_4228 Depth=3
	v_and_b32_e32 v1, 0x7f, v8
	v_cmp_ne_u32_e64 s[28:29], s92, v1
	v_mov_b32_e32 v37, 0x7f800001
	s_and_saveexec_b64 s[70:71], s[28:29]
	s_cbranch_execz .LBB4_4544
; %bb.4543:                             ;   in Loop: Header=BB4_4228 Depth=3
	v_and_b32_e32 v12, 7, v8
	v_ffbh_u32_e32 v32, v12
	v_min_u32_e32 v35, 32, v32
	v_subrev_u32_e32 v32, 28, v35
	v_lshlrev_b64 v[32:33], v32, v[8:9]
	v_lshrrev_b32_e32 v34, 3, v1
	v_sub_u32_e32 v8, 29, v35
	v_and_b32_e32 v32, 7, v32
	v_cmp_gt_u32_e64 s[28:29], 8, v1
	v_cndmask_b32_e64 v1, v34, v8, s[28:29]
	v_cndmask_b32_e64 v8, v12, v32, s[28:29]
	v_lshlrev_b32_e32 v12, 16, v58
	v_bfrev_b32_e32 v32, 60
	v_lshlrev_b32_e32 v8, 20, v8
	v_and_b32_e32 v12, 0x80000000, v12
	v_lshl_add_u32 v1, v1, 23, v32
	v_or3_b32 v37, v12, v1, v8
.LBB4_4544:                             ;   in Loop: Header=BB4_4228 Depth=3
	s_or_b64 exec, exec, s[70:71]
.LBB4_4545:                             ;   in Loop: Header=BB4_4228 Depth=3
	s_or_b64 exec, exec, s[68:69]
.LBB4_4546:                             ;   in Loop: Header=BB4_4228 Depth=3
	s_or_b64 exec, exec, s[30:31]
	v_mov_b32_e32 v8, v11
	v_lshrrev_b16_e32 v12, 8, v8
	v_cmp_ne_u16_e64 s[28:29], 0, v12
	s_and_saveexec_b64 s[30:31], s[28:29]
	s_cbranch_execz .LBB4_4552
; %bb.4547:                             ;   in Loop: Header=BB4_4228 Depth=3
	v_cmp_ne_u16_e64 s[28:29], s91, v12
	v_bfrev_b32_e32 v9, 1
	s_and_saveexec_b64 s[68:69], s[28:29]
	s_cbranch_execz .LBB4_4551
; %bb.4548:                             ;   in Loop: Header=BB4_4228 Depth=3
	v_and_b32_e32 v1, 0x7f, v12
	v_cmp_ne_u32_e64 s[28:29], s92, v1
	v_mov_b32_e32 v9, 0x7f800001
	s_and_saveexec_b64 s[70:71], s[28:29]
	s_cbranch_execz .LBB4_4550
; %bb.4549:                             ;   in Loop: Header=BB4_4228 Depth=3
	v_and_b32_e32 v9, 7, v12
	v_ffbh_u32_e32 v32, v9
	v_min_u32_e32 v35, 32, v32
	v_subrev_u32_e32 v32, 28, v35
	v_lshlrev_b64 v[32:33], v32, v[12:13]
	v_lshrrev_b32_e32 v34, 3, v1
	v_sub_u32_e32 v12, 29, v35
	v_and_b32_e32 v32, 7, v32
	v_cmp_gt_u32_e64 s[28:29], 8, v1
	v_cndmask_b32_e64 v1, v34, v12, s[28:29]
	v_cndmask_b32_e64 v9, v9, v32, s[28:29]
	v_lshlrev_b32_e32 v8, 16, v8
	v_bfrev_b32_e32 v12, 60
	v_lshlrev_b32_e32 v9, 20, v9
	v_and_b32_e32 v8, 0x80000000, v8
	v_lshl_add_u32 v1, v1, 23, v12
	v_or3_b32 v9, v8, v1, v9
.LBB4_4550:                             ;   in Loop: Header=BB4_4228 Depth=3
	s_or_b64 exec, exec, s[70:71]
.LBB4_4551:                             ;   in Loop: Header=BB4_4228 Depth=3
	s_or_b64 exec, exec, s[68:69]
.LBB4_4552:                             ;   in Loop: Header=BB4_4228 Depth=3
	s_or_b64 exec, exec, s[30:31]
	v_add_f32_e32 v8, v37, v9
	v_and_b32_sdwa v37, v8, s91 dst_sel:DWORD dst_unused:UNUSED_PAD src0_sel:BYTE_3 src1_sel:DWORD
	v_and_b32_e32 v32, 0x7f800000, v8
	v_mov_b32_e32 v33, v59
	v_and_b32_e32 v58, 0x7fffff, v8
	v_or_b32_e32 v12, 0x7e, v37
	v_cmp_ne_u64_e64 s[28:29], s[54:55], v[32:33]
	s_and_saveexec_b64 s[30:31], s[28:29]
	s_xor_b64 s[68:69], exec, s[30:31]
	s_cbranch_execz .LBB4_4562
; %bb.4553:                             ;   in Loop: Header=BB4_4228 Depth=3
	v_and_b32_e32 v32, 0x7fffffff, v8
	v_mov_b32_e32 v33, v59
	v_cmp_gt_u64_e64 s[28:29], s[56:57], v[32:33]
	s_and_saveexec_b64 s[70:71], s[28:29]
	s_cbranch_execz .LBB4_4561
; %bb.4554:                             ;   in Loop: Header=BB4_4228 Depth=3
	v_cmp_ne_u32_e64 s[28:29], 0, v8
	v_mov_b32_e32 v12, 0
	s_and_saveexec_b64 s[72:73], s[28:29]
	s_cbranch_execz .LBB4_4560
; %bb.4555:                             ;   in Loop: Header=BB4_4228 Depth=3
	v_bfe_u32 v1, v8, 23, 8
	v_sub_u32_e32 v9, 0x79, v1
	v_cmp_gt_u32_e64 s[28:29], s93, v1
	v_add_u32_e32 v8, 0xffffff81, v1
	v_cndmask_b32_e64 v9, 0, v9, s[28:29]
	v_cmp_eq_u32_e64 s[28:29], 0, v1
	v_mov_b32_e32 v1, 0xffffff82
	v_cndmask_b32_e64 v1, v8, v1, s[28:29]
	v_mov_b32_e32 v8, 0x78
	v_or_b32_e32 v12, 0x800000, v58
	v_cndmask_b32_e64 v38, v9, v8, s[28:29]
	v_cndmask_b32_e64 v58, v12, v58, s[28:29]
	v_add_u32_e32 v8, 20, v38
	v_lshlrev_b64 v[8:9], v8, -1
	v_add_u32_e32 v12, 19, v38
	v_lshrrev_b64 v[34:35], v38, v[58:59]
	v_not_b32_e32 v9, v9
	v_not_b32_e32 v8, v8
	v_lshlrev_b64 v[32:33], v12, 1
	v_lshrrev_b32_e32 v12, 23, v34
	v_and_b32_e32 v9, 0, v9
	v_and_b32_e32 v8, v58, v8
	v_add3_u32 v39, v38, v1, v12
	v_bfe_u32 v1, v34, 20, 1
	v_add_u32_e32 v1, -1, v1
	v_cmp_eq_u64_e64 s[28:29], v[8:9], v[32:33]
	v_cndmask_b32_e64 v1, 0, v1, s[28:29]
	v_add_u32_e32 v1, v1, v34
	v_and_b32_e32 v1, 0xfffff, v1
	v_add_co_u32_e64 v8, s[28:29], v1, v34
	v_add_u32_e32 v38, 6, v39
	v_addc_co_u32_e64 v9, s[28:29], 0, v35, s[28:29]
	v_cmp_ne_u32_e64 s[28:29], 0, v38
                                        ; implicit-def: $vgpr12
	s_and_saveexec_b64 s[30:31], s[28:29]
	s_xor_b64 s[30:31], exec, s[30:31]
; %bb.4556:                             ;   in Loop: Header=BB4_4228 Depth=3
	v_add_u32_e32 v1, 7, v39
	v_cmp_lt_u64_e64 s[28:29], s[58:59], v[8:9]
	v_cndmask_b32_e64 v12, v38, v1, s[28:29]
	v_cndmask_b32_e64 v1, 0, 1, s[28:29]
	v_lshrrev_b64 v[8:9], v1, v[8:9]
; %bb.4557:                             ;   in Loop: Header=BB4_4228 Depth=3
	s_andn2_saveexec_b64 s[28:29], s[30:31]
; %bb.4558:                             ;   in Loop: Header=BB4_4228 Depth=3
	v_bfe_u32 v12, v8, 23, 1
; %bb.4559:                             ;   in Loop: Header=BB4_4228 Depth=3
	s_or_b64 exec, exec, s[28:29]
	v_lshrrev_b64 v[8:9], 20, v[8:9]
	v_cmp_gt_i32_e64 s[28:29], 16, v12
	v_cndmask_b32_e64 v9, 0, v9, s[28:29]
	v_cndmask_b32_e64 v8, 7, v8, s[28:29]
	v_min_i32_e32 v1, 15, v12
	v_cmp_eq_u32_e64 s[28:29], 0, v12
	v_cmp_eq_u64_e64 s[30:31], 0, v[8:9]
	v_lshlrev_b32_e32 v1, 3, v1
	v_and_or_b32 v1, v8, 7, v1
	s_and_b64 s[28:29], s[28:29], s[30:31]
	v_cndmask_b32_e64 v1, v1, 0, s[28:29]
	v_or_b32_e32 v12, v1, v37
.LBB4_4560:                             ;   in Loop: Header=BB4_4228 Depth=3
	s_or_b64 exec, exec, s[72:73]
.LBB4_4561:                             ;   in Loop: Header=BB4_4228 Depth=3
	s_or_b64 exec, exec, s[70:71]
                                        ; implicit-def: $vgpr8
.LBB4_4562:                             ;   in Loop: Header=BB4_4228 Depth=3
	s_andn2_saveexec_b64 s[30:31], s[68:69]
; %bb.4563:                             ;   in Loop: Header=BB4_4228 Depth=3
	v_or_b32_sdwa v1, v8, s92 dst_sel:DWORD dst_unused:UNUSED_PAD src0_sel:BYTE_3 src1_sel:DWORD
	v_cmp_eq_u64_e64 s[28:29], 0, v[58:59]
	v_cndmask_b32_e64 v12, v1, v12, s[28:29]
; %bb.4564:                             ;   in Loop: Header=BB4_4228 Depth=3
	s_or_b64 exec, exec, s[30:31]
	v_lshrrev_b32_e32 v8, 16, v15
	v_cmp_ne_u16_sdwa s[28:29], v8, v59 src0_sel:BYTE_0 src1_sel:DWORD
	v_mov_b32_e32 v9, 0
	v_mov_b32_e32 v37, 0
	s_and_saveexec_b64 s[30:31], s[28:29]
	s_cbranch_execz .LBB4_4570
; %bb.4565:                             ;   in Loop: Header=BB4_4228 Depth=3
	v_cmp_ne_u16_sdwa s[28:29], v8, s91 src0_sel:BYTE_0 src1_sel:DWORD
	v_bfrev_b32_e32 v37, 1
	s_and_saveexec_b64 s[68:69], s[28:29]
	s_cbranch_execz .LBB4_4569
; %bb.4566:                             ;   in Loop: Header=BB4_4228 Depth=3
	v_bfe_u32 v1, v15, 16, 7
	v_cmp_ne_u32_e64 s[28:29], s92, v1
	v_mov_b32_e32 v37, 0x7f800001
	s_and_saveexec_b64 s[70:71], s[28:29]
	s_cbranch_execz .LBB4_4568
; %bb.4567:                             ;   in Loop: Header=BB4_4228 Depth=3
	v_and_b32_e32 v34, 7, v8
	v_ffbh_u32_e32 v32, v34
	v_min_u32_e32 v37, 32, v32
	v_subrev_u32_e32 v32, 28, v37
	v_lshlrev_b64 v[32:33], v32, v[8:9]
	v_lshrrev_b32_e32 v35, 3, v1
	v_sub_u32_e32 v33, 29, v37
	v_and_b32_e32 v32, 7, v32
	v_cmp_gt_u32_e64 s[28:29], 8, v1
	v_cndmask_b32_e64 v1, v35, v33, s[28:29]
	v_cndmask_b32_e64 v32, v34, v32, s[28:29]
	v_lshlrev_b32_e32 v8, 24, v8
	v_bfrev_b32_e32 v33, 60
	v_lshlrev_b32_e32 v32, 20, v32
	v_and_b32_e32 v8, 0x80000000, v8
	v_lshl_add_u32 v1, v1, 23, v33
	v_or3_b32 v37, v8, v1, v32
.LBB4_4568:                             ;   in Loop: Header=BB4_4228 Depth=3
	s_or_b64 exec, exec, s[70:71]
.LBB4_4569:                             ;   in Loop: Header=BB4_4228 Depth=3
	s_or_b64 exec, exec, s[68:69]
.LBB4_4570:                             ;   in Loop: Header=BB4_4228 Depth=3
	s_or_b64 exec, exec, s[30:31]
	v_lshrrev_b32_e32 v8, 16, v11
	v_cmp_ne_u16_sdwa s[28:29], v8, v59 src0_sel:BYTE_0 src1_sel:DWORD
	s_and_saveexec_b64 s[30:31], s[28:29]
	s_cbranch_execz .LBB4_4576
; %bb.4571:                             ;   in Loop: Header=BB4_4228 Depth=3
	v_cmp_ne_u16_sdwa s[28:29], v8, s91 src0_sel:BYTE_0 src1_sel:DWORD
	v_bfrev_b32_e32 v9, 1
	s_and_saveexec_b64 s[68:69], s[28:29]
	s_cbranch_execz .LBB4_4575
; %bb.4572:                             ;   in Loop: Header=BB4_4228 Depth=3
	v_bfe_u32 v1, v11, 16, 7
	v_cmp_ne_u32_e64 s[28:29], s92, v1
	v_mov_b32_e32 v9, 0x7f800001
	s_and_saveexec_b64 s[70:71], s[28:29]
	s_cbranch_execz .LBB4_4574
; %bb.4573:                             ;   in Loop: Header=BB4_4228 Depth=3
	v_and_b32_e32 v32, 7, v8
	v_ffbh_u32_e32 v9, v32
	v_min_u32_e32 v34, 32, v9
	v_subrev_u32_e32 v9, 28, v34
	v_lshlrev_b64 v[8:9], v9, v[8:9]
	v_lshrrev_b32_e32 v33, 3, v1
	v_sub_u32_e32 v9, 29, v34
	v_and_b32_e32 v8, 7, v8
	v_cmp_gt_u32_e64 s[28:29], 8, v1
	v_cndmask_b32_e64 v1, v33, v9, s[28:29]
	v_cndmask_b32_e64 v8, v32, v8, s[28:29]
	v_lshlrev_b32_e32 v9, 8, v11
	v_bfrev_b32_e32 v32, 60
	v_lshlrev_b32_e32 v8, 20, v8
	v_and_b32_e32 v9, 0x80000000, v9
	v_lshl_add_u32 v1, v1, 23, v32
	v_or3_b32 v9, v9, v1, v8
.LBB4_4574:                             ;   in Loop: Header=BB4_4228 Depth=3
	s_or_b64 exec, exec, s[70:71]
.LBB4_4575:                             ;   in Loop: Header=BB4_4228 Depth=3
	s_or_b64 exec, exec, s[68:69]
.LBB4_4576:                             ;   in Loop: Header=BB4_4228 Depth=3
	s_or_b64 exec, exec, s[30:31]
	v_add_f32_e32 v8, v37, v9
	v_and_b32_sdwa v38, v8, s91 dst_sel:DWORD dst_unused:UNUSED_PAD src0_sel:BYTE_3 src1_sel:DWORD
	v_and_b32_e32 v32, 0x7f800000, v8
	v_mov_b32_e32 v33, v59
	v_and_b32_e32 v58, 0x7fffff, v8
	v_or_b32_e32 v37, 0x7e, v38
	v_cmp_ne_u64_e64 s[28:29], s[54:55], v[32:33]
	s_and_saveexec_b64 s[30:31], s[28:29]
	s_xor_b64 s[68:69], exec, s[30:31]
	s_cbranch_execz .LBB4_4586
; %bb.4577:                             ;   in Loop: Header=BB4_4228 Depth=3
	v_and_b32_e32 v32, 0x7fffffff, v8
	v_mov_b32_e32 v33, v59
	v_cmp_gt_u64_e64 s[28:29], s[56:57], v[32:33]
	s_and_saveexec_b64 s[70:71], s[28:29]
	s_cbranch_execz .LBB4_4585
; %bb.4578:                             ;   in Loop: Header=BB4_4228 Depth=3
	v_cmp_ne_u32_e64 s[28:29], 0, v8
	v_mov_b32_e32 v37, 0
	s_and_saveexec_b64 s[72:73], s[28:29]
	s_cbranch_execz .LBB4_4584
; %bb.4579:                             ;   in Loop: Header=BB4_4228 Depth=3
	v_bfe_u32 v1, v8, 23, 8
	v_sub_u32_e32 v9, 0x79, v1
	v_cmp_gt_u32_e64 s[28:29], s93, v1
	v_add_u32_e32 v8, 0xffffff81, v1
	v_cndmask_b32_e64 v9, 0, v9, s[28:29]
	v_cmp_eq_u32_e64 s[28:29], 0, v1
	v_mov_b32_e32 v1, 0xffffff82
	v_cndmask_b32_e64 v1, v8, v1, s[28:29]
	v_mov_b32_e32 v8, 0x78
	v_or_b32_e32 v32, 0x800000, v58
	v_cndmask_b32_e64 v37, v9, v8, s[28:29]
	v_cndmask_b32_e64 v58, v32, v58, s[28:29]
	v_add_u32_e32 v8, 20, v37
	v_lshlrev_b64 v[8:9], v8, -1
	v_lshrrev_b64 v[34:35], v37, v[58:59]
	v_not_b32_e32 v9, v9
	v_not_b32_e32 v8, v8
	v_add_u32_e32 v32, 19, v37
	v_lshrrev_b32_e32 v39, 23, v34
	v_and_b32_e32 v9, 0, v9
	v_and_b32_e32 v8, v58, v8
	v_lshlrev_b64 v[32:33], v32, 1
	v_add3_u32 v52, v37, v1, v39
	v_bfe_u32 v1, v34, 20, 1
	v_add_u32_e32 v1, -1, v1
	v_cmp_eq_u64_e64 s[28:29], v[8:9], v[32:33]
	v_cndmask_b32_e64 v1, 0, v1, s[28:29]
	v_add_u32_e32 v1, v1, v34
	v_and_b32_e32 v1, 0xfffff, v1
	v_add_co_u32_e64 v8, s[28:29], v1, v34
	v_add_u32_e32 v39, 6, v52
	v_addc_co_u32_e64 v9, s[28:29], 0, v35, s[28:29]
	v_cmp_ne_u32_e64 s[28:29], 0, v39
                                        ; implicit-def: $vgpr37
	s_and_saveexec_b64 s[30:31], s[28:29]
	s_xor_b64 s[30:31], exec, s[30:31]
; %bb.4580:                             ;   in Loop: Header=BB4_4228 Depth=3
	v_add_u32_e32 v1, 7, v52
	v_cmp_lt_u64_e64 s[28:29], s[58:59], v[8:9]
	v_cndmask_b32_e64 v37, v39, v1, s[28:29]
	v_cndmask_b32_e64 v1, 0, 1, s[28:29]
	v_lshrrev_b64 v[8:9], v1, v[8:9]
; %bb.4581:                             ;   in Loop: Header=BB4_4228 Depth=3
	s_andn2_saveexec_b64 s[28:29], s[30:31]
; %bb.4582:                             ;   in Loop: Header=BB4_4228 Depth=3
	v_bfe_u32 v37, v8, 23, 1
; %bb.4583:                             ;   in Loop: Header=BB4_4228 Depth=3
	s_or_b64 exec, exec, s[28:29]
	v_lshrrev_b64 v[8:9], 20, v[8:9]
	v_cmp_gt_i32_e64 s[28:29], 16, v37
	v_min_i32_e32 v1, 15, v37
	v_cndmask_b32_e64 v9, 0, v9, s[28:29]
	v_cndmask_b32_e64 v8, 7, v8, s[28:29]
	v_lshlrev_b32_e32 v1, 3, v1
	v_cmp_eq_u32_e64 s[28:29], 0, v37
	v_cmp_eq_u64_e64 s[30:31], 0, v[8:9]
	v_and_b32_e32 v1, 0xf8, v1
	v_and_or_b32 v1, v8, 7, v1
	s_and_b64 s[28:29], s[28:29], s[30:31]
	v_cndmask_b32_e64 v1, v1, 0, s[28:29]
	v_or_b32_e32 v37, v1, v38
.LBB4_4584:                             ;   in Loop: Header=BB4_4228 Depth=3
	s_or_b64 exec, exec, s[72:73]
.LBB4_4585:                             ;   in Loop: Header=BB4_4228 Depth=3
	s_or_b64 exec, exec, s[70:71]
                                        ; implicit-def: $vgpr8
.LBB4_4586:                             ;   in Loop: Header=BB4_4228 Depth=3
	s_andn2_saveexec_b64 s[30:31], s[68:69]
; %bb.4587:                             ;   in Loop: Header=BB4_4228 Depth=3
	v_or_b32_sdwa v1, v8, s92 dst_sel:DWORD dst_unused:UNUSED_PAD src0_sel:BYTE_3 src1_sel:DWORD
	v_cmp_eq_u64_e64 s[28:29], 0, v[58:59]
	v_cndmask_b32_e64 v37, v1, v37, s[28:29]
; %bb.4588:                             ;   in Loop: Header=BB4_4228 Depth=3
	s_or_b64 exec, exec, s[30:31]
	v_cmp_lt_u64_e64 s[28:29], s[44:45], v[14:15]
	v_mov_b32_e32 v9, 0
	v_mov_b32_e32 v14, 0
	s_and_saveexec_b64 s[30:31], s[28:29]
	s_cbranch_execz .LBB4_4594
; %bb.4589:                             ;   in Loop: Header=BB4_4228 Depth=3
	v_lshrrev_b32_e32 v8, 24, v15
	v_cmp_ne_u32_e64 s[28:29], s91, v8
	v_bfrev_b32_e32 v14, 1
	s_and_saveexec_b64 s[68:69], s[28:29]
	s_cbranch_execz .LBB4_4593
; %bb.4590:                             ;   in Loop: Header=BB4_4228 Depth=3
	v_bfe_u32 v1, v15, 24, 7
	v_cmp_ne_u32_e64 s[28:29], s92, v1
	v_mov_b32_e32 v14, 0x7f800001
	s_and_saveexec_b64 s[70:71], s[28:29]
	s_cbranch_execz .LBB4_4592
; %bb.4591:                             ;   in Loop: Header=BB4_4228 Depth=3
	v_and_b32_e32 v32, 7, v8
	v_ffbh_u32_e32 v14, v32
	v_min_u32_e32 v34, 32, v14
	v_subrev_u32_e32 v14, 28, v34
	v_lshlrev_b64 v[14:15], v14, v[8:9]
	v_lshrrev_b32_e32 v33, 3, v1
	v_sub_u32_e32 v15, 29, v34
	v_and_b32_e32 v14, 7, v14
	v_cmp_gt_u32_e64 s[28:29], 8, v1
	v_cndmask_b32_e64 v1, v33, v15, s[28:29]
	v_cndmask_b32_e64 v14, v32, v14, s[28:29]
	v_lshlrev_b32_e32 v8, 24, v8
	v_bfrev_b32_e32 v15, 60
	v_lshlrev_b32_e32 v14, 20, v14
	v_and_b32_e32 v8, 0x80000000, v8
	v_lshl_add_u32 v1, v1, 23, v15
	v_or3_b32 v14, v8, v1, v14
.LBB4_4592:                             ;   in Loop: Header=BB4_4228 Depth=3
	s_or_b64 exec, exec, s[70:71]
.LBB4_4593:                             ;   in Loop: Header=BB4_4228 Depth=3
	s_or_b64 exec, exec, s[68:69]
.LBB4_4594:                             ;   in Loop: Header=BB4_4228 Depth=3
	s_or_b64 exec, exec, s[30:31]
	v_cmp_lt_u64_e64 s[28:29], s[44:45], v[10:11]
	s_and_saveexec_b64 s[30:31], s[28:29]
	s_cbranch_execz .LBB4_4600
; %bb.4595:                             ;   in Loop: Header=BB4_4228 Depth=3
	v_lshrrev_b32_e32 v8, 24, v11
	v_cmp_ne_u32_e64 s[28:29], s91, v8
	v_bfrev_b32_e32 v9, 1
	s_and_saveexec_b64 s[68:69], s[28:29]
	s_cbranch_execz .LBB4_4599
; %bb.4596:                             ;   in Loop: Header=BB4_4228 Depth=3
	v_bfe_u32 v1, v11, 24, 7
	v_cmp_ne_u32_e64 s[28:29], s92, v1
	v_mov_b32_e32 v9, 0x7f800001
	s_and_saveexec_b64 s[70:71], s[28:29]
	s_cbranch_execz .LBB4_4598
; %bb.4597:                             ;   in Loop: Header=BB4_4228 Depth=3
	v_and_b32_e32 v9, 7, v8
	v_ffbh_u32_e32 v10, v9
	v_min_u32_e32 v32, 32, v10
	v_subrev_u32_e32 v10, 28, v32
	v_lshlrev_b64 v[10:11], v10, v[8:9]
	v_lshrrev_b32_e32 v15, 3, v1
	v_sub_u32_e32 v11, 29, v32
	v_and_b32_e32 v10, 7, v10
	v_cmp_gt_u32_e64 s[28:29], 8, v1
	v_cndmask_b32_e64 v1, v15, v11, s[28:29]
	v_cndmask_b32_e64 v9, v9, v10, s[28:29]
	v_lshlrev_b32_e32 v8, 24, v8
	v_bfrev_b32_e32 v10, 60
	v_lshlrev_b32_e32 v9, 20, v9
	v_and_b32_e32 v8, 0x80000000, v8
	v_lshl_add_u32 v1, v1, 23, v10
	v_or3_b32 v9, v8, v1, v9
.LBB4_4598:                             ;   in Loop: Header=BB4_4228 Depth=3
	s_or_b64 exec, exec, s[70:71]
.LBB4_4599:                             ;   in Loop: Header=BB4_4228 Depth=3
	s_or_b64 exec, exec, s[68:69]
.LBB4_4600:                             ;   in Loop: Header=BB4_4228 Depth=3
	s_or_b64 exec, exec, s[30:31]
	v_add_f32_e32 v9, v14, v9
	v_and_b32_sdwa v10, v9, s91 dst_sel:DWORD dst_unused:UNUSED_PAD src0_sel:BYTE_3 src1_sel:DWORD
	v_and_b32_e32 v14, 0x7f800000, v9
	v_mov_b32_e32 v15, v59
	v_and_b32_e32 v58, 0x7fffff, v9
	v_or_b32_e32 v8, 0x7e, v10
	v_cmp_ne_u64_e64 s[28:29], s[54:55], v[14:15]
	s_and_saveexec_b64 s[30:31], s[28:29]
	s_xor_b64 s[68:69], exec, s[30:31]
	s_cbranch_execz .LBB4_4610
; %bb.4601:                             ;   in Loop: Header=BB4_4228 Depth=3
	v_and_b32_e32 v14, 0x7fffffff, v9
	v_mov_b32_e32 v15, v59
	v_cmp_gt_u64_e64 s[28:29], s[56:57], v[14:15]
	s_and_saveexec_b64 s[70:71], s[28:29]
	s_cbranch_execz .LBB4_4609
; %bb.4602:                             ;   in Loop: Header=BB4_4228 Depth=3
	v_cmp_ne_u32_e64 s[28:29], 0, v9
	v_mov_b32_e32 v8, 0
	s_and_saveexec_b64 s[72:73], s[28:29]
	s_cbranch_execz .LBB4_4608
; %bb.4603:                             ;   in Loop: Header=BB4_4228 Depth=3
	v_bfe_u32 v1, v9, 23, 8
	v_sub_u32_e32 v9, 0x79, v1
	v_cmp_gt_u32_e64 s[28:29], s93, v1
	v_add_u32_e32 v8, 0xffffff81, v1
	v_cndmask_b32_e64 v9, 0, v9, s[28:29]
	v_cmp_eq_u32_e64 s[28:29], 0, v1
	v_mov_b32_e32 v1, 0xffffff82
	v_cndmask_b32_e64 v1, v8, v1, s[28:29]
	v_mov_b32_e32 v8, 0x78
	v_or_b32_e32 v11, 0x800000, v58
	v_cndmask_b32_e64 v14, v9, v8, s[28:29]
	v_cndmask_b32_e64 v58, v11, v58, s[28:29]
	v_add_u32_e32 v8, 20, v14
	v_lshlrev_b64 v[8:9], v8, -1
	v_add_u32_e32 v11, 19, v14
	v_lshrrev_b64 v[34:35], v14, v[58:59]
	v_not_b32_e32 v9, v9
	v_not_b32_e32 v8, v8
	v_lshlrev_b64 v[32:33], v11, 1
	v_lshrrev_b32_e32 v11, 23, v34
	v_and_b32_e32 v9, 0, v9
	v_and_b32_e32 v8, v58, v8
	v_add3_u32 v15, v14, v1, v11
	v_bfe_u32 v1, v34, 20, 1
	v_add_u32_e32 v1, -1, v1
	v_cmp_eq_u64_e64 s[28:29], v[8:9], v[32:33]
	v_cndmask_b32_e64 v1, 0, v1, s[28:29]
	v_add_u32_e32 v1, v1, v34
	v_and_b32_e32 v1, 0xfffff, v1
	v_add_co_u32_e64 v8, s[28:29], v1, v34
	v_add_u32_e32 v14, 6, v15
	v_addc_co_u32_e64 v9, s[28:29], 0, v35, s[28:29]
	v_cmp_ne_u32_e64 s[28:29], 0, v14
                                        ; implicit-def: $vgpr11
	s_and_saveexec_b64 s[30:31], s[28:29]
	s_xor_b64 s[30:31], exec, s[30:31]
; %bb.4604:                             ;   in Loop: Header=BB4_4228 Depth=3
	v_add_u32_e32 v1, 7, v15
	v_cmp_lt_u64_e64 s[28:29], s[58:59], v[8:9]
	v_cndmask_b32_e64 v11, v14, v1, s[28:29]
	v_cndmask_b32_e64 v1, 0, 1, s[28:29]
	v_lshrrev_b64 v[8:9], v1, v[8:9]
; %bb.4605:                             ;   in Loop: Header=BB4_4228 Depth=3
	s_andn2_saveexec_b64 s[28:29], s[30:31]
; %bb.4606:                             ;   in Loop: Header=BB4_4228 Depth=3
	v_bfe_u32 v11, v8, 23, 1
; %bb.4607:                             ;   in Loop: Header=BB4_4228 Depth=3
	s_or_b64 exec, exec, s[28:29]
	v_lshrrev_b64 v[8:9], 20, v[8:9]
	v_cmp_gt_i32_e64 s[28:29], 16, v11
	v_min_i32_e32 v1, 15, v11
	v_cndmask_b32_e64 v9, 0, v9, s[28:29]
	v_cndmask_b32_e64 v8, 7, v8, s[28:29]
	v_lshlrev_b32_e32 v1, 3, v1
	v_cmp_eq_u32_e64 s[28:29], 0, v11
	v_cmp_eq_u64_e64 s[30:31], 0, v[8:9]
	v_and_b32_e32 v1, 0xf8, v1
	v_and_or_b32 v1, v8, 7, v1
	s_and_b64 s[28:29], s[28:29], s[30:31]
	v_cndmask_b32_e64 v1, v1, 0, s[28:29]
	v_or_b32_e32 v8, v1, v10
.LBB4_4608:                             ;   in Loop: Header=BB4_4228 Depth=3
	s_or_b64 exec, exec, s[72:73]
.LBB4_4609:                             ;   in Loop: Header=BB4_4228 Depth=3
	s_or_b64 exec, exec, s[70:71]
                                        ; implicit-def: $vgpr9
.LBB4_4610:                             ;   in Loop: Header=BB4_4228 Depth=3
	s_andn2_saveexec_b64 s[30:31], s[68:69]
	s_cbranch_execz .LBB4_4227
; %bb.4611:                             ;   in Loop: Header=BB4_4228 Depth=3
	v_or_b32_sdwa v1, v9, s92 dst_sel:DWORD dst_unused:UNUSED_PAD src0_sel:BYTE_3 src1_sel:DWORD
	v_cmp_eq_u64_e64 s[28:29], 0, v[58:59]
	v_cndmask_b32_e64 v8, v1, v8, s[28:29]
	s_branch .LBB4_4227
.LBB4_4612:                             ;   in Loop: Header=BB4_1895 Depth=2
	s_or_b64 exec, exec, s[66:67]
.LBB4_4613:                             ;   in Loop: Header=BB4_1895 Depth=2
	s_or_b64 exec, exec, s[36:37]
	buffer_load_dword v0, off, s[0:3], s33 offset:168 ; 4-byte Folded Reload
	v_accvgpr_read_b32 v24, a22
	s_mov_b64 s[30:31], 0
                                        ; implicit-def: $vgpr15
                                        ; implicit-def: $vgpr4
	s_waitcnt vmcnt(0)
	v_and_b32_e32 v1, 15, v0
	v_cndmask_b32_e32 v14, v23, v1, vcc
	v_cmp_ne_u32_e64 s[28:29], 0, v14
	v_mov_b32_e32 v0, 0
	s_and_saveexec_b64 s[36:37], s[28:29]
	s_cbranch_execz .LBB4_4615
; %bb.4614:                             ;   in Loop: Header=BB4_1895 Depth=2
	v_sub_u32_e32 v0, v23, v1
	v_cndmask_b32_e32 v0, 0, v0, vcc
	v_cmp_lt_i32_e32 vcc, 0, v7
	v_cndmask_b32_e32 v1, 0, v24, vcc
	v_sub_u32_e32 v1, v1, v7
	v_lshl_add_u32 v15, v1, 6, v3
	v_ashrrev_i32_e32 v1, 31, v15
	v_lshrrev_b32_e32 v1, 26, v1
	v_add_u32_e32 v1, v15, v1
	s_mov_b64 s[30:31], exec
	v_add3_u32 v0, v6, v2, v0
	v_ashrrev_i32_e32 v4, 6, v1
.LBB4_4615:                             ;   in Loop: Header=BB4_1895 Depth=2
	s_or_b64 exec, exec, s[36:37]
	s_and_b64 s[28:29], s[30:31], exec
.LBB4_4616:                             ;   in Loop: Header=BB4_1895 Depth=2
	s_or_b64 exec, exec, s[34:35]
	s_and_saveexec_b64 s[30:31], s[28:29]
	s_cbranch_execz .LBB4_3451
.LBB4_4617:                             ;   in Loop: Header=BB4_1895 Depth=2
	s_waitcnt vmcnt(0)
	v_ashrrev_i32_e32 v1, 31, v14
	v_lshrrev_b32_e32 v1, 23, v1
	v_add_u32_e32 v1, v14, v1
	v_ashrrev_i32_e32 v3, 9, v1
	v_sub_u32_e32 v2, v3, v4
	v_cmp_lt_i32_e32 vcc, 0, v2
	s_and_saveexec_b64 s[34:35], vcc
	s_cbranch_execz .LBB4_4845
; %bb.4618:                             ;   in Loop: Header=BB4_1895 Depth=2
	v_ashrrev_i32_e32 v1, 31, v15
	s_trap 2
	v_lshrrev_b32_e32 v1, 26, v1
	v_lshlrev_b32_e32 v8, 9, v4
	ds_read_b128 v[4:7], v0
	ds_read_b64 v[10:11], v0
	v_add_u32_e32 v1, v15, v1
	v_and_b32_e32 v1, 0xffffffc0, v1
	v_sub_u32_e32 v1, v15, v1
	v_add3_u32 v1, v0, v1, v8
	v_ashrrev_i32_e32 v12, 31, v1
	s_waitcnt lgkmcnt(0)
	v_add_co_u32_e32 v4, vcc, v4, v1
	v_addc_co_u32_e32 v5, vcc, v5, v12, vcc
	v_add_co_u32_e32 v8, vcc, v6, v1
	v_addc_co_u32_e32 v9, vcc, v7, v12, vcc
	;; [unrolled: 2-line block ×4, first 2 shown]
	s_mov_b64 s[36:37], 0
	s_branch .LBB4_4620
.LBB4_4619:                             ;   in Loop: Header=BB4_4620 Depth=3
	s_or_b64 exec, exec, s[28:29]
	v_add_co_u32_e32 v12, vcc, 0xfffffe40, v10
	v_addc_co_u32_e32 v13, vcc, -1, v11, vcc
	flat_store_byte v[12:13], v6 glc slc
	v_add_co_u32_e32 v12, vcc, 0xfffffe80, v10
	v_addc_co_u32_e32 v13, vcc, -1, v11, vcc
	flat_store_byte v[12:13], v17 glc slc
	;; [unrolled: 3-line block ×6, first 2 shown]
	v_add_co_u32_e32 v12, vcc, s78, v10
	v_addc_co_u32_e32 v13, vcc, -1, v11, vcc
	v_accvgpr_read_b32 v1, a36
	v_add_co_u32_e32 v4, vcc, v4, v1
	v_accvgpr_read_b32 v6, a37
	v_addc_co_u32_e32 v5, vcc, v5, v6, vcc
	v_add_co_u32_e32 v8, vcc, v8, v1
	v_accvgpr_read_b32 v24, a22
	v_addc_co_u32_e32 v9, vcc, v9, v6, vcc
	v_sub_u32_e32 v2, v2, v24
	v_cmp_gt_i32_e32 vcc, 1, v2
	flat_store_byte v[12:13], v18 glc slc
	flat_store_byte v[10:11], v7 glc slc
	s_or_b64 s[36:37], vcc, s[36:37]
	v_add_co_u32_e32 v10, vcc, v10, v1
	v_addc_co_u32_e32 v11, vcc, v11, v6, vcc
	s_andn2_b64 exec, exec, s[36:37]
	s_cbranch_execz .LBB4_4844
.LBB4_4620:                             ;   Parent Loop BB4_47 Depth=1
                                        ;     Parent Loop BB4_1895 Depth=2
                                        ; =>    This Inner Loop Header: Depth=3
	flat_load_ubyte v30, v[4:5] glc slc
	flat_load_ubyte v28, v[4:5] offset:64 glc slc
	flat_load_ubyte v27, v[4:5] offset:128 glc slc
	;; [unrolled: 1-line block ×7, first 2 shown]
	flat_load_ubyte v6, v[8:9] glc slc
	flat_load_ubyte v17, v[8:9] offset:64 glc slc
	flat_load_ubyte v20, v[8:9] offset:128 glc slc
	;; [unrolled: 1-line block ×7, first 2 shown]
	v_mov_b32_e32 v13, 0
	v_mov_b32_e32 v29, 0
	s_waitcnt vmcnt(0) lgkmcnt(0)
	v_cmp_ne_u16_e32 vcc, 0, v30
	s_and_saveexec_b64 s[28:29], vcc
	s_cbranch_execz .LBB4_4626
; %bb.4621:                             ;   in Loop: Header=BB4_4620 Depth=3
	v_cmp_ne_u16_e32 vcc, s91, v30
	v_bfrev_b32_e32 v29, 1
	s_and_saveexec_b64 s[66:67], vcc
	s_cbranch_execz .LBB4_4625
; %bb.4622:                             ;   in Loop: Header=BB4_4620 Depth=3
	v_and_b32_e32 v12, 0xffff, v30
	v_and_b32_e32 v1, 0x7f, v12
	v_cmp_ne_u32_e32 vcc, s92, v1
	v_mov_b32_e32 v29, 0x7f800001
	s_and_saveexec_b64 s[68:69], vcc
	s_cbranch_execz .LBB4_4624
; %bb.4623:                             ;   in Loop: Header=BB4_4620 Depth=3
	v_and_b32_e32 v29, 7, v12
	v_ffbh_u32_e32 v32, v29
	v_min_u32_e32 v34, 32, v32
	v_subrev_u32_e32 v32, 28, v34
	v_lshlrev_b64 v[32:33], v32, v[12:13]
	v_lshrrev_b32_e32 v31, 3, v1
	v_sub_u32_e32 v12, 29, v34
	v_and_b32_e32 v32, 7, v32
	v_cmp_gt_u32_e32 vcc, 8, v1
	v_cndmask_b32_e32 v1, v31, v12, vcc
	v_cndmask_b32_e32 v12, v29, v32, vcc
	v_lshlrev_b32_e32 v29, 24, v30
	v_bfrev_b32_e32 v30, 60
	v_lshlrev_b32_e32 v12, 20, v12
	v_and_b32_e32 v29, 0x80000000, v29
	v_lshl_add_u32 v1, v1, 23, v30
	v_or3_b32 v29, v29, v1, v12
.LBB4_4624:                             ;   in Loop: Header=BB4_4620 Depth=3
	s_or_b64 exec, exec, s[68:69]
.LBB4_4625:                             ;   in Loop: Header=BB4_4620 Depth=3
	s_or_b64 exec, exec, s[66:67]
.LBB4_4626:                             ;   in Loop: Header=BB4_4620 Depth=3
	s_or_b64 exec, exec, s[28:29]
	v_and_b32_e32 v12, 0xff, v6
	v_cmp_ne_u16_e32 vcc, 0, v12
	s_and_saveexec_b64 s[28:29], vcc
	s_cbranch_execz .LBB4_4632
; %bb.4627:                             ;   in Loop: Header=BB4_4620 Depth=3
	v_cmp_ne_u16_e32 vcc, s91, v12
	v_bfrev_b32_e32 v13, 1
	s_and_saveexec_b64 s[66:67], vcc
	s_cbranch_execz .LBB4_4631
; %bb.4628:                             ;   in Loop: Header=BB4_4620 Depth=3
	v_and_b32_e32 v1, 0x7f, v6
	v_cmp_ne_u32_e32 vcc, s92, v1
	v_mov_b32_e32 v13, 0x7f800001
	s_and_saveexec_b64 s[68:69], vcc
	s_cbranch_execz .LBB4_4630
; %bb.4629:                             ;   in Loop: Header=BB4_4620 Depth=3
	v_and_b32_e32 v30, 7, v12
	v_ffbh_u32_e32 v13, v30
	v_min_u32_e32 v32, 32, v13
	v_subrev_u32_e32 v13, 28, v32
	v_lshlrev_b64 v[12:13], v13, v[12:13]
	v_lshrrev_b32_e32 v31, 3, v1
	v_sub_u32_e32 v13, 29, v32
	v_and_b32_e32 v12, 7, v12
	v_cmp_gt_u32_e32 vcc, 8, v1
	v_cndmask_b32_e32 v1, v31, v13, vcc
	v_cndmask_b32_e32 v12, v30, v12, vcc
	v_lshlrev_b32_e32 v6, 24, v6
	v_bfrev_b32_e32 v13, 60
	v_lshlrev_b32_e32 v12, 20, v12
	v_and_b32_e32 v6, 0x80000000, v6
	v_lshl_add_u32 v1, v1, 23, v13
	v_or3_b32 v13, v6, v1, v12
.LBB4_4630:                             ;   in Loop: Header=BB4_4620 Depth=3
	s_or_b64 exec, exec, s[68:69]
.LBB4_4631:                             ;   in Loop: Header=BB4_4620 Depth=3
	s_or_b64 exec, exec, s[66:67]
.LBB4_4632:                             ;   in Loop: Header=BB4_4620 Depth=3
	s_or_b64 exec, exec, s[28:29]
	v_add_f32_e32 v12, v29, v13
	v_and_b32_sdwa v29, v12, s91 dst_sel:DWORD dst_unused:UNUSED_PAD src0_sel:BYTE_3 src1_sel:DWORD
	v_and_b32_e32 v30, 0x7f800000, v12
	v_mov_b32_e32 v31, v59
	v_and_b32_e32 v58, 0x7fffff, v12
	v_or_b32_e32 v6, 0x7e, v29
	v_cmp_ne_u64_e32 vcc, s[54:55], v[30:31]
	s_and_saveexec_b64 s[28:29], vcc
	s_xor_b64 s[66:67], exec, s[28:29]
	s_cbranch_execz .LBB4_4646
; %bb.4633:                             ;   in Loop: Header=BB4_4620 Depth=3
	v_and_b32_e32 v30, 0x7fffffff, v12
	v_mov_b32_e32 v31, v59
	v_cmp_gt_u64_e32 vcc, s[56:57], v[30:31]
	s_and_saveexec_b64 s[28:29], vcc
	s_xor_b64 s[68:69], exec, s[28:29]
	s_cbranch_execz .LBB4_4645
; %bb.4634:                             ;   in Loop: Header=BB4_4620 Depth=3
	v_cmp_ne_u32_e32 vcc, 0, v12
	v_mov_b32_e32 v6, 0
	s_and_saveexec_b64 s[70:71], vcc
	s_cbranch_execz .LBB4_4644
; %bb.4635:                             ;   in Loop: Header=BB4_4620 Depth=3
	v_bfe_u32 v1, v12, 23, 8
	v_sub_u32_e32 v12, 0x79, v1
	v_cmp_gt_u32_e32 vcc, s93, v1
	v_add_u32_e32 v6, 0xffffff81, v1
	v_cndmask_b32_e32 v12, 0, v12, vcc
	v_cmp_eq_u32_e32 vcc, 0, v1
	v_mov_b32_e32 v1, 0xffffff82
	v_cndmask_b32_e32 v1, v6, v1, vcc
	v_mov_b32_e32 v6, 0x78
	v_or_b32_e32 v13, 0x800000, v58
	v_cndmask_b32_e32 v6, v12, v6, vcc
	v_cndmask_b32_e32 v58, v13, v58, vcc
	v_add_u32_e32 v12, 20, v6
	v_lshlrev_b64 v[12:13], v12, -1
	v_add_u32_e32 v30, 19, v6
	v_lshrrev_b64 v[34:35], v6, v[58:59]
	v_not_b32_e32 v13, v13
	v_not_b32_e32 v12, v12
	v_lshlrev_b64 v[32:33], v30, 1
	v_lshrrev_b32_e32 v30, 23, v34
	v_and_b32_e32 v13, 0, v13
	v_and_b32_e32 v12, v58, v12
	v_add3_u32 v31, v6, v1, v30
	v_bfe_u32 v1, v34, 20, 1
	v_add_u32_e32 v1, -1, v1
	v_cmp_eq_u64_e32 vcc, v[12:13], v[32:33]
	v_cndmask_b32_e32 v1, 0, v1, vcc
	v_add_u32_e32 v1, v1, v34
	v_and_b32_e32 v1, 0xfffff, v1
	v_add_co_u32_e32 v12, vcc, v1, v34
	v_add_u32_e32 v6, 6, v31
	v_addc_co_u32_e32 v13, vcc, 0, v35, vcc
	v_cmp_ne_u32_e32 vcc, 0, v6
                                        ; implicit-def: $vgpr30
	s_and_saveexec_b64 s[28:29], vcc
	s_xor_b64 s[28:29], exec, s[28:29]
; %bb.4636:                             ;   in Loop: Header=BB4_4620 Depth=3
	v_add_u32_e32 v1, 7, v31
	v_cmp_lt_u64_e32 vcc, s[58:59], v[12:13]
	v_cndmask_b32_e32 v30, v6, v1, vcc
	v_cndmask_b32_e64 v1, 0, 1, vcc
	v_lshrrev_b64 v[12:13], v1, v[12:13]
; %bb.4637:                             ;   in Loop: Header=BB4_4620 Depth=3
	s_andn2_saveexec_b64 s[28:29], s[28:29]
; %bb.4638:                             ;   in Loop: Header=BB4_4620 Depth=3
	v_bfe_u32 v30, v12, 23, 1
; %bb.4639:                             ;   in Loop: Header=BB4_4620 Depth=3
	s_or_b64 exec, exec, s[28:29]
	v_lshrrev_b64 v[12:13], 20, v[12:13]
	v_cmp_gt_i32_e32 vcc, 16, v30
	v_cndmask_b32_e32 v13, 0, v13, vcc
	v_cndmask_b32_e32 v12, 7, v12, vcc
	v_cmp_ne_u32_e32 vcc, 0, v30
	v_cmp_ne_u64_e64 s[28:29], 0, v[12:13]
	s_or_b64 s[28:29], vcc, s[28:29]
                                        ; implicit-def: $vgpr6
	s_and_saveexec_b64 vcc, s[28:29]
	s_xor_b64 s[28:29], exec, vcc
; %bb.4640:                             ;   in Loop: Header=BB4_4620 Depth=3
	v_min_i32_e32 v1, 15, v30
	v_lshl_or_b32 v1, v1, 3, v29
	v_and_or_b32 v6, v12, 7, v1
                                        ; implicit-def: $vgpr29
; %bb.4641:                             ;   in Loop: Header=BB4_4620 Depth=3
	s_andn2_saveexec_b64 s[28:29], s[28:29]
; %bb.4642:                             ;   in Loop: Header=BB4_4620 Depth=3
	v_mov_b32_e32 v6, v29
; %bb.4643:                             ;   in Loop: Header=BB4_4620 Depth=3
	s_or_b64 exec, exec, s[28:29]
.LBB4_4644:                             ;   in Loop: Header=BB4_4620 Depth=3
	s_or_b64 exec, exec, s[70:71]
.LBB4_4645:                             ;   in Loop: Header=BB4_4620 Depth=3
	s_andn2_saveexec_b64 s[28:29], s[68:69]
	s_or_b64 exec, exec, s[28:29]
                                        ; implicit-def: $vgpr12
.LBB4_4646:                             ;   in Loop: Header=BB4_4620 Depth=3
	s_andn2_saveexec_b64 s[28:29], s[66:67]
; %bb.4647:                             ;   in Loop: Header=BB4_4620 Depth=3
	v_or_b32_sdwa v1, v12, s92 dst_sel:DWORD dst_unused:UNUSED_PAD src0_sel:BYTE_3 src1_sel:DWORD
	v_cmp_eq_u64_e32 vcc, 0, v[58:59]
	v_cndmask_b32_e32 v6, v1, v6, vcc
; %bb.4648:                             ;   in Loop: Header=BB4_4620 Depth=3
	s_or_b64 exec, exec, s[28:29]
	v_and_b32_e32 v12, 0xff, v28
	v_cmp_ne_u16_e32 vcc, 0, v12
	v_mov_b32_e32 v13, 0
	v_mov_b32_e32 v29, 0
	s_and_saveexec_b64 s[28:29], vcc
	s_cbranch_execz .LBB4_4654
; %bb.4649:                             ;   in Loop: Header=BB4_4620 Depth=3
	v_cmp_ne_u16_e32 vcc, s91, v12
	v_bfrev_b32_e32 v29, 1
	s_and_saveexec_b64 s[66:67], vcc
	s_cbranch_execz .LBB4_4653
; %bb.4650:                             ;   in Loop: Header=BB4_4620 Depth=3
	v_and_b32_e32 v1, 0x7f, v28
	v_cmp_ne_u32_e32 vcc, s92, v1
	v_mov_b32_e32 v29, 0x7f800001
	s_and_saveexec_b64 s[68:69], vcc
	s_cbranch_execz .LBB4_4652
; %bb.4651:                             ;   in Loop: Header=BB4_4620 Depth=3
	v_and_b32_e32 v29, 7, v12
	v_ffbh_u32_e32 v30, v29
	v_min_u32_e32 v33, 32, v30
	v_subrev_u32_e32 v30, 28, v33
	v_lshlrev_b64 v[30:31], v30, v[12:13]
	v_lshrrev_b32_e32 v32, 3, v1
	v_sub_u32_e32 v12, 29, v33
	v_and_b32_e32 v30, 7, v30
	v_cmp_gt_u32_e32 vcc, 8, v1
	v_cndmask_b32_e32 v1, v32, v12, vcc
	v_cndmask_b32_e32 v12, v29, v30, vcc
	v_lshlrev_b32_e32 v28, 24, v28
	v_bfrev_b32_e32 v29, 60
	v_lshlrev_b32_e32 v12, 20, v12
	v_and_b32_e32 v28, 0x80000000, v28
	v_lshl_add_u32 v1, v1, 23, v29
	v_or3_b32 v29, v28, v1, v12
.LBB4_4652:                             ;   in Loop: Header=BB4_4620 Depth=3
	s_or_b64 exec, exec, s[68:69]
.LBB4_4653:                             ;   in Loop: Header=BB4_4620 Depth=3
	s_or_b64 exec, exec, s[66:67]
.LBB4_4654:                             ;   in Loop: Header=BB4_4620 Depth=3
	s_or_b64 exec, exec, s[28:29]
	v_and_b32_e32 v12, 0xff, v17
	v_cmp_ne_u16_e32 vcc, 0, v12
	s_and_saveexec_b64 s[28:29], vcc
	s_cbranch_execz .LBB4_4660
; %bb.4655:                             ;   in Loop: Header=BB4_4620 Depth=3
	v_cmp_ne_u16_e32 vcc, s91, v12
	v_bfrev_b32_e32 v13, 1
	s_and_saveexec_b64 s[66:67], vcc
	s_cbranch_execz .LBB4_4659
; %bb.4656:                             ;   in Loop: Header=BB4_4620 Depth=3
	v_and_b32_e32 v1, 0x7f, v17
	v_cmp_ne_u32_e32 vcc, s92, v1
	v_mov_b32_e32 v13, 0x7f800001
	s_and_saveexec_b64 s[68:69], vcc
	s_cbranch_execz .LBB4_4658
; %bb.4657:                             ;   in Loop: Header=BB4_4620 Depth=3
	v_and_b32_e32 v28, 7, v12
	v_ffbh_u32_e32 v13, v28
	v_min_u32_e32 v31, 32, v13
	v_subrev_u32_e32 v13, 28, v31
	v_lshlrev_b64 v[12:13], v13, v[12:13]
	v_lshrrev_b32_e32 v30, 3, v1
	v_sub_u32_e32 v13, 29, v31
	v_and_b32_e32 v12, 7, v12
	v_cmp_gt_u32_e32 vcc, 8, v1
	v_cndmask_b32_e32 v1, v30, v13, vcc
	v_cndmask_b32_e32 v12, v28, v12, vcc
	v_lshlrev_b32_e32 v13, 24, v17
	v_bfrev_b32_e32 v17, 60
	v_lshlrev_b32_e32 v12, 20, v12
	v_and_b32_e32 v13, 0x80000000, v13
	v_lshl_add_u32 v1, v1, 23, v17
	v_or3_b32 v13, v13, v1, v12
.LBB4_4658:                             ;   in Loop: Header=BB4_4620 Depth=3
	s_or_b64 exec, exec, s[68:69]
.LBB4_4659:                             ;   in Loop: Header=BB4_4620 Depth=3
	s_or_b64 exec, exec, s[66:67]
.LBB4_4660:                             ;   in Loop: Header=BB4_4620 Depth=3
	s_or_b64 exec, exec, s[28:29]
	v_add_f32_e32 v12, v29, v13
	v_and_b32_sdwa v28, v12, s91 dst_sel:DWORD dst_unused:UNUSED_PAD src0_sel:BYTE_3 src1_sel:DWORD
	v_and_b32_e32 v30, 0x7f800000, v12
	v_mov_b32_e32 v31, v59
	v_and_b32_e32 v58, 0x7fffff, v12
	v_or_b32_e32 v17, 0x7e, v28
	v_cmp_ne_u64_e32 vcc, s[54:55], v[30:31]
	s_and_saveexec_b64 s[28:29], vcc
	s_xor_b64 s[66:67], exec, s[28:29]
	s_cbranch_execz .LBB4_4674
; %bb.4661:                             ;   in Loop: Header=BB4_4620 Depth=3
	v_and_b32_e32 v30, 0x7fffffff, v12
	v_mov_b32_e32 v31, v59
	v_cmp_gt_u64_e32 vcc, s[56:57], v[30:31]
	s_and_saveexec_b64 s[28:29], vcc
	s_xor_b64 s[68:69], exec, s[28:29]
	s_cbranch_execz .LBB4_4673
; %bb.4662:                             ;   in Loop: Header=BB4_4620 Depth=3
	v_cmp_ne_u32_e32 vcc, 0, v12
	v_mov_b32_e32 v17, 0
	s_and_saveexec_b64 s[70:71], vcc
	s_cbranch_execz .LBB4_4672
; %bb.4663:                             ;   in Loop: Header=BB4_4620 Depth=3
	v_bfe_u32 v1, v12, 23, 8
	v_sub_u32_e32 v13, 0x79, v1
	v_cmp_gt_u32_e32 vcc, s93, v1
	v_add_u32_e32 v12, 0xffffff81, v1
	v_cndmask_b32_e32 v13, 0, v13, vcc
	v_cmp_eq_u32_e32 vcc, 0, v1
	v_mov_b32_e32 v1, 0xffffff82
	v_cndmask_b32_e32 v1, v12, v1, vcc
	v_mov_b32_e32 v12, 0x78
	v_or_b32_e32 v17, 0x800000, v58
	v_cndmask_b32_e32 v29, v13, v12, vcc
	v_cndmask_b32_e32 v58, v17, v58, vcc
	v_add_u32_e32 v12, 20, v29
	v_lshlrev_b64 v[12:13], v12, -1
	v_add_u32_e32 v17, 19, v29
	v_lshrrev_b64 v[34:35], v29, v[58:59]
	v_not_b32_e32 v13, v13
	v_not_b32_e32 v12, v12
	v_lshlrev_b64 v[32:33], v17, 1
	v_lshrrev_b32_e32 v17, 23, v34
	v_and_b32_e32 v13, 0, v13
	v_and_b32_e32 v12, v58, v12
	v_add3_u32 v30, v29, v1, v17
	v_bfe_u32 v1, v34, 20, 1
	v_add_u32_e32 v1, -1, v1
	v_cmp_eq_u64_e32 vcc, v[12:13], v[32:33]
	v_cndmask_b32_e32 v1, 0, v1, vcc
	v_add_u32_e32 v1, v1, v34
	v_and_b32_e32 v1, 0xfffff, v1
	v_add_co_u32_e32 v12, vcc, v1, v34
	v_add_u32_e32 v17, 6, v30
	v_addc_co_u32_e32 v13, vcc, 0, v35, vcc
	v_cmp_ne_u32_e32 vcc, 0, v17
                                        ; implicit-def: $vgpr29
	s_and_saveexec_b64 s[28:29], vcc
	s_xor_b64 s[28:29], exec, s[28:29]
; %bb.4664:                             ;   in Loop: Header=BB4_4620 Depth=3
	v_add_u32_e32 v1, 7, v30
	v_cmp_lt_u64_e32 vcc, s[58:59], v[12:13]
	v_cndmask_b32_e32 v29, v17, v1, vcc
	v_cndmask_b32_e64 v1, 0, 1, vcc
	v_lshrrev_b64 v[12:13], v1, v[12:13]
; %bb.4665:                             ;   in Loop: Header=BB4_4620 Depth=3
	s_andn2_saveexec_b64 s[28:29], s[28:29]
; %bb.4666:                             ;   in Loop: Header=BB4_4620 Depth=3
	v_bfe_u32 v29, v12, 23, 1
; %bb.4667:                             ;   in Loop: Header=BB4_4620 Depth=3
	s_or_b64 exec, exec, s[28:29]
	v_lshrrev_b64 v[12:13], 20, v[12:13]
	v_cmp_gt_i32_e32 vcc, 16, v29
	v_cndmask_b32_e32 v13, 0, v13, vcc
	v_cndmask_b32_e32 v12, 7, v12, vcc
	v_cmp_ne_u32_e32 vcc, 0, v29
	v_cmp_ne_u64_e64 s[28:29], 0, v[12:13]
	s_or_b64 s[28:29], vcc, s[28:29]
                                        ; implicit-def: $vgpr17
	s_and_saveexec_b64 vcc, s[28:29]
	s_xor_b64 s[28:29], exec, vcc
; %bb.4668:                             ;   in Loop: Header=BB4_4620 Depth=3
	v_min_i32_e32 v1, 15, v29
	v_lshl_or_b32 v1, v1, 3, v28
	v_and_or_b32 v17, v12, 7, v1
                                        ; implicit-def: $vgpr28
; %bb.4669:                             ;   in Loop: Header=BB4_4620 Depth=3
	s_andn2_saveexec_b64 s[28:29], s[28:29]
; %bb.4670:                             ;   in Loop: Header=BB4_4620 Depth=3
	v_mov_b32_e32 v17, v28
; %bb.4671:                             ;   in Loop: Header=BB4_4620 Depth=3
	s_or_b64 exec, exec, s[28:29]
.LBB4_4672:                             ;   in Loop: Header=BB4_4620 Depth=3
	s_or_b64 exec, exec, s[70:71]
.LBB4_4673:                             ;   in Loop: Header=BB4_4620 Depth=3
	s_andn2_saveexec_b64 s[28:29], s[68:69]
	s_or_b64 exec, exec, s[28:29]
                                        ; implicit-def: $vgpr12
.LBB4_4674:                             ;   in Loop: Header=BB4_4620 Depth=3
	s_andn2_saveexec_b64 s[28:29], s[66:67]
; %bb.4675:                             ;   in Loop: Header=BB4_4620 Depth=3
	v_or_b32_sdwa v1, v12, s92 dst_sel:DWORD dst_unused:UNUSED_PAD src0_sel:BYTE_3 src1_sel:DWORD
	v_cmp_eq_u64_e32 vcc, 0, v[58:59]
	v_cndmask_b32_e32 v17, v1, v17, vcc
; %bb.4676:                             ;   in Loop: Header=BB4_4620 Depth=3
	s_or_b64 exec, exec, s[28:29]
	v_and_b32_e32 v12, 0xff, v27
	v_cmp_ne_u16_e32 vcc, 0, v12
	v_mov_b32_e32 v13, 0
	v_mov_b32_e32 v28, 0
	s_and_saveexec_b64 s[28:29], vcc
	s_cbranch_execz .LBB4_4682
; %bb.4677:                             ;   in Loop: Header=BB4_4620 Depth=3
	v_cmp_ne_u16_e32 vcc, s91, v12
	v_bfrev_b32_e32 v28, 1
	s_and_saveexec_b64 s[66:67], vcc
	s_cbranch_execz .LBB4_4681
; %bb.4678:                             ;   in Loop: Header=BB4_4620 Depth=3
	v_and_b32_e32 v1, 0x7f, v27
	v_cmp_ne_u32_e32 vcc, s92, v1
	v_mov_b32_e32 v28, 0x7f800001
	s_and_saveexec_b64 s[68:69], vcc
	s_cbranch_execz .LBB4_4680
; %bb.4679:                             ;   in Loop: Header=BB4_4620 Depth=3
	v_and_b32_e32 v30, 7, v12
	v_ffbh_u32_e32 v28, v30
	v_min_u32_e32 v32, 32, v28
	v_subrev_u32_e32 v28, 28, v32
	v_lshlrev_b64 v[28:29], v28, v[12:13]
	v_lshrrev_b32_e32 v31, 3, v1
	v_sub_u32_e32 v12, 29, v32
	v_and_b32_e32 v28, 7, v28
	v_cmp_gt_u32_e32 vcc, 8, v1
	v_cndmask_b32_e32 v1, v31, v12, vcc
	v_cndmask_b32_e32 v12, v30, v28, vcc
	v_lshlrev_b32_e32 v27, 24, v27
	v_bfrev_b32_e32 v28, 60
	v_lshlrev_b32_e32 v12, 20, v12
	v_and_b32_e32 v27, 0x80000000, v27
	v_lshl_add_u32 v1, v1, 23, v28
	v_or3_b32 v28, v27, v1, v12
.LBB4_4680:                             ;   in Loop: Header=BB4_4620 Depth=3
	s_or_b64 exec, exec, s[68:69]
.LBB4_4681:                             ;   in Loop: Header=BB4_4620 Depth=3
	s_or_b64 exec, exec, s[66:67]
.LBB4_4682:                             ;   in Loop: Header=BB4_4620 Depth=3
	s_or_b64 exec, exec, s[28:29]
	v_and_b32_e32 v12, 0xff, v20
	v_cmp_ne_u16_e32 vcc, 0, v12
	s_and_saveexec_b64 s[28:29], vcc
	s_cbranch_execz .LBB4_4688
; %bb.4683:                             ;   in Loop: Header=BB4_4620 Depth=3
	v_cmp_ne_u16_e32 vcc, s91, v12
	v_bfrev_b32_e32 v13, 1
	s_and_saveexec_b64 s[66:67], vcc
	s_cbranch_execz .LBB4_4687
; %bb.4684:                             ;   in Loop: Header=BB4_4620 Depth=3
	v_and_b32_e32 v1, 0x7f, v20
	v_cmp_ne_u32_e32 vcc, s92, v1
	v_mov_b32_e32 v13, 0x7f800001
	s_and_saveexec_b64 s[68:69], vcc
	s_cbranch_execz .LBB4_4686
; %bb.4685:                             ;   in Loop: Header=BB4_4620 Depth=3
	v_and_b32_e32 v27, 7, v12
	v_ffbh_u32_e32 v13, v27
	v_min_u32_e32 v30, 32, v13
	v_subrev_u32_e32 v13, 28, v30
	v_lshlrev_b64 v[12:13], v13, v[12:13]
	v_lshrrev_b32_e32 v29, 3, v1
	v_sub_u32_e32 v13, 29, v30
	v_and_b32_e32 v12, 7, v12
	v_cmp_gt_u32_e32 vcc, 8, v1
	v_cndmask_b32_e32 v1, v29, v13, vcc
	v_cndmask_b32_e32 v12, v27, v12, vcc
	v_lshlrev_b32_e32 v13, 24, v20
	v_bfrev_b32_e32 v20, 60
	v_lshlrev_b32_e32 v12, 20, v12
	v_and_b32_e32 v13, 0x80000000, v13
	v_lshl_add_u32 v1, v1, 23, v20
	v_or3_b32 v13, v13, v1, v12
.LBB4_4686:                             ;   in Loop: Header=BB4_4620 Depth=3
	s_or_b64 exec, exec, s[68:69]
.LBB4_4687:                             ;   in Loop: Header=BB4_4620 Depth=3
	s_or_b64 exec, exec, s[66:67]
.LBB4_4688:                             ;   in Loop: Header=BB4_4620 Depth=3
	s_or_b64 exec, exec, s[28:29]
	v_add_f32_e32 v12, v28, v13
	v_and_b32_sdwa v27, v12, s91 dst_sel:DWORD dst_unused:UNUSED_PAD src0_sel:BYTE_3 src1_sel:DWORD
	v_and_b32_e32 v28, 0x7f800000, v12
	v_mov_b32_e32 v29, v59
	v_and_b32_e32 v58, 0x7fffff, v12
	v_or_b32_e32 v20, 0x7e, v27
	v_cmp_ne_u64_e32 vcc, s[54:55], v[28:29]
	s_and_saveexec_b64 s[28:29], vcc
	s_xor_b64 s[66:67], exec, s[28:29]
	s_cbranch_execz .LBB4_4702
; %bb.4689:                             ;   in Loop: Header=BB4_4620 Depth=3
	v_and_b32_e32 v28, 0x7fffffff, v12
	v_mov_b32_e32 v29, v59
	v_cmp_gt_u64_e32 vcc, s[56:57], v[28:29]
	s_and_saveexec_b64 s[28:29], vcc
	s_xor_b64 s[68:69], exec, s[28:29]
	s_cbranch_execz .LBB4_4701
; %bb.4690:                             ;   in Loop: Header=BB4_4620 Depth=3
	v_cmp_ne_u32_e32 vcc, 0, v12
	v_mov_b32_e32 v20, 0
	s_and_saveexec_b64 s[70:71], vcc
	s_cbranch_execz .LBB4_4700
; %bb.4691:                             ;   in Loop: Header=BB4_4620 Depth=3
	v_bfe_u32 v1, v12, 23, 8
	v_sub_u32_e32 v13, 0x79, v1
	v_cmp_gt_u32_e32 vcc, s93, v1
	v_add_u32_e32 v12, 0xffffff81, v1
	v_cndmask_b32_e32 v13, 0, v13, vcc
	v_cmp_eq_u32_e32 vcc, 0, v1
	v_mov_b32_e32 v1, 0xffffff82
	v_cndmask_b32_e32 v1, v12, v1, vcc
	v_mov_b32_e32 v12, 0x78
	v_or_b32_e32 v20, 0x800000, v58
	v_cndmask_b32_e32 v28, v13, v12, vcc
	v_cndmask_b32_e32 v58, v20, v58, vcc
	v_add_u32_e32 v12, 20, v28
	v_lshlrev_b64 v[12:13], v12, -1
	v_add_u32_e32 v20, 19, v28
	v_lshrrev_b64 v[32:33], v28, v[58:59]
	v_not_b32_e32 v13, v13
	v_not_b32_e32 v12, v12
	v_lshlrev_b64 v[30:31], v20, 1
	v_lshrrev_b32_e32 v20, 23, v32
	v_and_b32_e32 v13, 0, v13
	v_and_b32_e32 v12, v58, v12
	v_add3_u32 v29, v28, v1, v20
	v_bfe_u32 v1, v32, 20, 1
	v_add_u32_e32 v1, -1, v1
	v_cmp_eq_u64_e32 vcc, v[12:13], v[30:31]
	v_cndmask_b32_e32 v1, 0, v1, vcc
	v_add_u32_e32 v1, v1, v32
	v_and_b32_e32 v1, 0xfffff, v1
	v_add_co_u32_e32 v12, vcc, v1, v32
	v_add_u32_e32 v20, 6, v29
	v_addc_co_u32_e32 v13, vcc, 0, v33, vcc
	v_cmp_ne_u32_e32 vcc, 0, v20
                                        ; implicit-def: $vgpr28
	s_and_saveexec_b64 s[28:29], vcc
	s_xor_b64 s[28:29], exec, s[28:29]
; %bb.4692:                             ;   in Loop: Header=BB4_4620 Depth=3
	v_add_u32_e32 v1, 7, v29
	v_cmp_lt_u64_e32 vcc, s[58:59], v[12:13]
	v_cndmask_b32_e32 v28, v20, v1, vcc
	v_cndmask_b32_e64 v1, 0, 1, vcc
	v_lshrrev_b64 v[12:13], v1, v[12:13]
; %bb.4693:                             ;   in Loop: Header=BB4_4620 Depth=3
	s_andn2_saveexec_b64 s[28:29], s[28:29]
; %bb.4694:                             ;   in Loop: Header=BB4_4620 Depth=3
	v_bfe_u32 v28, v12, 23, 1
; %bb.4695:                             ;   in Loop: Header=BB4_4620 Depth=3
	s_or_b64 exec, exec, s[28:29]
	v_lshrrev_b64 v[12:13], 20, v[12:13]
	v_cmp_gt_i32_e32 vcc, 16, v28
	v_cndmask_b32_e32 v13, 0, v13, vcc
	v_cndmask_b32_e32 v12, 7, v12, vcc
	v_cmp_ne_u32_e32 vcc, 0, v28
	v_cmp_ne_u64_e64 s[28:29], 0, v[12:13]
	s_or_b64 s[28:29], vcc, s[28:29]
                                        ; implicit-def: $vgpr20
	s_and_saveexec_b64 vcc, s[28:29]
	s_xor_b64 s[28:29], exec, vcc
; %bb.4696:                             ;   in Loop: Header=BB4_4620 Depth=3
	v_min_i32_e32 v1, 15, v28
	v_lshl_or_b32 v1, v1, 3, v27
	v_and_or_b32 v20, v12, 7, v1
                                        ; implicit-def: $vgpr27
; %bb.4697:                             ;   in Loop: Header=BB4_4620 Depth=3
	s_andn2_saveexec_b64 s[28:29], s[28:29]
; %bb.4698:                             ;   in Loop: Header=BB4_4620 Depth=3
	v_mov_b32_e32 v20, v27
; %bb.4699:                             ;   in Loop: Header=BB4_4620 Depth=3
	s_or_b64 exec, exec, s[28:29]
.LBB4_4700:                             ;   in Loop: Header=BB4_4620 Depth=3
	s_or_b64 exec, exec, s[70:71]
.LBB4_4701:                             ;   in Loop: Header=BB4_4620 Depth=3
	s_andn2_saveexec_b64 s[28:29], s[68:69]
	s_or_b64 exec, exec, s[28:29]
                                        ; implicit-def: $vgpr12
.LBB4_4702:                             ;   in Loop: Header=BB4_4620 Depth=3
	s_andn2_saveexec_b64 s[28:29], s[66:67]
; %bb.4703:                             ;   in Loop: Header=BB4_4620 Depth=3
	v_or_b32_sdwa v1, v12, s92 dst_sel:DWORD dst_unused:UNUSED_PAD src0_sel:BYTE_3 src1_sel:DWORD
	v_cmp_eq_u64_e32 vcc, 0, v[58:59]
	v_cndmask_b32_e32 v20, v1, v20, vcc
; %bb.4704:                             ;   in Loop: Header=BB4_4620 Depth=3
	s_or_b64 exec, exec, s[28:29]
	v_and_b32_e32 v12, 0xff, v26
	v_cmp_ne_u16_e32 vcc, 0, v12
	v_mov_b32_e32 v13, 0
	v_mov_b32_e32 v27, 0
	s_and_saveexec_b64 s[28:29], vcc
	s_cbranch_execz .LBB4_4710
; %bb.4705:                             ;   in Loop: Header=BB4_4620 Depth=3
	v_cmp_ne_u16_e32 vcc, s91, v12
	v_bfrev_b32_e32 v27, 1
	s_and_saveexec_b64 s[66:67], vcc
	s_cbranch_execz .LBB4_4709
; %bb.4706:                             ;   in Loop: Header=BB4_4620 Depth=3
	v_and_b32_e32 v1, 0x7f, v26
	v_cmp_ne_u32_e32 vcc, s92, v1
	v_mov_b32_e32 v27, 0x7f800001
	s_and_saveexec_b64 s[68:69], vcc
	s_cbranch_execz .LBB4_4708
; %bb.4707:                             ;   in Loop: Header=BB4_4620 Depth=3
	v_and_b32_e32 v27, 7, v12
	v_ffbh_u32_e32 v28, v27
	v_min_u32_e32 v31, 32, v28
	v_subrev_u32_e32 v28, 28, v31
	v_lshlrev_b64 v[28:29], v28, v[12:13]
	v_lshrrev_b32_e32 v30, 3, v1
	v_sub_u32_e32 v12, 29, v31
	v_and_b32_e32 v28, 7, v28
	v_cmp_gt_u32_e32 vcc, 8, v1
	v_cndmask_b32_e32 v1, v30, v12, vcc
	v_cndmask_b32_e32 v12, v27, v28, vcc
	v_lshlrev_b32_e32 v26, 24, v26
	v_bfrev_b32_e32 v27, 60
	v_lshlrev_b32_e32 v12, 20, v12
	v_and_b32_e32 v26, 0x80000000, v26
	v_lshl_add_u32 v1, v1, 23, v27
	v_or3_b32 v27, v26, v1, v12
.LBB4_4708:                             ;   in Loop: Header=BB4_4620 Depth=3
	s_or_b64 exec, exec, s[68:69]
.LBB4_4709:                             ;   in Loop: Header=BB4_4620 Depth=3
	s_or_b64 exec, exec, s[66:67]
.LBB4_4710:                             ;   in Loop: Header=BB4_4620 Depth=3
	s_or_b64 exec, exec, s[28:29]
	v_and_b32_e32 v12, 0xff, v23
	v_cmp_ne_u16_e32 vcc, 0, v12
	s_and_saveexec_b64 s[28:29], vcc
	s_cbranch_execz .LBB4_4716
; %bb.4711:                             ;   in Loop: Header=BB4_4620 Depth=3
	v_cmp_ne_u16_e32 vcc, s91, v12
	v_bfrev_b32_e32 v13, 1
	s_and_saveexec_b64 s[66:67], vcc
	s_cbranch_execz .LBB4_4715
; %bb.4712:                             ;   in Loop: Header=BB4_4620 Depth=3
	v_and_b32_e32 v1, 0x7f, v23
	v_cmp_ne_u32_e32 vcc, s92, v1
	v_mov_b32_e32 v13, 0x7f800001
	s_and_saveexec_b64 s[68:69], vcc
	s_cbranch_execz .LBB4_4714
; %bb.4713:                             ;   in Loop: Header=BB4_4620 Depth=3
	v_and_b32_e32 v26, 7, v12
	v_ffbh_u32_e32 v13, v26
	v_min_u32_e32 v29, 32, v13
	v_subrev_u32_e32 v13, 28, v29
	v_lshlrev_b64 v[12:13], v13, v[12:13]
	v_lshrrev_b32_e32 v28, 3, v1
	v_sub_u32_e32 v13, 29, v29
	v_and_b32_e32 v12, 7, v12
	v_cmp_gt_u32_e32 vcc, 8, v1
	v_cndmask_b32_e32 v1, v28, v13, vcc
	v_cndmask_b32_e32 v12, v26, v12, vcc
	v_lshlrev_b32_e32 v13, 24, v23
	v_bfrev_b32_e32 v23, 60
	v_lshlrev_b32_e32 v12, 20, v12
	v_and_b32_e32 v13, 0x80000000, v13
	v_lshl_add_u32 v1, v1, 23, v23
	v_or3_b32 v13, v13, v1, v12
.LBB4_4714:                             ;   in Loop: Header=BB4_4620 Depth=3
	s_or_b64 exec, exec, s[68:69]
.LBB4_4715:                             ;   in Loop: Header=BB4_4620 Depth=3
	s_or_b64 exec, exec, s[66:67]
.LBB4_4716:                             ;   in Loop: Header=BB4_4620 Depth=3
	s_or_b64 exec, exec, s[28:29]
	v_add_f32_e32 v12, v27, v13
	v_and_b32_sdwa v26, v12, s91 dst_sel:DWORD dst_unused:UNUSED_PAD src0_sel:BYTE_3 src1_sel:DWORD
	v_and_b32_e32 v28, 0x7f800000, v12
	v_mov_b32_e32 v29, v59
	v_and_b32_e32 v58, 0x7fffff, v12
	v_or_b32_e32 v23, 0x7e, v26
	v_cmp_ne_u64_e32 vcc, s[54:55], v[28:29]
	s_and_saveexec_b64 s[28:29], vcc
	s_xor_b64 s[66:67], exec, s[28:29]
	s_cbranch_execz .LBB4_4730
; %bb.4717:                             ;   in Loop: Header=BB4_4620 Depth=3
	v_and_b32_e32 v28, 0x7fffffff, v12
	v_mov_b32_e32 v29, v59
	v_cmp_gt_u64_e32 vcc, s[56:57], v[28:29]
	s_and_saveexec_b64 s[28:29], vcc
	s_xor_b64 s[68:69], exec, s[28:29]
	s_cbranch_execz .LBB4_4729
; %bb.4718:                             ;   in Loop: Header=BB4_4620 Depth=3
	v_cmp_ne_u32_e32 vcc, 0, v12
	v_mov_b32_e32 v23, 0
	s_and_saveexec_b64 s[70:71], vcc
	s_cbranch_execz .LBB4_4728
; %bb.4719:                             ;   in Loop: Header=BB4_4620 Depth=3
	v_bfe_u32 v1, v12, 23, 8
	v_sub_u32_e32 v13, 0x79, v1
	v_cmp_gt_u32_e32 vcc, s93, v1
	v_add_u32_e32 v12, 0xffffff81, v1
	v_cndmask_b32_e32 v13, 0, v13, vcc
	v_cmp_eq_u32_e32 vcc, 0, v1
	v_mov_b32_e32 v1, 0xffffff82
	v_cndmask_b32_e32 v1, v12, v1, vcc
	v_mov_b32_e32 v12, 0x78
	v_or_b32_e32 v23, 0x800000, v58
	v_cndmask_b32_e32 v27, v13, v12, vcc
	v_cndmask_b32_e32 v58, v23, v58, vcc
	v_add_u32_e32 v12, 20, v27
	v_lshlrev_b64 v[12:13], v12, -1
	v_add_u32_e32 v23, 19, v27
	v_lshrrev_b64 v[32:33], v27, v[58:59]
	v_not_b32_e32 v13, v13
	v_not_b32_e32 v12, v12
	v_lshlrev_b64 v[30:31], v23, 1
	v_lshrrev_b32_e32 v23, 23, v32
	v_and_b32_e32 v13, 0, v13
	v_and_b32_e32 v12, v58, v12
	v_add3_u32 v28, v27, v1, v23
	v_bfe_u32 v1, v32, 20, 1
	v_add_u32_e32 v1, -1, v1
	v_cmp_eq_u64_e32 vcc, v[12:13], v[30:31]
	v_cndmask_b32_e32 v1, 0, v1, vcc
	v_add_u32_e32 v1, v1, v32
	v_and_b32_e32 v1, 0xfffff, v1
	v_add_co_u32_e32 v12, vcc, v1, v32
	v_add_u32_e32 v23, 6, v28
	v_addc_co_u32_e32 v13, vcc, 0, v33, vcc
	v_cmp_ne_u32_e32 vcc, 0, v23
                                        ; implicit-def: $vgpr27
	s_and_saveexec_b64 s[28:29], vcc
	s_xor_b64 s[28:29], exec, s[28:29]
; %bb.4720:                             ;   in Loop: Header=BB4_4620 Depth=3
	v_add_u32_e32 v1, 7, v28
	v_cmp_lt_u64_e32 vcc, s[58:59], v[12:13]
	v_cndmask_b32_e32 v27, v23, v1, vcc
	v_cndmask_b32_e64 v1, 0, 1, vcc
	v_lshrrev_b64 v[12:13], v1, v[12:13]
; %bb.4721:                             ;   in Loop: Header=BB4_4620 Depth=3
	s_andn2_saveexec_b64 s[28:29], s[28:29]
; %bb.4722:                             ;   in Loop: Header=BB4_4620 Depth=3
	v_bfe_u32 v27, v12, 23, 1
; %bb.4723:                             ;   in Loop: Header=BB4_4620 Depth=3
	s_or_b64 exec, exec, s[28:29]
	v_lshrrev_b64 v[12:13], 20, v[12:13]
	v_cmp_gt_i32_e32 vcc, 16, v27
	v_cndmask_b32_e32 v13, 0, v13, vcc
	v_cndmask_b32_e32 v12, 7, v12, vcc
	v_cmp_ne_u32_e32 vcc, 0, v27
	v_cmp_ne_u64_e64 s[28:29], 0, v[12:13]
	s_or_b64 s[28:29], vcc, s[28:29]
                                        ; implicit-def: $vgpr23
	s_and_saveexec_b64 vcc, s[28:29]
	s_xor_b64 s[28:29], exec, vcc
; %bb.4724:                             ;   in Loop: Header=BB4_4620 Depth=3
	v_min_i32_e32 v1, 15, v27
	v_lshl_or_b32 v1, v1, 3, v26
	v_and_or_b32 v23, v12, 7, v1
                                        ; implicit-def: $vgpr26
; %bb.4725:                             ;   in Loop: Header=BB4_4620 Depth=3
	s_andn2_saveexec_b64 s[28:29], s[28:29]
; %bb.4726:                             ;   in Loop: Header=BB4_4620 Depth=3
	v_mov_b32_e32 v23, v26
; %bb.4727:                             ;   in Loop: Header=BB4_4620 Depth=3
	s_or_b64 exec, exec, s[28:29]
.LBB4_4728:                             ;   in Loop: Header=BB4_4620 Depth=3
	s_or_b64 exec, exec, s[70:71]
.LBB4_4729:                             ;   in Loop: Header=BB4_4620 Depth=3
	s_andn2_saveexec_b64 s[28:29], s[68:69]
	s_or_b64 exec, exec, s[28:29]
                                        ; implicit-def: $vgpr12
.LBB4_4730:                             ;   in Loop: Header=BB4_4620 Depth=3
	s_andn2_saveexec_b64 s[28:29], s[66:67]
; %bb.4731:                             ;   in Loop: Header=BB4_4620 Depth=3
	v_or_b32_sdwa v1, v12, s92 dst_sel:DWORD dst_unused:UNUSED_PAD src0_sel:BYTE_3 src1_sel:DWORD
	v_cmp_eq_u64_e32 vcc, 0, v[58:59]
	v_cndmask_b32_e32 v23, v1, v23, vcc
; %bb.4732:                             ;   in Loop: Header=BB4_4620 Depth=3
	s_or_b64 exec, exec, s[28:29]
	v_and_b32_e32 v12, 0xff, v25
	v_cmp_ne_u16_e32 vcc, 0, v12
	v_mov_b32_e32 v13, 0
	v_mov_b32_e32 v26, 0
	s_and_saveexec_b64 s[28:29], vcc
	s_cbranch_execz .LBB4_4738
; %bb.4733:                             ;   in Loop: Header=BB4_4620 Depth=3
	v_cmp_ne_u16_e32 vcc, s91, v12
	v_bfrev_b32_e32 v26, 1
	s_and_saveexec_b64 s[66:67], vcc
	s_cbranch_execz .LBB4_4737
; %bb.4734:                             ;   in Loop: Header=BB4_4620 Depth=3
	v_and_b32_e32 v1, 0x7f, v25
	v_cmp_ne_u32_e32 vcc, s92, v1
	v_mov_b32_e32 v26, 0x7f800001
	s_and_saveexec_b64 s[68:69], vcc
	s_cbranch_execz .LBB4_4736
; %bb.4735:                             ;   in Loop: Header=BB4_4620 Depth=3
	v_and_b32_e32 v28, 7, v12
	v_ffbh_u32_e32 v26, v28
	v_min_u32_e32 v30, 32, v26
	v_subrev_u32_e32 v26, 28, v30
	v_lshlrev_b64 v[26:27], v26, v[12:13]
	v_lshrrev_b32_e32 v29, 3, v1
	v_sub_u32_e32 v12, 29, v30
	v_and_b32_e32 v26, 7, v26
	v_cmp_gt_u32_e32 vcc, 8, v1
	v_cndmask_b32_e32 v1, v29, v12, vcc
	v_cndmask_b32_e32 v12, v28, v26, vcc
	v_lshlrev_b32_e32 v25, 24, v25
	v_bfrev_b32_e32 v26, 60
	v_lshlrev_b32_e32 v12, 20, v12
	v_and_b32_e32 v25, 0x80000000, v25
	v_lshl_add_u32 v1, v1, 23, v26
	v_or3_b32 v26, v25, v1, v12
.LBB4_4736:                             ;   in Loop: Header=BB4_4620 Depth=3
	s_or_b64 exec, exec, s[68:69]
.LBB4_4737:                             ;   in Loop: Header=BB4_4620 Depth=3
	s_or_b64 exec, exec, s[66:67]
.LBB4_4738:                             ;   in Loop: Header=BB4_4620 Depth=3
	s_or_b64 exec, exec, s[28:29]
	v_and_b32_e32 v12, 0xff, v24
	v_cmp_ne_u16_e32 vcc, 0, v12
	s_and_saveexec_b64 s[28:29], vcc
	s_cbranch_execz .LBB4_4744
; %bb.4739:                             ;   in Loop: Header=BB4_4620 Depth=3
	v_cmp_ne_u16_e32 vcc, s91, v12
	v_bfrev_b32_e32 v13, 1
	s_and_saveexec_b64 s[66:67], vcc
	s_cbranch_execz .LBB4_4743
; %bb.4740:                             ;   in Loop: Header=BB4_4620 Depth=3
	v_and_b32_e32 v1, 0x7f, v24
	v_cmp_ne_u32_e32 vcc, s92, v1
	v_mov_b32_e32 v13, 0x7f800001
	s_and_saveexec_b64 s[68:69], vcc
	s_cbranch_execz .LBB4_4742
; %bb.4741:                             ;   in Loop: Header=BB4_4620 Depth=3
	v_and_b32_e32 v25, 7, v12
	v_ffbh_u32_e32 v13, v25
	v_min_u32_e32 v28, 32, v13
	v_subrev_u32_e32 v13, 28, v28
	v_lshlrev_b64 v[12:13], v13, v[12:13]
	v_lshrrev_b32_e32 v27, 3, v1
	v_sub_u32_e32 v13, 29, v28
	v_and_b32_e32 v12, 7, v12
	v_cmp_gt_u32_e32 vcc, 8, v1
	v_cndmask_b32_e32 v1, v27, v13, vcc
	v_cndmask_b32_e32 v12, v25, v12, vcc
	v_lshlrev_b32_e32 v13, 24, v24
	v_bfrev_b32_e32 v24, 60
	v_lshlrev_b32_e32 v12, 20, v12
	v_and_b32_e32 v13, 0x80000000, v13
	v_lshl_add_u32 v1, v1, 23, v24
	v_or3_b32 v13, v13, v1, v12
.LBB4_4742:                             ;   in Loop: Header=BB4_4620 Depth=3
	s_or_b64 exec, exec, s[68:69]
.LBB4_4743:                             ;   in Loop: Header=BB4_4620 Depth=3
	s_or_b64 exec, exec, s[66:67]
.LBB4_4744:                             ;   in Loop: Header=BB4_4620 Depth=3
	s_or_b64 exec, exec, s[28:29]
	v_add_f32_e32 v12, v26, v13
	v_and_b32_sdwa v25, v12, s91 dst_sel:DWORD dst_unused:UNUSED_PAD src0_sel:BYTE_3 src1_sel:DWORD
	v_and_b32_e32 v26, 0x7f800000, v12
	v_mov_b32_e32 v27, v59
	v_and_b32_e32 v58, 0x7fffff, v12
	v_or_b32_e32 v24, 0x7e, v25
	v_cmp_ne_u64_e32 vcc, s[54:55], v[26:27]
	s_and_saveexec_b64 s[28:29], vcc
	s_xor_b64 s[66:67], exec, s[28:29]
	s_cbranch_execz .LBB4_4758
; %bb.4745:                             ;   in Loop: Header=BB4_4620 Depth=3
	v_and_b32_e32 v26, 0x7fffffff, v12
	v_mov_b32_e32 v27, v59
	v_cmp_gt_u64_e32 vcc, s[56:57], v[26:27]
	s_and_saveexec_b64 s[28:29], vcc
	s_xor_b64 s[68:69], exec, s[28:29]
	s_cbranch_execz .LBB4_4757
; %bb.4746:                             ;   in Loop: Header=BB4_4620 Depth=3
	v_cmp_ne_u32_e32 vcc, 0, v12
	v_mov_b32_e32 v24, 0
	s_and_saveexec_b64 s[70:71], vcc
	s_cbranch_execz .LBB4_4756
; %bb.4747:                             ;   in Loop: Header=BB4_4620 Depth=3
	v_bfe_u32 v1, v12, 23, 8
	v_sub_u32_e32 v13, 0x79, v1
	v_cmp_gt_u32_e32 vcc, s93, v1
	v_add_u32_e32 v12, 0xffffff81, v1
	v_cndmask_b32_e32 v13, 0, v13, vcc
	v_cmp_eq_u32_e32 vcc, 0, v1
	v_mov_b32_e32 v1, 0xffffff82
	v_cndmask_b32_e32 v1, v12, v1, vcc
	v_mov_b32_e32 v12, 0x78
	v_or_b32_e32 v24, 0x800000, v58
	v_cndmask_b32_e32 v26, v13, v12, vcc
	v_cndmask_b32_e32 v58, v24, v58, vcc
	v_add_u32_e32 v12, 20, v26
	v_lshlrev_b64 v[12:13], v12, -1
	v_add_u32_e32 v24, 19, v26
	v_lshrrev_b64 v[30:31], v26, v[58:59]
	v_not_b32_e32 v13, v13
	v_not_b32_e32 v12, v12
	v_lshlrev_b64 v[28:29], v24, 1
	v_lshrrev_b32_e32 v24, 23, v30
	v_and_b32_e32 v13, 0, v13
	v_and_b32_e32 v12, v58, v12
	v_add3_u32 v27, v26, v1, v24
	v_bfe_u32 v1, v30, 20, 1
	v_add_u32_e32 v1, -1, v1
	v_cmp_eq_u64_e32 vcc, v[12:13], v[28:29]
	v_cndmask_b32_e32 v1, 0, v1, vcc
	v_add_u32_e32 v1, v1, v30
	v_and_b32_e32 v1, 0xfffff, v1
	v_add_co_u32_e32 v12, vcc, v1, v30
	v_add_u32_e32 v24, 6, v27
	v_addc_co_u32_e32 v13, vcc, 0, v31, vcc
	v_cmp_ne_u32_e32 vcc, 0, v24
                                        ; implicit-def: $vgpr26
	s_and_saveexec_b64 s[28:29], vcc
	s_xor_b64 s[28:29], exec, s[28:29]
; %bb.4748:                             ;   in Loop: Header=BB4_4620 Depth=3
	v_add_u32_e32 v1, 7, v27
	v_cmp_lt_u64_e32 vcc, s[58:59], v[12:13]
	v_cndmask_b32_e32 v26, v24, v1, vcc
	v_cndmask_b32_e64 v1, 0, 1, vcc
	v_lshrrev_b64 v[12:13], v1, v[12:13]
; %bb.4749:                             ;   in Loop: Header=BB4_4620 Depth=3
	s_andn2_saveexec_b64 s[28:29], s[28:29]
; %bb.4750:                             ;   in Loop: Header=BB4_4620 Depth=3
	v_bfe_u32 v26, v12, 23, 1
; %bb.4751:                             ;   in Loop: Header=BB4_4620 Depth=3
	s_or_b64 exec, exec, s[28:29]
	v_lshrrev_b64 v[12:13], 20, v[12:13]
	v_cmp_gt_i32_e32 vcc, 16, v26
	v_cndmask_b32_e32 v13, 0, v13, vcc
	v_cndmask_b32_e32 v12, 7, v12, vcc
	v_cmp_ne_u32_e32 vcc, 0, v26
	v_cmp_ne_u64_e64 s[28:29], 0, v[12:13]
	s_or_b64 s[28:29], vcc, s[28:29]
                                        ; implicit-def: $vgpr24
	s_and_saveexec_b64 vcc, s[28:29]
	s_xor_b64 s[28:29], exec, vcc
; %bb.4752:                             ;   in Loop: Header=BB4_4620 Depth=3
	v_min_i32_e32 v1, 15, v26
	v_lshl_or_b32 v1, v1, 3, v25
	v_and_or_b32 v24, v12, 7, v1
                                        ; implicit-def: $vgpr25
; %bb.4753:                             ;   in Loop: Header=BB4_4620 Depth=3
	s_andn2_saveexec_b64 s[28:29], s[28:29]
; %bb.4754:                             ;   in Loop: Header=BB4_4620 Depth=3
	v_mov_b32_e32 v24, v25
; %bb.4755:                             ;   in Loop: Header=BB4_4620 Depth=3
	s_or_b64 exec, exec, s[28:29]
.LBB4_4756:                             ;   in Loop: Header=BB4_4620 Depth=3
	s_or_b64 exec, exec, s[70:71]
.LBB4_4757:                             ;   in Loop: Header=BB4_4620 Depth=3
	s_andn2_saveexec_b64 s[28:29], s[68:69]
	s_or_b64 exec, exec, s[28:29]
                                        ; implicit-def: $vgpr12
.LBB4_4758:                             ;   in Loop: Header=BB4_4620 Depth=3
	s_andn2_saveexec_b64 s[28:29], s[66:67]
; %bb.4759:                             ;   in Loop: Header=BB4_4620 Depth=3
	v_or_b32_sdwa v1, v12, s92 dst_sel:DWORD dst_unused:UNUSED_PAD src0_sel:BYTE_3 src1_sel:DWORD
	v_cmp_eq_u64_e32 vcc, 0, v[58:59]
	v_cndmask_b32_e32 v24, v1, v24, vcc
; %bb.4760:                             ;   in Loop: Header=BB4_4620 Depth=3
	s_or_b64 exec, exec, s[28:29]
	v_and_b32_e32 v12, 0xff, v22
	v_cmp_ne_u16_e32 vcc, 0, v12
	v_mov_b32_e32 v13, 0
	v_mov_b32_e32 v25, 0
	s_and_saveexec_b64 s[28:29], vcc
	s_cbranch_execz .LBB4_4766
; %bb.4761:                             ;   in Loop: Header=BB4_4620 Depth=3
	v_cmp_ne_u16_e32 vcc, s91, v12
	v_bfrev_b32_e32 v25, 1
	s_and_saveexec_b64 s[66:67], vcc
	s_cbranch_execz .LBB4_4765
; %bb.4762:                             ;   in Loop: Header=BB4_4620 Depth=3
	v_and_b32_e32 v1, 0x7f, v22
	v_cmp_ne_u32_e32 vcc, s92, v1
	v_mov_b32_e32 v25, 0x7f800001
	s_and_saveexec_b64 s[68:69], vcc
	s_cbranch_execz .LBB4_4764
; %bb.4763:                             ;   in Loop: Header=BB4_4620 Depth=3
	v_and_b32_e32 v25, 7, v12
	v_ffbh_u32_e32 v26, v25
	v_min_u32_e32 v29, 32, v26
	v_subrev_u32_e32 v26, 28, v29
	v_lshlrev_b64 v[26:27], v26, v[12:13]
	v_lshrrev_b32_e32 v28, 3, v1
	v_sub_u32_e32 v12, 29, v29
	v_and_b32_e32 v26, 7, v26
	v_cmp_gt_u32_e32 vcc, 8, v1
	v_cndmask_b32_e32 v1, v28, v12, vcc
	v_cndmask_b32_e32 v12, v25, v26, vcc
	v_lshlrev_b32_e32 v22, 24, v22
	v_bfrev_b32_e32 v25, 60
	v_lshlrev_b32_e32 v12, 20, v12
	v_and_b32_e32 v22, 0x80000000, v22
	v_lshl_add_u32 v1, v1, 23, v25
	v_or3_b32 v25, v22, v1, v12
.LBB4_4764:                             ;   in Loop: Header=BB4_4620 Depth=3
	s_or_b64 exec, exec, s[68:69]
.LBB4_4765:                             ;   in Loop: Header=BB4_4620 Depth=3
	s_or_b64 exec, exec, s[66:67]
.LBB4_4766:                             ;   in Loop: Header=BB4_4620 Depth=3
	s_or_b64 exec, exec, s[28:29]
	v_and_b32_e32 v12, 0xff, v21
	v_cmp_ne_u16_e32 vcc, 0, v12
	s_and_saveexec_b64 s[28:29], vcc
	s_cbranch_execz .LBB4_4772
; %bb.4767:                             ;   in Loop: Header=BB4_4620 Depth=3
	v_cmp_ne_u16_e32 vcc, s91, v12
	v_bfrev_b32_e32 v13, 1
	s_and_saveexec_b64 s[66:67], vcc
	s_cbranch_execz .LBB4_4771
; %bb.4768:                             ;   in Loop: Header=BB4_4620 Depth=3
	v_and_b32_e32 v1, 0x7f, v21
	v_cmp_ne_u32_e32 vcc, s92, v1
	v_mov_b32_e32 v13, 0x7f800001
	s_and_saveexec_b64 s[68:69], vcc
	s_cbranch_execz .LBB4_4770
; %bb.4769:                             ;   in Loop: Header=BB4_4620 Depth=3
	v_and_b32_e32 v22, 7, v12
	v_ffbh_u32_e32 v13, v22
	v_min_u32_e32 v27, 32, v13
	v_subrev_u32_e32 v13, 28, v27
	v_lshlrev_b64 v[12:13], v13, v[12:13]
	v_lshrrev_b32_e32 v26, 3, v1
	v_sub_u32_e32 v13, 29, v27
	v_and_b32_e32 v12, 7, v12
	v_cmp_gt_u32_e32 vcc, 8, v1
	v_cndmask_b32_e32 v1, v26, v13, vcc
	v_cndmask_b32_e32 v12, v22, v12, vcc
	v_lshlrev_b32_e32 v13, 24, v21
	v_bfrev_b32_e32 v21, 60
	v_lshlrev_b32_e32 v12, 20, v12
	v_and_b32_e32 v13, 0x80000000, v13
	v_lshl_add_u32 v1, v1, 23, v21
	v_or3_b32 v13, v13, v1, v12
.LBB4_4770:                             ;   in Loop: Header=BB4_4620 Depth=3
	s_or_b64 exec, exec, s[68:69]
.LBB4_4771:                             ;   in Loop: Header=BB4_4620 Depth=3
	s_or_b64 exec, exec, s[66:67]
.LBB4_4772:                             ;   in Loop: Header=BB4_4620 Depth=3
	s_or_b64 exec, exec, s[28:29]
	v_add_f32_e32 v12, v25, v13
	v_and_b32_sdwa v22, v12, s91 dst_sel:DWORD dst_unused:UNUSED_PAD src0_sel:BYTE_3 src1_sel:DWORD
	v_and_b32_e32 v26, 0x7f800000, v12
	v_mov_b32_e32 v27, v59
	v_and_b32_e32 v58, 0x7fffff, v12
	v_or_b32_e32 v21, 0x7e, v22
	v_cmp_ne_u64_e32 vcc, s[54:55], v[26:27]
	s_and_saveexec_b64 s[28:29], vcc
	s_xor_b64 s[66:67], exec, s[28:29]
	s_cbranch_execz .LBB4_4786
; %bb.4773:                             ;   in Loop: Header=BB4_4620 Depth=3
	v_and_b32_e32 v26, 0x7fffffff, v12
	v_mov_b32_e32 v27, v59
	v_cmp_gt_u64_e32 vcc, s[56:57], v[26:27]
	s_and_saveexec_b64 s[28:29], vcc
	s_xor_b64 s[68:69], exec, s[28:29]
	s_cbranch_execz .LBB4_4785
; %bb.4774:                             ;   in Loop: Header=BB4_4620 Depth=3
	v_cmp_ne_u32_e32 vcc, 0, v12
	v_mov_b32_e32 v21, 0
	s_and_saveexec_b64 s[70:71], vcc
	s_cbranch_execz .LBB4_4784
; %bb.4775:                             ;   in Loop: Header=BB4_4620 Depth=3
	v_bfe_u32 v1, v12, 23, 8
	v_sub_u32_e32 v13, 0x79, v1
	v_cmp_gt_u32_e32 vcc, s93, v1
	v_add_u32_e32 v12, 0xffffff81, v1
	v_cndmask_b32_e32 v13, 0, v13, vcc
	v_cmp_eq_u32_e32 vcc, 0, v1
	v_mov_b32_e32 v1, 0xffffff82
	v_cndmask_b32_e32 v1, v12, v1, vcc
	v_mov_b32_e32 v12, 0x78
	v_or_b32_e32 v21, 0x800000, v58
	v_cndmask_b32_e32 v25, v13, v12, vcc
	v_cndmask_b32_e32 v58, v21, v58, vcc
	v_add_u32_e32 v12, 20, v25
	v_lshlrev_b64 v[12:13], v12, -1
	v_add_u32_e32 v21, 19, v25
	v_lshrrev_b64 v[30:31], v25, v[58:59]
	v_not_b32_e32 v13, v13
	v_not_b32_e32 v12, v12
	v_lshlrev_b64 v[28:29], v21, 1
	v_lshrrev_b32_e32 v21, 23, v30
	v_and_b32_e32 v13, 0, v13
	v_and_b32_e32 v12, v58, v12
	v_add3_u32 v26, v25, v1, v21
	v_bfe_u32 v1, v30, 20, 1
	v_add_u32_e32 v1, -1, v1
	v_cmp_eq_u64_e32 vcc, v[12:13], v[28:29]
	v_cndmask_b32_e32 v1, 0, v1, vcc
	v_add_u32_e32 v1, v1, v30
	v_and_b32_e32 v1, 0xfffff, v1
	v_add_co_u32_e32 v12, vcc, v1, v30
	v_add_u32_e32 v21, 6, v26
	v_addc_co_u32_e32 v13, vcc, 0, v31, vcc
	v_cmp_ne_u32_e32 vcc, 0, v21
                                        ; implicit-def: $vgpr25
	s_and_saveexec_b64 s[28:29], vcc
	s_xor_b64 s[28:29], exec, s[28:29]
; %bb.4776:                             ;   in Loop: Header=BB4_4620 Depth=3
	v_add_u32_e32 v1, 7, v26
	v_cmp_lt_u64_e32 vcc, s[58:59], v[12:13]
	v_cndmask_b32_e32 v25, v21, v1, vcc
	v_cndmask_b32_e64 v1, 0, 1, vcc
	v_lshrrev_b64 v[12:13], v1, v[12:13]
; %bb.4777:                             ;   in Loop: Header=BB4_4620 Depth=3
	s_andn2_saveexec_b64 s[28:29], s[28:29]
; %bb.4778:                             ;   in Loop: Header=BB4_4620 Depth=3
	v_bfe_u32 v25, v12, 23, 1
; %bb.4779:                             ;   in Loop: Header=BB4_4620 Depth=3
	s_or_b64 exec, exec, s[28:29]
	v_lshrrev_b64 v[12:13], 20, v[12:13]
	v_cmp_gt_i32_e32 vcc, 16, v25
	v_cndmask_b32_e32 v13, 0, v13, vcc
	v_cndmask_b32_e32 v12, 7, v12, vcc
	v_cmp_ne_u32_e32 vcc, 0, v25
	v_cmp_ne_u64_e64 s[28:29], 0, v[12:13]
	s_or_b64 s[28:29], vcc, s[28:29]
                                        ; implicit-def: $vgpr21
	s_and_saveexec_b64 vcc, s[28:29]
	s_xor_b64 s[28:29], exec, vcc
; %bb.4780:                             ;   in Loop: Header=BB4_4620 Depth=3
	v_min_i32_e32 v1, 15, v25
	v_lshl_or_b32 v1, v1, 3, v22
	v_and_or_b32 v21, v12, 7, v1
                                        ; implicit-def: $vgpr22
; %bb.4781:                             ;   in Loop: Header=BB4_4620 Depth=3
	s_andn2_saveexec_b64 s[28:29], s[28:29]
; %bb.4782:                             ;   in Loop: Header=BB4_4620 Depth=3
	v_mov_b32_e32 v21, v22
; %bb.4783:                             ;   in Loop: Header=BB4_4620 Depth=3
	s_or_b64 exec, exec, s[28:29]
.LBB4_4784:                             ;   in Loop: Header=BB4_4620 Depth=3
	s_or_b64 exec, exec, s[70:71]
.LBB4_4785:                             ;   in Loop: Header=BB4_4620 Depth=3
	s_andn2_saveexec_b64 s[28:29], s[68:69]
	s_or_b64 exec, exec, s[28:29]
                                        ; implicit-def: $vgpr12
.LBB4_4786:                             ;   in Loop: Header=BB4_4620 Depth=3
	s_andn2_saveexec_b64 s[28:29], s[66:67]
; %bb.4787:                             ;   in Loop: Header=BB4_4620 Depth=3
	v_or_b32_sdwa v1, v12, s92 dst_sel:DWORD dst_unused:UNUSED_PAD src0_sel:BYTE_3 src1_sel:DWORD
	v_cmp_eq_u64_e32 vcc, 0, v[58:59]
	v_cndmask_b32_e32 v21, v1, v21, vcc
; %bb.4788:                             ;   in Loop: Header=BB4_4620 Depth=3
	s_or_b64 exec, exec, s[28:29]
	v_and_b32_e32 v12, 0xff, v19
	v_cmp_ne_u16_e32 vcc, 0, v12
	v_mov_b32_e32 v13, 0
	v_mov_b32_e32 v22, 0
	s_and_saveexec_b64 s[28:29], vcc
	s_cbranch_execz .LBB4_4794
; %bb.4789:                             ;   in Loop: Header=BB4_4620 Depth=3
	v_cmp_ne_u16_e32 vcc, s91, v12
	v_bfrev_b32_e32 v22, 1
	s_and_saveexec_b64 s[66:67], vcc
	s_cbranch_execz .LBB4_4793
; %bb.4790:                             ;   in Loop: Header=BB4_4620 Depth=3
	v_and_b32_e32 v1, 0x7f, v19
	v_cmp_ne_u32_e32 vcc, s92, v1
	v_mov_b32_e32 v22, 0x7f800001
	s_and_saveexec_b64 s[68:69], vcc
	s_cbranch_execz .LBB4_4792
; %bb.4791:                             ;   in Loop: Header=BB4_4620 Depth=3
	v_and_b32_e32 v22, 7, v12
	v_ffbh_u32_e32 v26, v22
	v_min_u32_e32 v28, 32, v26
	v_subrev_u32_e32 v26, 28, v28
	v_lshlrev_b64 v[26:27], v26, v[12:13]
	v_lshrrev_b32_e32 v25, 3, v1
	v_sub_u32_e32 v12, 29, v28
	v_and_b32_e32 v26, 7, v26
	v_cmp_gt_u32_e32 vcc, 8, v1
	v_cndmask_b32_e32 v1, v25, v12, vcc
	v_cndmask_b32_e32 v12, v22, v26, vcc
	v_lshlrev_b32_e32 v19, 24, v19
	v_bfrev_b32_e32 v22, 60
	v_lshlrev_b32_e32 v12, 20, v12
	v_and_b32_e32 v19, 0x80000000, v19
	v_lshl_add_u32 v1, v1, 23, v22
	v_or3_b32 v22, v19, v1, v12
.LBB4_4792:                             ;   in Loop: Header=BB4_4620 Depth=3
	s_or_b64 exec, exec, s[68:69]
.LBB4_4793:                             ;   in Loop: Header=BB4_4620 Depth=3
	s_or_b64 exec, exec, s[66:67]
.LBB4_4794:                             ;   in Loop: Header=BB4_4620 Depth=3
	s_or_b64 exec, exec, s[28:29]
	v_and_b32_e32 v12, 0xff, v18
	v_cmp_ne_u16_e32 vcc, 0, v12
	s_and_saveexec_b64 s[28:29], vcc
	s_cbranch_execz .LBB4_4800
; %bb.4795:                             ;   in Loop: Header=BB4_4620 Depth=3
	v_cmp_ne_u16_e32 vcc, s91, v12
	v_bfrev_b32_e32 v13, 1
	s_and_saveexec_b64 s[66:67], vcc
	s_cbranch_execz .LBB4_4799
; %bb.4796:                             ;   in Loop: Header=BB4_4620 Depth=3
	v_and_b32_e32 v1, 0x7f, v18
	v_cmp_ne_u32_e32 vcc, s92, v1
	v_mov_b32_e32 v13, 0x7f800001
	s_and_saveexec_b64 s[68:69], vcc
	s_cbranch_execz .LBB4_4798
; %bb.4797:                             ;   in Loop: Header=BB4_4620 Depth=3
	v_and_b32_e32 v19, 7, v12
	v_ffbh_u32_e32 v13, v19
	v_min_u32_e32 v26, 32, v13
	v_subrev_u32_e32 v13, 28, v26
	v_lshlrev_b64 v[12:13], v13, v[12:13]
	v_lshrrev_b32_e32 v25, 3, v1
	v_sub_u32_e32 v13, 29, v26
	v_and_b32_e32 v12, 7, v12
	v_cmp_gt_u32_e32 vcc, 8, v1
	v_cndmask_b32_e32 v1, v25, v13, vcc
	v_cndmask_b32_e32 v12, v19, v12, vcc
	v_lshlrev_b32_e32 v13, 24, v18
	v_bfrev_b32_e32 v18, 60
	v_lshlrev_b32_e32 v12, 20, v12
	v_and_b32_e32 v13, 0x80000000, v13
	v_lshl_add_u32 v1, v1, 23, v18
	v_or3_b32 v13, v13, v1, v12
.LBB4_4798:                             ;   in Loop: Header=BB4_4620 Depth=3
	s_or_b64 exec, exec, s[68:69]
.LBB4_4799:                             ;   in Loop: Header=BB4_4620 Depth=3
	s_or_b64 exec, exec, s[66:67]
.LBB4_4800:                             ;   in Loop: Header=BB4_4620 Depth=3
	s_or_b64 exec, exec, s[28:29]
	v_add_f32_e32 v12, v22, v13
	v_and_b32_sdwa v19, v12, s91 dst_sel:DWORD dst_unused:UNUSED_PAD src0_sel:BYTE_3 src1_sel:DWORD
	v_and_b32_e32 v26, 0x7f800000, v12
	v_mov_b32_e32 v27, v59
	v_and_b32_e32 v58, 0x7fffff, v12
	v_or_b32_e32 v18, 0x7e, v19
	v_cmp_ne_u64_e32 vcc, s[54:55], v[26:27]
	s_and_saveexec_b64 s[28:29], vcc
	s_xor_b64 s[66:67], exec, s[28:29]
	s_cbranch_execz .LBB4_4814
; %bb.4801:                             ;   in Loop: Header=BB4_4620 Depth=3
	v_and_b32_e32 v26, 0x7fffffff, v12
	v_mov_b32_e32 v27, v59
	v_cmp_gt_u64_e32 vcc, s[56:57], v[26:27]
	s_and_saveexec_b64 s[28:29], vcc
	s_xor_b64 s[68:69], exec, s[28:29]
	s_cbranch_execz .LBB4_4813
; %bb.4802:                             ;   in Loop: Header=BB4_4620 Depth=3
	v_cmp_ne_u32_e32 vcc, 0, v12
	v_mov_b32_e32 v18, 0
	s_and_saveexec_b64 s[70:71], vcc
	s_cbranch_execz .LBB4_4812
; %bb.4803:                             ;   in Loop: Header=BB4_4620 Depth=3
	v_bfe_u32 v1, v12, 23, 8
	v_sub_u32_e32 v13, 0x79, v1
	v_cmp_gt_u32_e32 vcc, s93, v1
	v_add_u32_e32 v12, 0xffffff81, v1
	v_cndmask_b32_e32 v13, 0, v13, vcc
	v_cmp_eq_u32_e32 vcc, 0, v1
	v_mov_b32_e32 v1, 0xffffff82
	v_cndmask_b32_e32 v1, v12, v1, vcc
	v_mov_b32_e32 v12, 0x78
	v_or_b32_e32 v18, 0x800000, v58
	v_cndmask_b32_e32 v22, v13, v12, vcc
	v_cndmask_b32_e32 v58, v18, v58, vcc
	v_add_u32_e32 v12, 20, v22
	v_lshlrev_b64 v[12:13], v12, -1
	v_add_u32_e32 v18, 19, v22
	v_lshrrev_b64 v[28:29], v22, v[58:59]
	v_not_b32_e32 v13, v13
	v_not_b32_e32 v12, v12
	v_lshlrev_b64 v[26:27], v18, 1
	v_lshrrev_b32_e32 v18, 23, v28
	v_and_b32_e32 v13, 0, v13
	v_and_b32_e32 v12, v58, v12
	v_add3_u32 v25, v22, v1, v18
	v_bfe_u32 v1, v28, 20, 1
	v_add_u32_e32 v1, -1, v1
	v_cmp_eq_u64_e32 vcc, v[12:13], v[26:27]
	v_cndmask_b32_e32 v1, 0, v1, vcc
	v_add_u32_e32 v1, v1, v28
	v_and_b32_e32 v1, 0xfffff, v1
	v_add_co_u32_e32 v12, vcc, v1, v28
	v_add_u32_e32 v18, 6, v25
	v_addc_co_u32_e32 v13, vcc, 0, v29, vcc
	v_cmp_ne_u32_e32 vcc, 0, v18
                                        ; implicit-def: $vgpr22
	s_and_saveexec_b64 s[28:29], vcc
	s_xor_b64 s[28:29], exec, s[28:29]
; %bb.4804:                             ;   in Loop: Header=BB4_4620 Depth=3
	v_add_u32_e32 v1, 7, v25
	v_cmp_lt_u64_e32 vcc, s[58:59], v[12:13]
	v_cndmask_b32_e32 v22, v18, v1, vcc
	v_cndmask_b32_e64 v1, 0, 1, vcc
	v_lshrrev_b64 v[12:13], v1, v[12:13]
; %bb.4805:                             ;   in Loop: Header=BB4_4620 Depth=3
	s_andn2_saveexec_b64 s[28:29], s[28:29]
; %bb.4806:                             ;   in Loop: Header=BB4_4620 Depth=3
	v_bfe_u32 v22, v12, 23, 1
; %bb.4807:                             ;   in Loop: Header=BB4_4620 Depth=3
	s_or_b64 exec, exec, s[28:29]
	v_lshrrev_b64 v[12:13], 20, v[12:13]
	v_cmp_gt_i32_e32 vcc, 16, v22
	v_cndmask_b32_e32 v13, 0, v13, vcc
	v_cndmask_b32_e32 v12, 7, v12, vcc
	v_cmp_ne_u32_e32 vcc, 0, v22
	v_cmp_ne_u64_e64 s[28:29], 0, v[12:13]
	s_or_b64 s[28:29], vcc, s[28:29]
                                        ; implicit-def: $vgpr18
	s_and_saveexec_b64 vcc, s[28:29]
	s_xor_b64 s[28:29], exec, vcc
; %bb.4808:                             ;   in Loop: Header=BB4_4620 Depth=3
	v_min_i32_e32 v1, 15, v22
	v_lshl_or_b32 v1, v1, 3, v19
	v_and_or_b32 v18, v12, 7, v1
                                        ; implicit-def: $vgpr19
; %bb.4809:                             ;   in Loop: Header=BB4_4620 Depth=3
	s_andn2_saveexec_b64 s[28:29], s[28:29]
; %bb.4810:                             ;   in Loop: Header=BB4_4620 Depth=3
	v_mov_b32_e32 v18, v19
; %bb.4811:                             ;   in Loop: Header=BB4_4620 Depth=3
	s_or_b64 exec, exec, s[28:29]
.LBB4_4812:                             ;   in Loop: Header=BB4_4620 Depth=3
	s_or_b64 exec, exec, s[70:71]
.LBB4_4813:                             ;   in Loop: Header=BB4_4620 Depth=3
	s_andn2_saveexec_b64 s[28:29], s[68:69]
	s_or_b64 exec, exec, s[28:29]
                                        ; implicit-def: $vgpr12
.LBB4_4814:                             ;   in Loop: Header=BB4_4620 Depth=3
	s_andn2_saveexec_b64 s[28:29], s[66:67]
; %bb.4815:                             ;   in Loop: Header=BB4_4620 Depth=3
	v_or_b32_sdwa v1, v12, s92 dst_sel:DWORD dst_unused:UNUSED_PAD src0_sel:BYTE_3 src1_sel:DWORD
	v_cmp_eq_u64_e32 vcc, 0, v[58:59]
	v_cndmask_b32_e32 v18, v1, v18, vcc
; %bb.4816:                             ;   in Loop: Header=BB4_4620 Depth=3
	s_or_b64 exec, exec, s[28:29]
	v_and_b32_e32 v12, 0xff, v16
	v_cmp_ne_u16_e32 vcc, 0, v12
	v_mov_b32_e32 v13, 0
	v_mov_b32_e32 v19, 0
	s_and_saveexec_b64 s[28:29], vcc
	s_cbranch_execz .LBB4_4822
; %bb.4817:                             ;   in Loop: Header=BB4_4620 Depth=3
	v_cmp_ne_u16_e32 vcc, s91, v12
	v_bfrev_b32_e32 v19, 1
	s_and_saveexec_b64 s[66:67], vcc
	s_cbranch_execz .LBB4_4821
; %bb.4818:                             ;   in Loop: Header=BB4_4620 Depth=3
	v_and_b32_e32 v1, 0x7f, v16
	v_cmp_ne_u32_e32 vcc, s92, v1
	v_mov_b32_e32 v19, 0x7f800001
	s_and_saveexec_b64 s[68:69], vcc
	s_cbranch_execz .LBB4_4820
; %bb.4819:                             ;   in Loop: Header=BB4_4620 Depth=3
	v_and_b32_e32 v19, 7, v12
	v_ffbh_u32_e32 v25, v19
	v_min_u32_e32 v25, 32, v25
	v_subrev_u32_e32 v26, 28, v25
	v_lshlrev_b64 v[26:27], v26, v[12:13]
	v_lshrrev_b32_e32 v22, 3, v1
	v_sub_u32_e32 v12, 29, v25
	v_and_b32_e32 v25, 7, v26
	v_cmp_gt_u32_e32 vcc, 8, v1
	v_cndmask_b32_e32 v1, v22, v12, vcc
	v_cndmask_b32_e32 v12, v19, v25, vcc
	v_lshlrev_b32_e32 v16, 24, v16
	v_bfrev_b32_e32 v19, 60
	v_lshlrev_b32_e32 v12, 20, v12
	v_and_b32_e32 v16, 0x80000000, v16
	v_lshl_add_u32 v1, v1, 23, v19
	v_or3_b32 v19, v16, v1, v12
.LBB4_4820:                             ;   in Loop: Header=BB4_4620 Depth=3
	s_or_b64 exec, exec, s[68:69]
.LBB4_4821:                             ;   in Loop: Header=BB4_4620 Depth=3
	s_or_b64 exec, exec, s[66:67]
.LBB4_4822:                             ;   in Loop: Header=BB4_4620 Depth=3
	s_or_b64 exec, exec, s[28:29]
	v_and_b32_e32 v12, 0xff, v7
	v_cmp_ne_u16_e32 vcc, 0, v12
	s_and_saveexec_b64 s[28:29], vcc
	s_cbranch_execz .LBB4_4828
; %bb.4823:                             ;   in Loop: Header=BB4_4620 Depth=3
	v_cmp_ne_u16_e32 vcc, s91, v12
	v_bfrev_b32_e32 v13, 1
	s_and_saveexec_b64 s[66:67], vcc
	s_cbranch_execz .LBB4_4827
; %bb.4824:                             ;   in Loop: Header=BB4_4620 Depth=3
	v_and_b32_e32 v1, 0x7f, v7
	v_cmp_ne_u32_e32 vcc, s92, v1
	v_mov_b32_e32 v13, 0x7f800001
	s_and_saveexec_b64 s[68:69], vcc
	s_cbranch_execz .LBB4_4826
; %bb.4825:                             ;   in Loop: Header=BB4_4620 Depth=3
	v_and_b32_e32 v16, 7, v12
	v_ffbh_u32_e32 v13, v16
	v_min_u32_e32 v25, 32, v13
	v_subrev_u32_e32 v13, 28, v25
	v_lshlrev_b64 v[12:13], v13, v[12:13]
	v_lshrrev_b32_e32 v22, 3, v1
	v_sub_u32_e32 v13, 29, v25
	v_and_b32_e32 v12, 7, v12
	v_cmp_gt_u32_e32 vcc, 8, v1
	v_cndmask_b32_e32 v1, v22, v13, vcc
	v_cndmask_b32_e32 v12, v16, v12, vcc
	v_lshlrev_b32_e32 v7, 24, v7
	v_bfrev_b32_e32 v13, 60
	v_lshlrev_b32_e32 v12, 20, v12
	v_and_b32_e32 v7, 0x80000000, v7
	v_lshl_add_u32 v1, v1, 23, v13
	v_or3_b32 v13, v7, v1, v12
.LBB4_4826:                             ;   in Loop: Header=BB4_4620 Depth=3
	s_or_b64 exec, exec, s[68:69]
.LBB4_4827:                             ;   in Loop: Header=BB4_4620 Depth=3
	s_or_b64 exec, exec, s[66:67]
.LBB4_4828:                             ;   in Loop: Header=BB4_4620 Depth=3
	s_or_b64 exec, exec, s[28:29]
	v_add_f32_e32 v12, v19, v13
	v_and_b32_sdwa v16, v12, s91 dst_sel:DWORD dst_unused:UNUSED_PAD src0_sel:BYTE_3 src1_sel:DWORD
	v_and_b32_e32 v26, 0x7f800000, v12
	v_mov_b32_e32 v27, v59
	v_and_b32_e32 v58, 0x7fffff, v12
	v_or_b32_e32 v7, 0x7e, v16
	v_cmp_ne_u64_e32 vcc, s[54:55], v[26:27]
	s_and_saveexec_b64 s[28:29], vcc
	s_xor_b64 s[66:67], exec, s[28:29]
	s_cbranch_execz .LBB4_4842
; %bb.4829:                             ;   in Loop: Header=BB4_4620 Depth=3
	v_and_b32_e32 v26, 0x7fffffff, v12
	v_mov_b32_e32 v27, v59
	v_cmp_gt_u64_e32 vcc, s[56:57], v[26:27]
	s_and_saveexec_b64 s[28:29], vcc
	s_xor_b64 s[68:69], exec, s[28:29]
	s_cbranch_execz .LBB4_4841
; %bb.4830:                             ;   in Loop: Header=BB4_4620 Depth=3
	v_cmp_ne_u32_e32 vcc, 0, v12
	v_mov_b32_e32 v7, 0
	s_and_saveexec_b64 s[70:71], vcc
	s_cbranch_execz .LBB4_4840
; %bb.4831:                             ;   in Loop: Header=BB4_4620 Depth=3
	v_bfe_u32 v1, v12, 23, 8
	v_sub_u32_e32 v12, 0x79, v1
	v_cmp_gt_u32_e32 vcc, s93, v1
	v_add_u32_e32 v7, 0xffffff81, v1
	v_cndmask_b32_e32 v12, 0, v12, vcc
	v_cmp_eq_u32_e32 vcc, 0, v1
	v_mov_b32_e32 v1, 0xffffff82
	v_cndmask_b32_e32 v1, v7, v1, vcc
	v_mov_b32_e32 v7, 0x78
	v_or_b32_e32 v13, 0x800000, v58
	v_cndmask_b32_e32 v7, v12, v7, vcc
	v_cndmask_b32_e32 v58, v13, v58, vcc
	v_add_u32_e32 v12, 20, v7
	v_lshlrev_b64 v[12:13], v12, -1
	v_add_u32_e32 v19, 19, v7
	v_lshrrev_b64 v[28:29], v7, v[58:59]
	v_not_b32_e32 v13, v13
	v_not_b32_e32 v12, v12
	v_lshlrev_b64 v[26:27], v19, 1
	v_lshrrev_b32_e32 v19, 23, v28
	v_and_b32_e32 v13, 0, v13
	v_and_b32_e32 v12, v58, v12
	v_add3_u32 v22, v7, v1, v19
	v_bfe_u32 v1, v28, 20, 1
	v_add_u32_e32 v1, -1, v1
	v_cmp_eq_u64_e32 vcc, v[12:13], v[26:27]
	v_cndmask_b32_e32 v1, 0, v1, vcc
	v_add_u32_e32 v1, v1, v28
	v_and_b32_e32 v1, 0xfffff, v1
	v_add_co_u32_e32 v12, vcc, v1, v28
	v_add_u32_e32 v7, 6, v22
	v_addc_co_u32_e32 v13, vcc, 0, v29, vcc
	v_cmp_ne_u32_e32 vcc, 0, v7
                                        ; implicit-def: $vgpr19
	s_and_saveexec_b64 s[28:29], vcc
	s_xor_b64 s[28:29], exec, s[28:29]
; %bb.4832:                             ;   in Loop: Header=BB4_4620 Depth=3
	v_add_u32_e32 v1, 7, v22
	v_cmp_lt_u64_e32 vcc, s[58:59], v[12:13]
	v_cndmask_b32_e32 v19, v7, v1, vcc
	v_cndmask_b32_e64 v1, 0, 1, vcc
	v_lshrrev_b64 v[12:13], v1, v[12:13]
; %bb.4833:                             ;   in Loop: Header=BB4_4620 Depth=3
	s_andn2_saveexec_b64 s[28:29], s[28:29]
; %bb.4834:                             ;   in Loop: Header=BB4_4620 Depth=3
	v_bfe_u32 v19, v12, 23, 1
; %bb.4835:                             ;   in Loop: Header=BB4_4620 Depth=3
	s_or_b64 exec, exec, s[28:29]
	v_lshrrev_b64 v[12:13], 20, v[12:13]
	v_cmp_gt_i32_e32 vcc, 16, v19
	v_cndmask_b32_e32 v13, 0, v13, vcc
	v_cndmask_b32_e32 v12, 7, v12, vcc
	v_cmp_ne_u32_e32 vcc, 0, v19
	v_cmp_ne_u64_e64 s[28:29], 0, v[12:13]
	s_or_b64 s[28:29], vcc, s[28:29]
                                        ; implicit-def: $vgpr7
	s_and_saveexec_b64 vcc, s[28:29]
	s_xor_b64 s[28:29], exec, vcc
; %bb.4836:                             ;   in Loop: Header=BB4_4620 Depth=3
	v_min_i32_e32 v1, 15, v19
	v_lshl_or_b32 v1, v1, 3, v16
	v_and_or_b32 v7, v12, 7, v1
                                        ; implicit-def: $vgpr16
; %bb.4837:                             ;   in Loop: Header=BB4_4620 Depth=3
	s_andn2_saveexec_b64 s[28:29], s[28:29]
; %bb.4838:                             ;   in Loop: Header=BB4_4620 Depth=3
	v_mov_b32_e32 v7, v16
; %bb.4839:                             ;   in Loop: Header=BB4_4620 Depth=3
	s_or_b64 exec, exec, s[28:29]
.LBB4_4840:                             ;   in Loop: Header=BB4_4620 Depth=3
	s_or_b64 exec, exec, s[70:71]
.LBB4_4841:                             ;   in Loop: Header=BB4_4620 Depth=3
	s_andn2_saveexec_b64 s[28:29], s[68:69]
	s_or_b64 exec, exec, s[28:29]
                                        ; implicit-def: $vgpr12
.LBB4_4842:                             ;   in Loop: Header=BB4_4620 Depth=3
	s_andn2_saveexec_b64 s[28:29], s[66:67]
	s_cbranch_execz .LBB4_4619
; %bb.4843:                             ;   in Loop: Header=BB4_4620 Depth=3
	v_or_b32_sdwa v1, v12, s92 dst_sel:DWORD dst_unused:UNUSED_PAD src0_sel:BYTE_3 src1_sel:DWORD
	v_cmp_eq_u64_e32 vcc, 0, v[58:59]
	v_cndmask_b32_e32 v7, v1, v7, vcc
	s_branch .LBB4_4619
.LBB4_4844:                             ;   in Loop: Header=BB4_1895 Depth=2
	s_or_b64 exec, exec, s[36:37]
.LBB4_4845:                             ;   in Loop: Header=BB4_1895 Depth=2
	s_or_b64 exec, exec, s[34:35]
	v_lshlrev_b32_e32 v1, 9, v3
	v_cmp_ne_u32_e32 vcc, v14, v1
	s_and_saveexec_b64 s[34:35], vcc
	s_cbranch_execz .LBB4_4877
; %bb.4846:                             ;   in Loop: Header=BB4_1895 Depth=2
	v_ashrrev_i32_e32 v3, 31, v15
	v_lshrrev_b32_e32 v3, 26, v3
	v_add_u32_e32 v3, v15, v3
	v_and_b32_e32 v3, 0xffffffc0, v3
	v_sub_u32_e32 v3, v15, v3
	v_lshlrev_b32_e32 v2, 6, v2
	v_sub_u32_e32 v2, v3, v2
	v_add_u32_e32 v1, v1, v2
	v_sub_u32_e32 v2, v14, v1
	v_cmp_lt_i32_e32 vcc, 0, v2
	s_and_b64 exec, exec, vcc
	s_cbranch_execz .LBB4_4877
; %bb.4847:                             ;   in Loop: Header=BB4_1895 Depth=2
	s_trap 2
	ds_read_b128 v[4:7], v0
	v_add_u32_e32 v3, v1, v0
	ds_read_b64 v[0:1], v0
	v_ashrrev_i32_e32 v11, 31, v3
	s_mov_b64 s[36:37], 0
	s_waitcnt lgkmcnt(0)
	v_add_co_u32_e32 v4, vcc, v4, v3
	v_addc_co_u32_e32 v5, vcc, v5, v11, vcc
	v_add_co_u32_e32 v8, vcc, v6, v3
	v_addc_co_u32_e32 v9, vcc, v7, v11, vcc
	;; [unrolled: 2-line block ×3, first 2 shown]
	s_branch .LBB4_4849
.LBB4_4848:                             ;   in Loop: Header=BB4_4849 Depth=3
	s_or_b64 exec, exec, s[28:29]
	v_add_co_u32_e32 v4, vcc, v4, v1
	v_accvgpr_read_b32 v0, a35
	v_addc_co_u32_e32 v5, vcc, v5, v0, vcc
	v_add_co_u32_e32 v8, vcc, v8, v1
	v_addc_co_u32_e32 v9, vcc, v9, v0, vcc
	v_sub_u32_e32 v2, v2, v41
	v_cmp_gt_i32_e32 vcc, 1, v2
	flat_store_byte v[10:11], v3 glc slc
	s_or_b64 s[36:37], vcc, s[36:37]
	v_add_co_u32_e32 v10, vcc, v10, v1
	v_addc_co_u32_e32 v11, vcc, v11, v0, vcc
	s_andn2_b64 exec, exec, s[36:37]
	s_cbranch_execz .LBB4_4877
.LBB4_4849:                             ;   Parent Loop BB4_47 Depth=1
                                        ;     Parent Loop BB4_1895 Depth=2
                                        ; =>    This Inner Loop Header: Depth=3
	flat_load_ubyte v7, v[4:5] glc slc
	flat_load_ubyte v3, v[8:9] glc slc
	v_mov_b32_e32 v0, 0
	v_mov_b32_e32 v6, 0
	s_waitcnt vmcnt(0) lgkmcnt(0)
	v_cmp_ne_u16_e32 vcc, 0, v7
	s_and_saveexec_b64 s[28:29], vcc
	s_cbranch_execz .LBB4_4855
; %bb.4850:                             ;   in Loop: Header=BB4_4849 Depth=3
	v_cmp_ne_u16_e32 vcc, s91, v7
	v_bfrev_b32_e32 v6, 1
	s_and_saveexec_b64 s[66:67], vcc
	s_cbranch_execz .LBB4_4854
; %bb.4851:                             ;   in Loop: Header=BB4_4849 Depth=3
	v_and_b32_e32 v12, 0xffff, v7
	v_and_b32_e32 v1, 0x7f, v12
	v_cmp_ne_u32_e32 vcc, s92, v1
	v_mov_b32_e32 v6, 0x7f800001
	s_and_saveexec_b64 s[68:69], vcc
	s_cbranch_execz .LBB4_4853
; %bb.4852:                             ;   in Loop: Header=BB4_4849 Depth=3
	v_and_b32_e32 v6, 7, v12
	v_ffbh_u32_e32 v13, v6
	v_min_u32_e32 v15, 32, v13
	v_subrev_u32_e32 v13, 28, v15
	v_lshlrev_b64 v[12:13], v13, v[12:13]
	v_lshrrev_b32_e32 v14, 3, v1
	v_sub_u32_e32 v13, 29, v15
	v_and_b32_e32 v12, 7, v12
	v_cmp_gt_u32_e32 vcc, 8, v1
	v_cndmask_b32_e32 v1, v14, v13, vcc
	v_cndmask_b32_e32 v6, v6, v12, vcc
	v_lshlrev_b32_e32 v7, 24, v7
	v_bfrev_b32_e32 v12, 60
	v_lshlrev_b32_e32 v6, 20, v6
	v_and_b32_e32 v7, 0x80000000, v7
	v_lshl_add_u32 v1, v1, 23, v12
	v_or3_b32 v6, v7, v1, v6
.LBB4_4853:                             ;   in Loop: Header=BB4_4849 Depth=3
	s_or_b64 exec, exec, s[68:69]
.LBB4_4854:                             ;   in Loop: Header=BB4_4849 Depth=3
	s_or_b64 exec, exec, s[66:67]
.LBB4_4855:                             ;   in Loop: Header=BB4_4849 Depth=3
	s_or_b64 exec, exec, s[28:29]
	v_and_b32_e32 v12, 0xff, v3
	v_cmp_ne_u16_e32 vcc, 0, v12
	s_and_saveexec_b64 s[28:29], vcc
	s_cbranch_execz .LBB4_4861
; %bb.4856:                             ;   in Loop: Header=BB4_4849 Depth=3
	v_cmp_ne_u16_e32 vcc, s91, v12
	v_bfrev_b32_e32 v0, 1
	s_and_saveexec_b64 s[66:67], vcc
	s_cbranch_execz .LBB4_4860
; %bb.4857:                             ;   in Loop: Header=BB4_4849 Depth=3
	v_and_b32_e32 v1, 0x7f, v3
	v_cmp_ne_u32_e32 vcc, s92, v1
	v_mov_b32_e32 v0, 0x7f800001
	s_and_saveexec_b64 s[68:69], vcc
	s_cbranch_execz .LBB4_4859
; %bb.4858:                             ;   in Loop: Header=BB4_4849 Depth=3
	v_and_b32_e32 v0, 7, v12
	v_ffbh_u32_e32 v13, v0
	v_min_u32_e32 v14, 32, v13
	v_subrev_u32_e32 v13, 28, v14
	v_lshlrev_b64 v[12:13], v13, v[12:13]
	v_lshrrev_b32_e32 v7, 3, v1
	v_sub_u32_e32 v13, 29, v14
	v_and_b32_e32 v12, 7, v12
	v_cmp_gt_u32_e32 vcc, 8, v1
	v_lshlrev_b32_e32 v3, 24, v3
	v_cndmask_b32_e32 v1, v7, v13, vcc
	v_cndmask_b32_e32 v0, v0, v12, vcc
	v_bfrev_b32_e32 v7, 60
	v_and_b32_e32 v3, 0x80000000, v3
	v_lshlrev_b32_e32 v0, 20, v0
	v_lshl_add_u32 v1, v1, 23, v7
	v_or3_b32 v0, v3, v1, v0
.LBB4_4859:                             ;   in Loop: Header=BB4_4849 Depth=3
	s_or_b64 exec, exec, s[68:69]
.LBB4_4860:                             ;   in Loop: Header=BB4_4849 Depth=3
	s_or_b64 exec, exec, s[66:67]
.LBB4_4861:                             ;   in Loop: Header=BB4_4849 Depth=3
	s_or_b64 exec, exec, s[28:29]
	v_add_f32_e32 v6, v6, v0
	v_and_b32_sdwa v0, v6, s91 dst_sel:DWORD dst_unused:UNUSED_PAD src0_sel:BYTE_3 src1_sel:DWORD
	v_and_b32_e32 v58, 0x7fffff, v6
	v_or_b32_e32 v3, 0x7e, v0
	v_and_b32_e32 v12, 0x7f800000, v6
	v_mov_b32_e32 v13, v59
	v_cmp_ne_u64_e32 vcc, s[54:55], v[12:13]
	s_mov_b64 s[28:29], exec
	s_and_b64 vcc, s[28:29], vcc
	s_xor_b64 s[66:67], vcc, s[28:29]
	v_accvgpr_read_b32 v1, a34
	s_mov_b64 exec, vcc
	s_cbranch_execz .LBB4_4875
; %bb.4862:                             ;   in Loop: Header=BB4_4849 Depth=3
	v_and_b32_e32 v12, 0x7fffffff, v6
	v_mov_b32_e32 v13, v59
	v_cmp_gt_u64_e32 vcc, s[56:57], v[12:13]
	s_and_saveexec_b64 s[28:29], vcc
	s_xor_b64 s[68:69], exec, s[28:29]
	s_cbranch_execz .LBB4_4874
; %bb.4863:                             ;   in Loop: Header=BB4_4849 Depth=3
	v_cmp_ne_u32_e32 vcc, 0, v6
	v_mov_b32_e32 v3, 0
	s_and_saveexec_b64 s[70:71], vcc
	s_cbranch_execz .LBB4_4873
; %bb.4864:                             ;   in Loop: Header=BB4_4849 Depth=3
	v_bfe_u32 v1, v6, 23, 8
	v_sub_u32_e32 v6, 0x79, v1
	v_cmp_gt_u32_e32 vcc, s93, v1
	v_add_u32_e32 v3, 0xffffff81, v1
	v_cndmask_b32_e32 v6, 0, v6, vcc
	v_cmp_eq_u32_e32 vcc, 0, v1
	v_mov_b32_e32 v1, 0xffffff82
	v_cndmask_b32_e32 v1, v3, v1, vcc
	v_mov_b32_e32 v3, 0x78
	v_cndmask_b32_e32 v3, v6, v3, vcc
	v_or_b32_e32 v7, 0x800000, v58
	v_add_u32_e32 v6, 20, v3
	v_cndmask_b32_e32 v58, v7, v58, vcc
	v_lshlrev_b64 v[6:7], v6, -1
	v_not_b32_e32 v6, v6
	v_and_b32_e32 v12, v58, v6
	v_add_u32_e32 v6, 19, v3
	v_lshrrev_b64 v[16:17], v3, v[58:59]
	v_not_b32_e32 v7, v7
	v_lshlrev_b64 v[14:15], v6, 1
	v_lshrrev_b32_e32 v6, 23, v16
	v_and_b32_e32 v13, 0, v7
	v_add3_u32 v7, v3, v1, v6
	v_bfe_u32 v1, v16, 20, 1
	v_add_u32_e32 v1, -1, v1
	v_cmp_eq_u64_e32 vcc, v[12:13], v[14:15]
	v_cndmask_b32_e32 v1, 0, v1, vcc
	v_add_u32_e32 v1, v1, v16
	v_and_b32_e32 v1, 0xfffff, v1
	v_add_co_u32_e32 v12, vcc, v1, v16
	v_add_u32_e32 v3, 6, v7
	v_addc_co_u32_e32 v13, vcc, 0, v17, vcc
	v_cmp_ne_u32_e32 vcc, 0, v3
                                        ; implicit-def: $vgpr6
	s_and_saveexec_b64 s[28:29], vcc
	s_xor_b64 s[28:29], exec, s[28:29]
; %bb.4865:                             ;   in Loop: Header=BB4_4849 Depth=3
	v_add_u32_e32 v1, 7, v7
	v_cmp_lt_u64_e32 vcc, s[58:59], v[12:13]
	v_cndmask_b32_e32 v6, v3, v1, vcc
	v_cndmask_b32_e64 v1, 0, 1, vcc
	v_lshrrev_b64 v[12:13], v1, v[12:13]
; %bb.4866:                             ;   in Loop: Header=BB4_4849 Depth=3
	s_andn2_saveexec_b64 s[28:29], s[28:29]
; %bb.4867:                             ;   in Loop: Header=BB4_4849 Depth=3
	v_bfe_u32 v6, v12, 23, 1
; %bb.4868:                             ;   in Loop: Header=BB4_4849 Depth=3
	s_or_b64 exec, exec, s[28:29]
	v_lshrrev_b64 v[12:13], 20, v[12:13]
	v_cmp_gt_i32_e32 vcc, 16, v6
	v_cndmask_b32_e32 v13, 0, v13, vcc
	v_cndmask_b32_e32 v12, 7, v12, vcc
	v_cmp_ne_u32_e32 vcc, 0, v6
	v_cmp_ne_u64_e64 s[28:29], 0, v[12:13]
	s_or_b64 s[28:29], vcc, s[28:29]
                                        ; implicit-def: $vgpr3
	s_and_saveexec_b64 vcc, s[28:29]
	s_xor_b64 s[28:29], exec, vcc
; %bb.4869:                             ;   in Loop: Header=BB4_4849 Depth=3
	v_min_i32_e32 v1, 15, v6
	v_lshl_or_b32 v0, v1, 3, v0
	v_and_or_b32 v3, v12, 7, v0
                                        ; implicit-def: $vgpr0
; %bb.4870:                             ;   in Loop: Header=BB4_4849 Depth=3
	s_or_saveexec_b64 s[28:29], s[28:29]
	v_accvgpr_read_b32 v1, a34
	s_xor_b64 exec, exec, s[28:29]
; %bb.4871:                             ;   in Loop: Header=BB4_4849 Depth=3
	v_mov_b32_e32 v3, v0
; %bb.4872:                             ;   in Loop: Header=BB4_4849 Depth=3
	s_or_b64 exec, exec, s[28:29]
.LBB4_4873:                             ;   in Loop: Header=BB4_4849 Depth=3
	s_or_b64 exec, exec, s[70:71]
.LBB4_4874:                             ;   in Loop: Header=BB4_4849 Depth=3
	s_andn2_saveexec_b64 s[28:29], s[68:69]
	s_or_b64 exec, exec, s[28:29]
                                        ; implicit-def: $vgpr6
.LBB4_4875:                             ;   in Loop: Header=BB4_4849 Depth=3
	s_andn2_saveexec_b64 s[28:29], s[66:67]
	s_cbranch_execz .LBB4_4848
; %bb.4876:                             ;   in Loop: Header=BB4_4849 Depth=3
	v_or_b32_sdwa v0, v6, s92 dst_sel:DWORD dst_unused:UNUSED_PAD src0_sel:BYTE_3 src1_sel:DWORD
	v_cmp_eq_u64_e32 vcc, 0, v[58:59]
	v_cndmask_b32_e32 v3, v0, v3, vcc
	s_branch .LBB4_4848
.LBB4_4877:                             ;   in Loop: Header=BB4_1895 Depth=2
	s_or_b64 exec, exec, s[34:35]
	s_or_b64 exec, exec, s[30:31]
	s_and_saveexec_b64 s[28:29], s[10:11]
	s_cbranch_execnz .LBB4_1969
	s_branch .LBB4_2759
.LBB4_4878:                             ;   in Loop: Header=BB4_47 Depth=1
	s_or_b64 exec, exec, s[60:61]
	v_cmp_gt_i32_e32 vcc, 2, v0
	s_and_saveexec_b64 s[30:31], vcc
	s_cbranch_execz .LBB4_4952
.LBB4_4879:                             ;   in Loop: Header=BB4_47 Depth=1
	v_cmp_eq_u32_e64 s[28:29], 0, v0
	s_mov_b64 s[34:35], 0
	s_branch .LBB4_4881
.LBB4_4880:                             ;   in Loop: Header=BB4_4881 Depth=2
	s_or_b64 exec, exec, s[28:29]
	buffer_load_dword v1, off, s[0:3], s33 offset:152 ; 4-byte Folded Reload
	v_accvgpr_read_b32 v0, a52
	s_mov_b64 s[28:29], 0
	s_waitcnt vmcnt(0)
	v_add_u32_e32 v1, v0, v1
	buffer_store_dword v1, off, s[0:3], s33 offset:152 ; 4-byte Folded Spill
	s_andn2_b64 exec, exec, s[34:35]
	s_cbranch_execz .LBB4_4953
.LBB4_4881:                             ;   Parent Loop BB4_47 Depth=1
                                        ; =>  This Loop Header: Depth=2
                                        ;       Child Loop BB4_4887 Depth 3
                                        ;       Child Loop BB4_4917 Depth 3
	;; [unrolled: 1-line block ×3, first 2 shown]
	v_and_b32_e32 v0, 12, v60
	s_mov_b64 s[60:61], -1
	v_cmp_ne_u32_e32 vcc, 0, v0
	s_and_saveexec_b64 s[36:37], vcc
	s_cbranch_execz .LBB4_4893
; %bb.4882:                             ;   in Loop: Header=BB4_4881 Depth=2
	v_and_b32_e32 v4, 8, v60
	v_add_co_u32_e32 v0, vcc, v50, v4
	v_addc_co_u32_e32 v1, vcc, 0, v51, vcc
	v_add_co_u32_e32 v8, vcc, 2, v44
	v_addc_co_u32_e32 v9, vcc, 0, v45, vcc
	v_cmp_lt_u64_e32 vcc, v[0:1], v[8:9]
	v_mov_b32_e32 v0, 1
	s_and_saveexec_b64 s[60:61], vcc
	s_cbranch_execz .LBB4_4892
; %bb.4883:                             ;   in Loop: Header=BB4_4881 Depth=2
	s_mov_b64 s[62:63], 0
	v_mov_b32_e32 v0, 0
                                        ; implicit-def: $sgpr64_sgpr65
	s_branch .LBB4_4887
.LBB4_4884:                             ;   in Loop: Header=BB4_4887 Depth=3
	s_or_b64 exec, exec, s[72:73]
	v_mov_b32_e32 v2, 0
	s_orn2_b64 s[70:71], s[70:71], exec
.LBB4_4885:                             ;   in Loop: Header=BB4_4887 Depth=3
	s_or_b64 exec, exec, s[68:69]
	s_andn2_b64 vcc, s[64:65], exec
	s_and_b64 s[64:65], s[70:71], exec
	s_or_b64 s[64:65], vcc, s[64:65]
	v_mov_b32_e32 v0, v2
.LBB4_4886:                             ;   in Loop: Header=BB4_4887 Depth=3
	s_or_b64 exec, exec, s[66:67]
	s_waitcnt vmcnt(0) lgkmcnt(0)
	v_add_co_u32_e32 v2, vcc, v50, v4
	v_addc_co_u32_e32 v3, vcc, 0, v51, vcc
	v_cmp_ge_u64_e32 vcc, v[2:3], v[8:9]
	s_xor_b64 s[66:67], s[64:65], -1
	s_or_b64 vcc, s[66:67], vcc
	s_and_b64 vcc, exec, vcc
	s_or_b64 s[62:63], vcc, s[62:63]
	s_andn2_b64 exec, exec, s[62:63]
	s_cbranch_execz .LBB4_4891
.LBB4_4887:                             ;   Parent Loop BB4_47 Depth=1
                                        ;     Parent Loop BB4_4881 Depth=2
                                        ; =>    This Inner Loop Header: Depth=3
	s_sleep 1
	flat_load_dwordx2 v[50:51], v[48:49] glc
	v_and_b32_e32 v1, 64, v60
	v_cmp_eq_u32_e32 vcc, 0, v1
	s_andn2_b64 s[64:65], s[64:65], exec
	s_and_saveexec_b64 s[66:67], vcc
	s_cbranch_execz .LBB4_4886
; %bb.4888:                             ;   in Loop: Header=BB4_4887 Depth=3
	v_add_u32_e32 v2, 1, v0
	v_cmp_lt_i32_e32 vcc, s89, v0
	s_mov_b64 s[70:71], -1
	s_and_saveexec_b64 s[68:69], vcc
	s_cbranch_execz .LBB4_4885
; %bb.4889:                             ;   in Loop: Header=BB4_4887 Depth=3
	s_trap 2
	ds_read_b64 v[0:1], v0
	s_waitcnt vmcnt(0) lgkmcnt(0)
	flat_load_dword v0, v[0:1] glc
	s_waitcnt vmcnt(0) lgkmcnt(0)
	buffer_invl2
	buffer_wbinvl1_vol
	v_cmp_ne_u32_e32 vcc, 0, v0
	s_and_saveexec_b64 s[72:73], vcc
	s_cbranch_execz .LBB4_4884
; %bb.4890:                             ;   in Loop: Header=BB4_4887 Depth=3
	v_or_b32_e32 v60, 64, v60
	s_xor_b64 s[70:71], exec, -1
	ds_write_b32 v0, v0
	s_trap 2
	s_branch .LBB4_4884
.LBB4_4891:                             ;   in Loop: Header=BB4_4881 Depth=2
	s_or_b64 exec, exec, s[62:63]
	v_and_b32_e32 v0, 12, v60
.LBB4_4892:                             ;   in Loop: Header=BB4_4881 Depth=2
	s_or_b64 exec, exec, s[60:61]
	v_cmp_eq_u32_e32 vcc, 0, v0
	s_orn2_b64 s[60:61], vcc, exec
	;;#ASMSTART
	s_wakeup
	;;#ASMEND
.LBB4_4893:                             ;   in Loop: Header=BB4_4881 Depth=2
	s_or_b64 exec, exec, s[36:37]
	buffer_load_dword v1, off, s[0:3], s33 offset:152 ; 4-byte Folded Reload
	s_xor_b64 s[28:29], s[28:29], -1
	v_accvgpr_read_b32 v0, a51
	s_and_b64 s[28:29], exec, s[28:29]
	v_accvgpr_read_b32 v2, a52
	s_or_b64 s[34:35], s[28:29], s[34:35]
	s_xor_b64 s[28:29], s[60:61], -1
	s_waitcnt vmcnt(0)
	v_sub_u32_e32 v0, v0, v1
	v_min_i32_e32 v2, v2, v0
	v_accvgpr_write_b32 a52, v2
	s_and_saveexec_b64 s[36:37], s[28:29]
	s_cbranch_execz .LBB4_4909
; %bb.4894:                             ;   in Loop: Header=BB4_4881 Depth=2
	v_and_b32_e32 v0, 0x108, v60
	v_cmp_ne_u32_e32 vcc, s90, v0
	v_and_b32_e32 v4, 7, v44
	s_and_saveexec_b64 s[28:29], vcc
	s_xor_b64 s[28:29], exec, s[28:29]
	s_andn2_saveexec_b64 s[28:29], s[28:29]
	s_cbranch_execz .LBB4_4896
; %bb.4895:                             ;   in Loop: Header=BB4_4881 Depth=2
	v_accvgpr_read_b32 v0, a12
	v_accvgpr_read_b32 v1, a13
	;; [unrolled: 1-line block ×3, first 2 shown]
	v_mad_u64_u32 v[0:1], vcc, v4, 24, v[0:1]
	v_ashrrev_i32_e32 v3, 31, v2
	flat_store_dwordx2 v[0:1], v[2:3] offset:8
.LBB4_4896:                             ;   in Loop: Header=BB4_4881 Depth=2
	s_or_b64 exec, exec, s[28:29]
	v_and_b32_e32 v0, 0x100, v60
	v_cmp_ne_u32_e32 vcc, 0, v0
	s_mov_b64 s[28:29], -1
                                        ; implicit-def: $vgpr8_vgpr9
	s_and_saveexec_b64 s[60:61], vcc
	s_cbranch_execz .LBB4_4900
; %bb.4897:                             ;   in Loop: Header=BB4_4881 Depth=2
	v_accvgpr_read_b32 v0, a12
	v_accvgpr_read_b32 v1, a13
	v_mad_u64_u32 v[10:11], s[28:29], v4, 24, v[0:1]
	v_mov_b32_e32 v0, v11
	v_mad_u64_u32 v[0:1], s[28:29], v59, 24, v[0:1]
	v_mov_b32_e32 v11, v0
	flat_load_dword v0, v[10:11]
                                        ; implicit-def: $vgpr8_vgpr9
	s_waitcnt vmcnt(0) lgkmcnt(0)
	v_cmp_ne_u32_e32 vcc, 1, v0
	v_cmp_eq_u32_e64 s[28:29], 1, v0
	s_and_saveexec_b64 s[62:63], s[28:29]
	s_cbranch_execz .LBB4_4899
; %bb.4898:                             ;   in Loop: Header=BB4_4881 Depth=2
	flat_load_dword v8, v[10:11] offset:4 glc
	s_waitcnt vmcnt(0) lgkmcnt(0)
	v_ashrrev_i32_e32 v9, 31, v8
.LBB4_4899:                             ;   in Loop: Header=BB4_4881 Depth=2
	s_or_b64 exec, exec, s[62:63]
	s_orn2_b64 s[28:29], vcc, exec
.LBB4_4900:                             ;   in Loop: Header=BB4_4881 Depth=2
	s_or_b64 exec, exec, s[60:61]
	s_and_saveexec_b64 vcc, s[28:29]
; %bb.4901:                             ;   in Loop: Header=BB4_4881 Depth=2
	v_accvgpr_read_b32 v2, a16
	v_accvgpr_read_b32 v1, a17
	v_mul_lo_u32 v0, v59, v2
	v_mul_lo_u32 v1, v4, v1
	v_mad_u64_u32 v[8:9], s[28:29], v4, v2, 0
	v_add3_u32 v9, v9, v1, v0
; %bb.4902:                             ;   in Loop: Header=BB4_4881 Depth=2
	s_or_b64 exec, exec, vcc
	v_accvgpr_read_b32 v0, a18
	v_accvgpr_read_b32 v1, a19
	v_add_co_u32_e32 v0, vcc, v0, v8
	v_addc_co_u32_e32 v1, vcc, v1, v9, vcc
	s_trap 2
	ds_write_b64 v0, v[0:1]
	v_and_b32_e32 v0, 0x2000, v60
	v_cmp_ne_u32_e32 vcc, 0, v0
	s_and_saveexec_b64 s[28:29], vcc
	s_cbranch_execz .LBB4_4904
; %bb.4903:                             ;   in Loop: Header=BB4_4881 Depth=2
	ds_read_b64 v[0:1], v0 offset:584
	s_waitcnt lgkmcnt(0)
	v_add_co_u32_e32 v0, vcc, 1, v0
	v_addc_co_u32_e32 v1, vcc, 0, v1, vcc
	ds_write_b64 v0, v[0:1] offset:584
.LBB4_4904:                             ;   in Loop: Header=BB4_4881 Depth=2
	s_or_b64 exec, exec, s[28:29]
	v_add_co_u32_e32 v44, vcc, 2, v44
	v_addc_co_u32_e32 v45, vcc, 0, v45, vcc
	s_or_b64 exec, exec, s[36:37]
	s_and_saveexec_b64 s[28:29], s[10:11]
	s_cbranch_execnz .LBB4_4910
.LBB4_4905:                             ;   in Loop: Header=BB4_4881 Depth=2
	s_or_b64 exec, exec, s[28:29]
                                        ; implicit-def: $vgpr0
	s_and_saveexec_b64 s[28:29], s[24:25]
	s_xor_b64 s[28:29], exec, s[28:29]
	s_cbranch_execz .LBB4_4928
.LBB4_4906:                             ;   in Loop: Header=BB4_4881 Depth=2
	s_trap 2
	ds_read_b32 v1, v0
	v_accvgpr_read_b32 v0, a52
	v_cmp_lt_i32_e32 vcc, 0, v0
	v_and_b32_e32 v2, 16, v60
	v_and_b32_e32 v0, 16, v60
	s_waitcnt lgkmcnt(0)
	v_readfirstlane_b32 s9, v1
	s_cmp_eq_u32 s9, 0
	s_cselect_b64 s[36:37], -1, 0
	s_and_b64 s[36:37], vcc, s[36:37]
	v_cmp_ne_u32_e32 vcc, 0, v2
	s_and_b64 s[36:37], vcc, s[36:37]
	s_and_saveexec_b64 vcc, s[36:37]
	s_cbranch_execz .LBB4_4908
; %bb.4907:                             ;   in Loop: Header=BB4_4881 Depth=2
	v_mov_b32_e32 v0, 1
	s_waitcnt vmcnt(0)
	buffer_wbinvl1_vol
.LBB4_4908:                             ;   in Loop: Header=BB4_4881 Depth=2
	s_or_b64 exec, exec, vcc
	s_andn2_saveexec_b64 s[28:29], s[28:29]
	s_cbranch_execz .LBB4_4947
	s_branch .LBB4_4929
.LBB4_4909:                             ;   in Loop: Header=BB4_4881 Depth=2
	s_or_b64 exec, exec, s[36:37]
	s_and_saveexec_b64 s[28:29], s[10:11]
	s_cbranch_execz .LBB4_4905
.LBB4_4910:                             ;   in Loop: Header=BB4_4881 Depth=2
	s_and_saveexec_b64 vcc, s[46:47]
	s_xor_b64 s[36:37], exec, vcc
	s_cbranch_execz .LBB4_4925
; %bb.4911:                             ;   in Loop: Header=BB4_4881 Depth=2
	s_and_saveexec_b64 s[60:61], s[16:17]
	s_cbranch_execz .LBB4_4924
; %bb.4912:                             ;   in Loop: Header=BB4_4881 Depth=2
	s_mov_b64 s[64:65], exec
	v_mbcnt_lo_u32_b32 v0, s64, 0
	v_mbcnt_hi_u32_b32 v0, s65, v0
	v_cmp_eq_u32_e32 vcc, 0, v0
	s_waitcnt vmcnt(0) lgkmcnt(0)
	buffer_wbinvl1_vol
	s_and_saveexec_b64 s[62:63], vcc
	s_cbranch_execz .LBB4_4914
; %bb.4913:                             ;   in Loop: Header=BB4_4881 Depth=2
	s_bcnt1_i32_b64 s9, s[64:65]
	v_mov_b32_e32 v58, s9
	ds_add_u64 v0, v[58:59]
	s_trap 2
.LBB4_4914:                             ;   in Loop: Header=BB4_4881 Depth=2
	s_or_b64 exec, exec, s[62:63]
	s_trap 2
	ds_read_b64 v[0:1], v0
	v_accvgpr_read_b32 v2, a14
	v_accvgpr_read_b32 v3, a15
	v_add_co_u32_e32 v2, vcc, v2, v24
	v_addc_co_u32_e32 v3, vcc, 0, v3, vcc
	v_accvgpr_write_b32 a15, v3
	v_accvgpr_write_b32 a14, v2
	s_waitcnt lgkmcnt(0)
	v_cmp_lt_u64_e32 vcc, v[0:1], v[2:3]
	s_and_saveexec_b64 s[62:63], vcc
	s_cbranch_execz .LBB4_4923
; %bb.4915:                             ;   in Loop: Header=BB4_4881 Depth=2
	s_mov_b32 s9, 0
	s_mov_b64 s[64:65], 0
                                        ; implicit-def: $sgpr66_sgpr67
                                        ; implicit-def: $sgpr68_sgpr69
	s_branch .LBB4_4917
.LBB4_4916:                             ;   in Loop: Header=BB4_4917 Depth=3
	s_or_b64 exec, exec, s[72:73]
	s_and_b64 vcc, exec, vcc
	s_or_b64 s[64:65], vcc, s[64:65]
	s_andn2_b64 vcc, s[66:67], exec
	s_and_b64 s[66:67], s[68:69], exec
	s_or_b64 s[66:67], vcc, s[66:67]
	s_andn2_b64 exec, exec, s[64:65]
	s_cbranch_execz .LBB4_4921
.LBB4_4917:                             ;   Parent Loop BB4_47 Depth=1
                                        ;     Parent Loop BB4_4881 Depth=2
                                        ; =>    This Inner Loop Header: Depth=3
	s_add_i32 s9, s9, 1
	s_cmpk_lg_i32 s9, 0x2710
	s_cselect_b64 s[70:71], -1, 0
	s_and_b64 vcc, exec, s[70:71]
                                        ; implicit-def: $sgpr72_sgpr73
	s_cbranch_vccnz .LBB4_4919
; %bb.4918:                             ;   in Loop: Header=BB4_4917 Depth=3
	s_trap 2
	ds_read_b64 v[0:1], v0
	s_andn2_b64 s[70:71], s[70:71], exec
	s_mov_b32 s9, 0
	s_mov_b64 s[72:73], -1
	s_waitcnt lgkmcnt(0)
	flat_load_dword v0, v[0:1] glc
	s_waitcnt vmcnt(0) lgkmcnt(0)
	buffer_invl2
	buffer_wbinvl1_vol
	v_cmp_eq_u32_e32 vcc, 0, v0
	s_and_b64 vcc, vcc, exec
	s_or_b64 s[70:71], s[70:71], vcc
.LBB4_4919:                             ;   in Loop: Header=BB4_4917 Depth=3
	s_andn2_b64 s[68:69], s[68:69], exec
	s_and_b64 s[72:73], s[72:73], exec
	s_mov_b64 vcc, -1
	s_or_b64 s[68:69], s[68:69], s[72:73]
	s_and_saveexec_b64 s[72:73], s[70:71]
	s_cbranch_execz .LBB4_4916
; %bb.4920:                             ;   in Loop: Header=BB4_4917 Depth=3
	s_sleep 1
	s_trap 2
	ds_read_b64 v[0:1], v0
	v_accvgpr_read_b32 v2, a14
	v_accvgpr_read_b32 v3, a15
	s_andn2_b64 s[68:69], s[68:69], exec
	s_waitcnt lgkmcnt(0)
	v_cmp_ge_u64_e32 vcc, v[0:1], v[2:3]
	s_orn2_b64 vcc, vcc, exec
	s_branch .LBB4_4916
.LBB4_4921:                             ;   in Loop: Header=BB4_4881 Depth=2
	s_or_b64 exec, exec, s[64:65]
	s_and_saveexec_b64 vcc, s[66:67]
	s_xor_b64 vcc, exec, vcc
	s_cbranch_execz .LBB4_4923
; %bb.4922:                             ;   in Loop: Header=BB4_4881 Depth=2
	v_mov_b32_e32 v0, 1
	ds_write_b32 v0, v0
	s_trap 2
.LBB4_4923:                             ;   in Loop: Header=BB4_4881 Depth=2
	s_or_b64 exec, exec, s[62:63]
	;;#ASMSTART
	s_wakeup
	;;#ASMEND
.LBB4_4924:                             ;   in Loop: Header=BB4_4881 Depth=2
	s_or_b64 exec, exec, s[60:61]
.LBB4_4925:                             ;   in Loop: Header=BB4_4881 Depth=2
	s_andn2_saveexec_b64 vcc, s[36:37]
	s_cbranch_execz .LBB4_4927
; %bb.4926:                             ;   in Loop: Header=BB4_4881 Depth=2
	s_waitcnt vmcnt(0) lgkmcnt(0)
	buffer_wbinvl1_vol
	s_barrier
.LBB4_4927:                             ;   in Loop: Header=BB4_4881 Depth=2
	s_or_b64 exec, exec, vcc
	s_or_b64 exec, exec, s[28:29]
                                        ; implicit-def: $vgpr0
	s_and_saveexec_b64 s[28:29], s[24:25]
	s_xor_b64 s[28:29], exec, s[28:29]
	s_cbranch_execnz .LBB4_4906
.LBB4_4928:                             ;   in Loop: Header=BB4_4881 Depth=2
	s_andn2_saveexec_b64 s[28:29], s[28:29]
	s_cbranch_execz .LBB4_4947
.LBB4_4929:                             ;   in Loop: Header=BB4_4881 Depth=2
	s_and_saveexec_b64 vcc, s[46:47]
	s_xor_b64 s[36:37], exec, vcc
	s_cbranch_execz .LBB4_4944
; %bb.4930:                             ;   in Loop: Header=BB4_4881 Depth=2
	s_and_saveexec_b64 s[60:61], s[16:17]
	s_cbranch_execz .LBB4_4943
; %bb.4931:                             ;   in Loop: Header=BB4_4881 Depth=2
	s_mov_b64 s[64:65], exec
	v_mbcnt_lo_u32_b32 v0, s64, 0
	v_mbcnt_hi_u32_b32 v0, s65, v0
	v_cmp_eq_u32_e32 vcc, 0, v0
	;;#ASMSTART
	s_waitcnt lgkmcnt(0) vmcnt(0)
	;;#ASMEND
	s_and_saveexec_b64 s[62:63], vcc
	s_cbranch_execz .LBB4_4933
; %bb.4932:                             ;   in Loop: Header=BB4_4881 Depth=2
	s_bcnt1_i32_b64 s9, s[64:65]
	v_mov_b32_e32 v58, s9
	ds_add_u64 v0, v[58:59]
	s_trap 2
.LBB4_4933:                             ;   in Loop: Header=BB4_4881 Depth=2
	s_or_b64 exec, exec, s[62:63]
	s_trap 2
	ds_read_b64 v[0:1], v0
	v_accvgpr_read_b32 v2, a14
	v_accvgpr_read_b32 v3, a15
	v_add_co_u32_e32 v2, vcc, v2, v24
	v_addc_co_u32_e32 v3, vcc, 0, v3, vcc
	v_accvgpr_write_b32 a15, v3
	v_accvgpr_write_b32 a14, v2
	s_waitcnt lgkmcnt(0)
	v_cmp_lt_u64_e32 vcc, v[0:1], v[2:3]
	s_and_saveexec_b64 s[62:63], vcc
	s_cbranch_execz .LBB4_4942
; %bb.4934:                             ;   in Loop: Header=BB4_4881 Depth=2
	s_mov_b32 s9, 0
	s_mov_b64 s[64:65], 0
                                        ; implicit-def: $sgpr66_sgpr67
                                        ; implicit-def: $sgpr68_sgpr69
	s_branch .LBB4_4936
.LBB4_4935:                             ;   in Loop: Header=BB4_4936 Depth=3
	s_or_b64 exec, exec, s[72:73]
	s_and_b64 vcc, exec, vcc
	s_or_b64 s[64:65], vcc, s[64:65]
	s_andn2_b64 vcc, s[66:67], exec
	s_and_b64 s[66:67], s[68:69], exec
	s_or_b64 s[66:67], vcc, s[66:67]
	s_andn2_b64 exec, exec, s[64:65]
	s_cbranch_execz .LBB4_4940
.LBB4_4936:                             ;   Parent Loop BB4_47 Depth=1
                                        ;     Parent Loop BB4_4881 Depth=2
                                        ; =>    This Inner Loop Header: Depth=3
	s_add_i32 s9, s9, 1
	s_cmpk_lg_i32 s9, 0x2710
	s_cselect_b64 s[70:71], -1, 0
	s_and_b64 vcc, exec, s[70:71]
                                        ; implicit-def: $sgpr72_sgpr73
	s_cbranch_vccnz .LBB4_4938
; %bb.4937:                             ;   in Loop: Header=BB4_4936 Depth=3
	s_trap 2
	ds_read_b64 v[0:1], v0
	s_andn2_b64 s[70:71], s[70:71], exec
	s_mov_b32 s9, 0
	s_mov_b64 s[72:73], -1
	s_waitcnt vmcnt(0) lgkmcnt(0)
	flat_load_dword v0, v[0:1] glc
	s_waitcnt vmcnt(0) lgkmcnt(0)
	buffer_invl2
	buffer_wbinvl1_vol
	v_cmp_eq_u32_e32 vcc, 0, v0
	s_and_b64 vcc, vcc, exec
	s_or_b64 s[70:71], s[70:71], vcc
.LBB4_4938:                             ;   in Loop: Header=BB4_4936 Depth=3
	s_andn2_b64 s[68:69], s[68:69], exec
	s_and_b64 s[72:73], s[72:73], exec
	s_mov_b64 vcc, -1
	s_or_b64 s[68:69], s[68:69], s[72:73]
	s_and_saveexec_b64 s[72:73], s[70:71]
	s_cbranch_execz .LBB4_4935
; %bb.4939:                             ;   in Loop: Header=BB4_4936 Depth=3
	s_sleep 1
	s_trap 2
	ds_read_b64 v[0:1], v0
	v_accvgpr_read_b32 v2, a14
	v_accvgpr_read_b32 v3, a15
	s_andn2_b64 s[68:69], s[68:69], exec
	s_waitcnt lgkmcnt(0)
	v_cmp_ge_u64_e32 vcc, v[0:1], v[2:3]
	s_orn2_b64 vcc, vcc, exec
	s_branch .LBB4_4935
.LBB4_4940:                             ;   in Loop: Header=BB4_4881 Depth=2
	s_or_b64 exec, exec, s[64:65]
	s_and_saveexec_b64 vcc, s[66:67]
	s_xor_b64 vcc, exec, vcc
	s_cbranch_execz .LBB4_4942
; %bb.4941:                             ;   in Loop: Header=BB4_4881 Depth=2
	v_mov_b32_e32 v0, 1
	ds_write_b32 v0, v0
	s_trap 2
.LBB4_4942:                             ;   in Loop: Header=BB4_4881 Depth=2
	s_or_b64 exec, exec, s[62:63]
	;;#ASMSTART
	s_wakeup
	;;#ASMEND
.LBB4_4943:                             ;   in Loop: Header=BB4_4881 Depth=2
	s_or_b64 exec, exec, s[60:61]
.LBB4_4944:                             ;   in Loop: Header=BB4_4881 Depth=2
	s_andn2_saveexec_b64 vcc, s[36:37]
	s_cbranch_execz .LBB4_4946
; %bb.4945:                             ;   in Loop: Header=BB4_4881 Depth=2
	;;#ASMSTART
	s_waitcnt lgkmcnt(0) vmcnt(0)
	;;#ASMEND
	s_barrier
.LBB4_4946:                             ;   in Loop: Header=BB4_4881 Depth=2
	s_or_b64 exec, exec, vcc
	v_and_b32_e32 v0, 16, v60
.LBB4_4947:                             ;   in Loop: Header=BB4_4881 Depth=2
	s_or_b64 exec, exec, s[28:29]
	v_cmp_ne_u32_e32 vcc, 0, v0
	s_xor_b64 s[28:29], s[12:13], -1
	s_and_b64 vcc, vcc, s[28:29]
	s_and_saveexec_b64 s[28:29], vcc
	s_cbranch_execz .LBB4_4949
; %bb.4948:                             ;   in Loop: Header=BB4_4881 Depth=2
	v_accvgpr_read_b32 v0, a20
	v_accvgpr_read_b32 v1, a21
	v_mov_b32_e32 v2, 1
	flat_store_dword v[0:1], v2
.LBB4_4949:                             ;   in Loop: Header=BB4_4881 Depth=2
	s_or_b64 exec, exec, s[28:29]
	v_and_b32_e32 v0, 48, v60
	v_cmp_ne_u32_e32 vcc, 0, v0
	s_and_saveexec_b64 s[28:29], vcc
	s_cbranch_execz .LBB4_4880
; %bb.4950:                             ;   in Loop: Header=BB4_4881 Depth=2
	v_add_co_u32_e32 v44, vcc, 2, v44
	v_addc_co_u32_e32 v45, vcc, 0, v45, vcc
	flat_store_dwordx2 v[48:49], v[44:45]
	s_branch .LBB4_4880
.LBB4_4951:                             ;   in Loop: Header=BB4_47 Depth=1
	s_or_b64 exec, exec, s[62:63]
	s_or_b64 exec, exec, s[60:61]
	v_cmp_gt_i32_e32 vcc, 2, v0
	s_and_saveexec_b64 s[30:31], vcc
	s_cbranch_execnz .LBB4_4879
.LBB4_4952:                             ;   in Loop: Header=BB4_47 Depth=1
	s_or_b64 exec, exec, s[30:31]
	s_and_b64 vcc, exec, s[26:27]
	s_cbranch_vccz .LBB4_4954
	s_branch .LBB4_5210
.LBB4_4953:                             ;   in Loop: Header=BB4_47 Depth=1
	s_or_b64 exec, exec, s[34:35]
	s_or_b64 exec, exec, s[30:31]
	s_and_b64 vcc, exec, s[26:27]
	s_cbranch_vccnz .LBB4_5210
.LBB4_4954:                             ;   in Loop: Header=BB4_47 Depth=1
	s_mov_b32 s9, 1
.LBB4_4955:                             ;   Parent Loop BB4_47 Depth=1
                                        ; =>  This Loop Header: Depth=2
                                        ;       Child Loop BB4_4958 Depth 3
                                        ;         Child Loop BB4_4966 Depth 4
                                        ;         Child Loop BB4_4992 Depth 4
	;; [unrolled: 1-line block ×9, first 2 shown]
                                        ;           Child Loop BB4_5052 Depth 5
                                        ;         Child Loop BB4_5061 Depth 4
                                        ;         Child Loop BB4_5066 Depth 4
                                        ;           Child Loop BB4_5067 Depth 5
                                        ;         Child Loop BB4_5039 Depth 4
                                        ;         Child Loop BB4_5118 Depth 4
                                        ;       Child Loop BB4_5136 Depth 3
                                        ;         Child Loop BB4_5142 Depth 4
                                        ;         Child Loop BB4_5172 Depth 4
	;; [unrolled: 1-line block ×3, first 2 shown]
	s_sub_i32 s26, s82, s9
	s_cmp_le_i32 s76, s26
	s_cselect_b32 s27, s76, 0
	s_sub_i32 s26, s26, s27
	v_accvgpr_read_b32 v4, a46
	s_ashr_i32 s27, s26, 31
	v_accvgpr_read_b32 v5, a47
	v_mul_lo_u32 v0, v4, s27
	v_mul_lo_u32 v1, v5, s26
	v_mad_u64_u32 v[2:3], s[26:27], v4, s26, 0
	v_add3_u32 v3, v3, v0, v1
	v_accvgpr_read_b32 v0, a48
	v_accvgpr_read_b32 v1, a49
	v_sub_co_u32_e32 v0, vcc, v0, v2
	v_subb_co_u32_e32 v1, vcc, v1, v3, vcc
	v_cmp_lt_i64_e32 vcc, v[4:5], v[0:1]
	v_cndmask_b32_e32 v1, v0, v4, vcc
	v_max_i32_e32 v0, 0, v1
	v_add_u32_e32 v4, 31, v0
	v_lshrrev_b32_e32 v4, 1, v4
	v_and_b32_e32 v4, 0x3ffffff0, v4
	v_cmp_lt_i32_e32 vcc, 0, v1
	v_max_i32_e32 v4, s85, v4
	s_and_b64 s[26:27], s[52:53], vcc
	v_mov_b32_e32 v5, 0
	v_mov_b32_e32 v6, 0
	s_and_saveexec_b64 s[36:37], s[26:27]
	s_cbranch_execz .LBB4_5133
; %bb.4956:                             ;   in Loop: Header=BB4_4955 Depth=2
	v_accvgpr_read_b32 v1, a41
	v_add_co_u32_e32 v7, vcc, v2, v1
	v_accvgpr_read_b32 v1, a50
	v_addc_co_u32_e32 v16, vcc, v3, v1, vcc
	s_mov_b32 s39, 1
	s_mov_b64 s[62:63], -1
	s_mov_b64 s[60:61], 0
	v_mov_b32_e32 v6, 0
	s_branch .LBB4_4958
.LBB4_4957:                             ;   in Loop: Header=BB4_4958 Depth=3
	s_or_b64 exec, exec, s[26:27]
	v_add_u32_e32 v6, v4, v6
	v_cmp_ge_i32_e32 vcc, v6, v0
	s_xor_b64 s[26:27], s[62:63], -1
	s_or_b64 s[26:27], s[26:27], vcc
	s_and_b64 s[26:27], exec, s[26:27]
	s_or_b64 s[60:61], s[26:27], s[60:61]
	s_mov_b64 s[62:63], 0
	v_mov_b32_e32 v5, s39
	s_mov_b32 s39, 2
	s_andn2_b64 exec, exec, s[60:61]
	s_cbranch_execz .LBB4_5206
.LBB4_4958:                             ;   Parent Loop BB4_47 Depth=1
                                        ;     Parent Loop BB4_4955 Depth=2
                                        ; =>    This Loop Header: Depth=3
                                        ;         Child Loop BB4_4966 Depth 4
                                        ;         Child Loop BB4_4992 Depth 4
	;; [unrolled: 1-line block ×9, first 2 shown]
                                        ;           Child Loop BB4_5052 Depth 5
                                        ;         Child Loop BB4_5061 Depth 4
                                        ;         Child Loop BB4_5066 Depth 4
                                        ;           Child Loop BB4_5067 Depth 5
                                        ;         Child Loop BB4_5039 Depth 4
                                        ;         Child Loop BB4_5118 Depth 4
	s_and_saveexec_b64 s[26:27], s[4:5]
	s_cbranch_execz .LBB4_4960
; %bb.4959:                             ;   in Loop: Header=BB4_4958 Depth=3
	s_trap 2
	ds_read_b128 v[8:11], v0
	v_ashrrev_i32_e32 v5, 31, v6
	s_waitcnt lgkmcnt(0)
	v_add_co_u32_e32 v1, vcc, v8, v7
	v_addc_co_u32_e32 v3, vcc, v9, v16, vcc
	v_add_co_u32_e32 v2, vcc, v1, v6
	v_addc_co_u32_e32 v3, vcc, v3, v5, vcc
	v_add_co_u32_e32 v1, vcc, v10, v7
	ds_write_b64 v0, v[2:3]
	v_addc_co_u32_e32 v2, vcc, v11, v16, vcc
	v_add_co_u32_e32 v1, vcc, v1, v6
	v_addc_co_u32_e32 v2, vcc, v2, v5, vcc
	v_cmp_ne_u64_e32 vcc, 0, v[10:11]
	v_cndmask_b32_e32 v3, 0, v2, vcc
	v_cndmask_b32_e32 v2, 0, v1, vcc
	ds_write_b64 v0, v[2:3]
.LBB4_4960:                             ;   in Loop: Header=BB4_4958 Depth=3
	s_or_b64 exec, exec, s[26:27]
	v_and_b32_e32 v1, 12, v60
	v_cmp_ne_u32_e32 vcc, 0, v1
	s_mov_b64 s[28:29], -1
	s_and_saveexec_b64 s[26:27], vcc
	s_cbranch_execz .LBB4_4972
; %bb.4961:                             ;   in Loop: Header=BB4_4958 Depth=3
	v_and_b32_e32 v2, 8, v60
	v_add_co_u32_e32 v10, vcc, v50, v2
	v_addc_co_u32_e32 v11, vcc, 0, v51, vcc
	v_add_co_u32_e32 v8, vcc, 2, v44
	v_addc_co_u32_e32 v9, vcc, 0, v45, vcc
	v_cmp_lt_u64_e32 vcc, v[10:11], v[8:9]
	v_mov_b32_e32 v1, 1
	s_and_saveexec_b64 s[28:29], vcc
	s_cbranch_execz .LBB4_4971
; %bb.4962:                             ;   in Loop: Header=BB4_4958 Depth=3
	s_mov_b64 s[30:31], 0
	v_mov_b32_e32 v3, 0
                                        ; implicit-def: $sgpr34_sgpr35
	s_branch .LBB4_4966
.LBB4_4963:                             ;   in Loop: Header=BB4_4966 Depth=4
	s_or_b64 exec, exec, s[70:71]
	v_mov_b32_e32 v5, 0
	s_orn2_b64 s[68:69], s[68:69], exec
.LBB4_4964:                             ;   in Loop: Header=BB4_4966 Depth=4
	s_or_b64 exec, exec, s[66:67]
	s_andn2_b64 vcc, s[34:35], exec
	s_and_b64 s[34:35], s[68:69], exec
	s_or_b64 s[34:35], vcc, s[34:35]
	v_mov_b32_e32 v3, v5
.LBB4_4965:                             ;   in Loop: Header=BB4_4966 Depth=4
	s_or_b64 exec, exec, s[64:65]
	s_waitcnt vmcnt(0) lgkmcnt(0)
	v_add_co_u32_e32 v10, vcc, v50, v2
	v_addc_co_u32_e32 v11, vcc, 0, v51, vcc
	v_cmp_ge_u64_e32 vcc, v[10:11], v[8:9]
	s_xor_b64 s[64:65], s[34:35], -1
	s_or_b64 vcc, s[64:65], vcc
	s_and_b64 vcc, exec, vcc
	s_or_b64 s[30:31], vcc, s[30:31]
	s_andn2_b64 exec, exec, s[30:31]
	s_cbranch_execz .LBB4_4970
.LBB4_4966:                             ;   Parent Loop BB4_47 Depth=1
                                        ;     Parent Loop BB4_4955 Depth=2
                                        ;       Parent Loop BB4_4958 Depth=3
                                        ; =>      This Inner Loop Header: Depth=4
	s_sleep 1
	flat_load_dwordx2 v[50:51], v[48:49] glc
	v_and_b32_e32 v1, 64, v60
	v_cmp_eq_u32_e32 vcc, 0, v1
	s_andn2_b64 s[34:35], s[34:35], exec
	s_and_saveexec_b64 s[64:65], vcc
	s_cbranch_execz .LBB4_4965
; %bb.4967:                             ;   in Loop: Header=BB4_4966 Depth=4
	v_add_u32_e32 v5, 1, v3
	v_cmp_lt_i32_e32 vcc, s89, v3
	s_mov_b64 s[68:69], -1
	s_and_saveexec_b64 s[66:67], vcc
	s_cbranch_execz .LBB4_4964
; %bb.4968:                             ;   in Loop: Header=BB4_4966 Depth=4
	s_trap 2
	ds_read_b64 v[10:11], v0
	s_waitcnt vmcnt(0) lgkmcnt(0)
	flat_load_dword v1, v[10:11] glc
	s_waitcnt vmcnt(0) lgkmcnt(0)
	buffer_invl2
	buffer_wbinvl1_vol
	v_cmp_ne_u32_e32 vcc, 0, v1
	s_and_saveexec_b64 s[70:71], vcc
	s_cbranch_execz .LBB4_4963
; %bb.4969:                             ;   in Loop: Header=BB4_4966 Depth=4
	v_or_b32_e32 v60, 64, v60
	s_xor_b64 s[68:69], exec, -1
	ds_write_b32 v0, v1
	s_trap 2
	s_branch .LBB4_4963
.LBB4_4970:                             ;   in Loop: Header=BB4_4958 Depth=3
	s_or_b64 exec, exec, s[30:31]
	v_and_b32_e32 v1, 12, v60
.LBB4_4971:                             ;   in Loop: Header=BB4_4958 Depth=3
	s_or_b64 exec, exec, s[28:29]
	v_cmp_eq_u32_e32 vcc, 0, v1
	s_orn2_b64 s[28:29], vcc, exec
	;;#ASMSTART
	s_wakeup
	;;#ASMEND
.LBB4_4972:                             ;   in Loop: Header=BB4_4958 Depth=3
	s_or_b64 exec, exec, s[26:27]
	v_sub_u32_e32 v1, v0, v6
	s_xor_b64 s[26:27], s[28:29], -1
	v_min_i32_e32 v4, v4, v1
	s_and_saveexec_b64 s[28:29], s[26:27]
	s_cbranch_execz .LBB4_4984
; %bb.4973:                             ;   in Loop: Header=BB4_4958 Depth=3
	v_and_b32_e32 v1, 0x108, v60
	v_cmp_ne_u32_e32 vcc, s90, v1
	v_and_b32_e32 v2, 7, v44
	s_and_saveexec_b64 s[26:27], vcc
	s_xor_b64 s[26:27], exec, s[26:27]
	s_andn2_saveexec_b64 s[26:27], s[26:27]
	s_cbranch_execz .LBB4_4975
; %bb.4974:                             ;   in Loop: Header=BB4_4958 Depth=3
	v_accvgpr_read_b32 v8, a12
	v_accvgpr_read_b32 v9, a13
	v_mad_u64_u32 v[8:9], vcc, v2, 24, v[8:9]
	v_ashrrev_i32_e32 v5, 31, v4
	flat_store_dwordx2 v[8:9], v[4:5] offset:8
.LBB4_4975:                             ;   in Loop: Header=BB4_4958 Depth=3
	s_or_b64 exec, exec, s[26:27]
	v_and_b32_e32 v1, 0x100, v60
	v_cmp_ne_u32_e32 vcc, 0, v1
	s_mov_b64 s[26:27], -1
                                        ; implicit-def: $vgpr8_vgpr9
	s_and_saveexec_b64 s[30:31], vcc
	s_cbranch_execz .LBB4_4979
; %bb.4976:                             ;   in Loop: Header=BB4_4958 Depth=3
	v_accvgpr_read_b32 v8, a12
	v_accvgpr_read_b32 v9, a13
	v_mad_u64_u32 v[10:11], s[26:27], v2, 24, v[8:9]
	v_mov_b32_e32 v8, v11
	v_mad_u64_u32 v[8:9], s[26:27], v59, 24, v[8:9]
	v_mov_b32_e32 v11, v8
	flat_load_dword v1, v[10:11]
                                        ; implicit-def: $vgpr8_vgpr9
	s_waitcnt vmcnt(0) lgkmcnt(0)
	v_cmp_ne_u32_e32 vcc, 1, v1
	v_cmp_eq_u32_e64 s[26:27], 1, v1
	s_and_saveexec_b64 s[34:35], s[26:27]
	s_cbranch_execz .LBB4_4978
; %bb.4977:                             ;   in Loop: Header=BB4_4958 Depth=3
	flat_load_dword v8, v[10:11] offset:4 glc
	s_waitcnt vmcnt(0) lgkmcnt(0)
	v_ashrrev_i32_e32 v9, 31, v8
.LBB4_4978:                             ;   in Loop: Header=BB4_4958 Depth=3
	s_or_b64 exec, exec, s[34:35]
	s_orn2_b64 s[26:27], vcc, exec
.LBB4_4979:                             ;   in Loop: Header=BB4_4958 Depth=3
	s_or_b64 exec, exec, s[30:31]
	s_and_saveexec_b64 vcc, s[26:27]
; %bb.4980:                             ;   in Loop: Header=BB4_4958 Depth=3
	v_accvgpr_read_b32 v8, a16
	v_accvgpr_read_b32 v3, a17
	v_mul_lo_u32 v1, v59, v8
	v_mul_lo_u32 v3, v2, v3
	v_mad_u64_u32 v[8:9], s[26:27], v2, v8, 0
	v_add3_u32 v9, v9, v3, v1
; %bb.4981:                             ;   in Loop: Header=BB4_4958 Depth=3
	s_or_b64 exec, exec, vcc
	v_accvgpr_read_b32 v2, a18
	v_accvgpr_read_b32 v3, a19
	v_add_co_u32_e32 v2, vcc, v2, v8
	v_addc_co_u32_e32 v3, vcc, v3, v9, vcc
	v_and_b32_e32 v1, 0x2000, v60
	v_cmp_ne_u32_e32 vcc, 0, v1
	s_trap 2
	ds_write_b64 v0, v[2:3]
	s_and_saveexec_b64 s[26:27], vcc
	s_cbranch_execz .LBB4_4983
; %bb.4982:                             ;   in Loop: Header=BB4_4958 Depth=3
	ds_read_b64 v[2:3], v0 offset:584
	s_waitcnt lgkmcnt(0)
	v_add_co_u32_e32 v2, vcc, 1, v2
	v_addc_co_u32_e32 v3, vcc, 0, v3, vcc
	ds_write_b64 v0, v[2:3] offset:584
.LBB4_4983:                             ;   in Loop: Header=BB4_4958 Depth=3
	s_or_b64 exec, exec, s[26:27]
	v_add_co_u32_e32 v44, vcc, 2, v44
	v_addc_co_u32_e32 v45, vcc, 0, v45, vcc
.LBB4_4984:                             ;   in Loop: Header=BB4_4958 Depth=3
	s_or_b64 exec, exec, s[28:29]
	s_and_saveexec_b64 s[26:27], s[10:11]
	s_cbranch_execz .LBB4_5003
; %bb.4985:                             ;   in Loop: Header=BB4_4958 Depth=3
	s_and_saveexec_b64 s[28:29], s[46:47]
	s_xor_b64 s[28:29], exec, s[28:29]
	s_cbranch_execz .LBB4_5000
; %bb.4986:                             ;   in Loop: Header=BB4_4958 Depth=3
	s_and_saveexec_b64 s[30:31], s[16:17]
	s_cbranch_execz .LBB4_4999
; %bb.4987:                             ;   in Loop: Header=BB4_4958 Depth=3
	s_mov_b64 s[64:65], exec
	v_mbcnt_lo_u32_b32 v1, s64, 0
	v_mbcnt_hi_u32_b32 v1, s65, v1
	v_cmp_eq_u32_e32 vcc, 0, v1
	s_waitcnt vmcnt(0) lgkmcnt(0)
	buffer_wbinvl1_vol
	s_and_saveexec_b64 s[34:35], vcc
	s_cbranch_execz .LBB4_4989
; %bb.4988:                             ;   in Loop: Header=BB4_4958 Depth=3
	s_bcnt1_i32_b64 vcc_lo, s[64:65]
	v_mov_b32_e32 v58, vcc_lo
	ds_add_u64 v0, v[58:59]
	s_trap 2
.LBB4_4989:                             ;   in Loop: Header=BB4_4958 Depth=3
	s_or_b64 exec, exec, s[34:35]
	s_trap 2
	ds_read_b64 v[2:3], v0
	v_accvgpr_read_b32 v8, a14
	v_accvgpr_read_b32 v9, a15
	v_add_co_u32_e32 v8, vcc, v8, v24
	v_addc_co_u32_e32 v9, vcc, 0, v9, vcc
	v_accvgpr_write_b32 a15, v9
	v_accvgpr_write_b32 a14, v8
	s_waitcnt lgkmcnt(0)
	v_cmp_lt_u64_e32 vcc, v[2:3], v[8:9]
	s_and_saveexec_b64 s[34:35], vcc
	s_cbranch_execz .LBB4_4998
; %bb.4990:                             ;   in Loop: Header=BB4_4958 Depth=3
	s_mov_b32 s74, 0
	s_mov_b64 s[64:65], 0
                                        ; implicit-def: $sgpr66_sgpr67
                                        ; implicit-def: $sgpr68_sgpr69
	s_branch .LBB4_4992
.LBB4_4991:                             ;   in Loop: Header=BB4_4992 Depth=4
	s_or_b64 exec, exec, s[72:73]
	s_and_b64 vcc, exec, vcc
	s_or_b64 s[64:65], vcc, s[64:65]
	s_andn2_b64 vcc, s[66:67], exec
	s_and_b64 s[66:67], s[68:69], exec
	s_or_b64 s[66:67], vcc, s[66:67]
	s_andn2_b64 exec, exec, s[64:65]
	s_cbranch_execz .LBB4_4996
.LBB4_4992:                             ;   Parent Loop BB4_47 Depth=1
                                        ;     Parent Loop BB4_4955 Depth=2
                                        ;       Parent Loop BB4_4958 Depth=3
                                        ; =>      This Inner Loop Header: Depth=4
	s_add_i32 s74, s74, 1
	s_cmpk_lg_i32 s74, 0x2710
	s_cselect_b64 s[70:71], -1, 0
	s_and_b64 vcc, exec, s[70:71]
                                        ; implicit-def: $sgpr72_sgpr73
	s_cbranch_vccnz .LBB4_4994
; %bb.4993:                             ;   in Loop: Header=BB4_4992 Depth=4
	s_trap 2
	ds_read_b64 v[2:3], v0
	s_andn2_b64 s[70:71], s[70:71], exec
	s_mov_b32 s74, 0
	s_mov_b64 s[72:73], -1
	s_waitcnt lgkmcnt(0)
	flat_load_dword v1, v[2:3] glc
	s_waitcnt vmcnt(0) lgkmcnt(0)
	buffer_invl2
	buffer_wbinvl1_vol
	v_cmp_eq_u32_e32 vcc, 0, v1
	s_and_b64 vcc, vcc, exec
	s_or_b64 s[70:71], s[70:71], vcc
.LBB4_4994:                             ;   in Loop: Header=BB4_4992 Depth=4
	s_andn2_b64 s[68:69], s[68:69], exec
	s_and_b64 s[72:73], s[72:73], exec
	s_mov_b64 vcc, -1
	s_or_b64 s[68:69], s[68:69], s[72:73]
	s_and_saveexec_b64 s[72:73], s[70:71]
	s_cbranch_execz .LBB4_4991
; %bb.4995:                             ;   in Loop: Header=BB4_4992 Depth=4
	s_sleep 1
	s_trap 2
	ds_read_b64 v[2:3], v0
	v_accvgpr_read_b32 v8, a14
	v_accvgpr_read_b32 v9, a15
	s_andn2_b64 s[68:69], s[68:69], exec
	s_waitcnt lgkmcnt(0)
	v_cmp_ge_u64_e32 vcc, v[2:3], v[8:9]
	s_orn2_b64 vcc, vcc, exec
	s_branch .LBB4_4991
.LBB4_4996:                             ;   in Loop: Header=BB4_4958 Depth=3
	s_or_b64 exec, exec, s[64:65]
	s_and_saveexec_b64 vcc, s[66:67]
	s_xor_b64 vcc, exec, vcc
	s_cbranch_execz .LBB4_4998
; %bb.4997:                             ;   in Loop: Header=BB4_4958 Depth=3
	v_mov_b32_e32 v1, 1
	ds_write_b32 v0, v1
	s_trap 2
.LBB4_4998:                             ;   in Loop: Header=BB4_4958 Depth=3
	s_or_b64 exec, exec, s[34:35]
	;;#ASMSTART
	s_wakeup
	;;#ASMEND
.LBB4_4999:                             ;   in Loop: Header=BB4_4958 Depth=3
	s_or_b64 exec, exec, s[30:31]
.LBB4_5000:                             ;   in Loop: Header=BB4_4958 Depth=3
	s_andn2_saveexec_b64 s[28:29], s[28:29]
	s_cbranch_execz .LBB4_5002
; %bb.5001:                             ;   in Loop: Header=BB4_4958 Depth=3
	s_waitcnt vmcnt(0) lgkmcnt(0)
	buffer_wbinvl1_vol
	s_barrier
.LBB4_5002:                             ;   in Loop: Header=BB4_4958 Depth=3
	s_or_b64 exec, exec, s[28:29]
.LBB4_5003:                             ;   in Loop: Header=BB4_4958 Depth=3
	s_or_b64 exec, exec, s[26:27]
	s_trap 2
	ds_read_b32 v2, v0
	v_and_b32_e32 v1, 0x4000, v60
	v_cmp_ne_u32_e32 vcc, 0, v1
	s_xor_b64 s[26:27], s[6:7], -1
	s_and_b64 s[28:29], s[26:27], vcc
	s_and_saveexec_b64 s[26:27], s[28:29]
	s_cbranch_execz .LBB4_5022
; %bb.5004:                             ;   in Loop: Header=BB4_4958 Depth=3
	s_and_saveexec_b64 s[28:29], s[46:47]
	s_xor_b64 s[28:29], exec, s[28:29]
	s_cbranch_execz .LBB4_5019
; %bb.5005:                             ;   in Loop: Header=BB4_4958 Depth=3
	s_and_saveexec_b64 s[30:31], s[16:17]
	s_cbranch_execz .LBB4_5018
; %bb.5006:                             ;   in Loop: Header=BB4_4958 Depth=3
	s_mov_b64 s[64:65], exec
	v_mbcnt_lo_u32_b32 v1, s64, 0
	v_mbcnt_hi_u32_b32 v1, s65, v1
	v_cmp_eq_u32_e32 vcc, 0, v1
	s_waitcnt vmcnt(0) lgkmcnt(0)
	buffer_wbinvl1_vol
	s_and_saveexec_b64 s[34:35], vcc
	s_cbranch_execz .LBB4_5008
; %bb.5007:                             ;   in Loop: Header=BB4_4958 Depth=3
	s_bcnt1_i32_b64 vcc_lo, s[64:65]
	v_mov_b32_e32 v58, vcc_lo
	ds_add_u64 v0, v[58:59]
	s_trap 2
.LBB4_5008:                             ;   in Loop: Header=BB4_4958 Depth=3
	s_or_b64 exec, exec, s[34:35]
	s_trap 2
	ds_read_b64 v[8:9], v0
	v_accvgpr_read_b32 v10, a14
	v_accvgpr_read_b32 v11, a15
	v_add_co_u32_e32 v10, vcc, v10, v24
	v_addc_co_u32_e32 v11, vcc, 0, v11, vcc
	v_accvgpr_write_b32 a15, v11
	v_accvgpr_write_b32 a14, v10
	s_waitcnt lgkmcnt(0)
	v_cmp_lt_u64_e32 vcc, v[8:9], v[10:11]
	s_and_saveexec_b64 s[34:35], vcc
	s_cbranch_execz .LBB4_5017
; %bb.5009:                             ;   in Loop: Header=BB4_4958 Depth=3
	s_mov_b32 s74, 0
	s_mov_b64 s[64:65], 0
                                        ; implicit-def: $sgpr66_sgpr67
                                        ; implicit-def: $sgpr68_sgpr69
	s_branch .LBB4_5011
.LBB4_5010:                             ;   in Loop: Header=BB4_5011 Depth=4
	s_or_b64 exec, exec, s[72:73]
	s_and_b64 vcc, exec, vcc
	s_or_b64 s[64:65], vcc, s[64:65]
	s_andn2_b64 vcc, s[66:67], exec
	s_and_b64 s[66:67], s[68:69], exec
	s_or_b64 s[66:67], vcc, s[66:67]
	s_andn2_b64 exec, exec, s[64:65]
	s_cbranch_execz .LBB4_5015
.LBB4_5011:                             ;   Parent Loop BB4_47 Depth=1
                                        ;     Parent Loop BB4_4955 Depth=2
                                        ;       Parent Loop BB4_4958 Depth=3
                                        ; =>      This Inner Loop Header: Depth=4
	s_add_i32 s74, s74, 1
	s_cmpk_lg_i32 s74, 0x2710
	s_cselect_b64 s[70:71], -1, 0
	s_and_b64 vcc, exec, s[70:71]
                                        ; implicit-def: $sgpr72_sgpr73
	s_cbranch_vccnz .LBB4_5013
; %bb.5012:                             ;   in Loop: Header=BB4_5011 Depth=4
	s_trap 2
	ds_read_b64 v[8:9], v0
	s_andn2_b64 s[70:71], s[70:71], exec
	s_mov_b32 s74, 0
	s_mov_b64 s[72:73], -1
	s_waitcnt lgkmcnt(0)
	flat_load_dword v1, v[8:9] glc
	s_waitcnt vmcnt(0) lgkmcnt(0)
	buffer_invl2
	buffer_wbinvl1_vol
	v_cmp_eq_u32_e32 vcc, 0, v1
	s_and_b64 vcc, vcc, exec
	s_or_b64 s[70:71], s[70:71], vcc
.LBB4_5013:                             ;   in Loop: Header=BB4_5011 Depth=4
	s_andn2_b64 s[68:69], s[68:69], exec
	s_and_b64 s[72:73], s[72:73], exec
	s_mov_b64 vcc, -1
	s_or_b64 s[68:69], s[68:69], s[72:73]
	s_and_saveexec_b64 s[72:73], s[70:71]
	s_cbranch_execz .LBB4_5010
; %bb.5014:                             ;   in Loop: Header=BB4_5011 Depth=4
	s_sleep 1
	s_trap 2
	ds_read_b64 v[8:9], v0
	v_accvgpr_read_b32 v10, a14
	v_accvgpr_read_b32 v11, a15
	s_andn2_b64 s[68:69], s[68:69], exec
	s_waitcnt lgkmcnt(0)
	v_cmp_ge_u64_e32 vcc, v[8:9], v[10:11]
	s_orn2_b64 vcc, vcc, exec
	s_branch .LBB4_5010
.LBB4_5015:                             ;   in Loop: Header=BB4_4958 Depth=3
	s_or_b64 exec, exec, s[64:65]
	s_and_saveexec_b64 vcc, s[66:67]
	s_xor_b64 vcc, exec, vcc
	s_cbranch_execz .LBB4_5017
; %bb.5016:                             ;   in Loop: Header=BB4_4958 Depth=3
	v_mov_b32_e32 v1, 1
	ds_write_b32 v0, v1
	s_trap 2
.LBB4_5017:                             ;   in Loop: Header=BB4_4958 Depth=3
	s_or_b64 exec, exec, s[34:35]
	;;#ASMSTART
	s_wakeup
	;;#ASMEND
.LBB4_5018:                             ;   in Loop: Header=BB4_4958 Depth=3
	s_or_b64 exec, exec, s[30:31]
.LBB4_5019:                             ;   in Loop: Header=BB4_4958 Depth=3
	s_andn2_saveexec_b64 s[28:29], s[28:29]
	s_cbranch_execz .LBB4_5021
; %bb.5020:                             ;   in Loop: Header=BB4_4958 Depth=3
	s_waitcnt vmcnt(0) lgkmcnt(0)
	buffer_wbinvl1_vol
	s_barrier
.LBB4_5021:                             ;   in Loop: Header=BB4_4958 Depth=3
	s_or_b64 exec, exec, s[28:29]
.LBB4_5022:                             ;   in Loop: Header=BB4_4958 Depth=3
	s_or_b64 exec, exec, s[26:27]
	s_trap 2
	ds_read_b64 v[8:9], v0
	v_mov_b32_e32 v17, 0
	s_waitcnt lgkmcnt(0)
	v_readfirstlane_b32 s26, v8
	v_readfirstlane_b32 s27, v9
	s_cmp_eq_u64 s[26:27], 0
	s_cselect_b64 s[26:27], -1, 0
	s_or_b64 s[26:27], s[26:27], s[26:27]
	s_and_b64 vcc, exec, s[26:27]
	s_cbranch_vccnz .LBB4_5031
; %bb.5023:                             ;   in Loop: Header=BB4_4958 Depth=3
	s_trap 2
	ds_read_b64 v[8:9], v0
	v_cmp_eq_u32_e64 s[26:27], 0, v2
	v_cndmask_b32_e64 v17, 0, v4, s[26:27]
	s_waitcnt lgkmcnt(0)
	v_cmp_ne_u64_e32 vcc, 0, v[8:9]
	s_cbranch_vccz .LBB4_5043
; %bb.5024:                             ;   in Loop: Header=BB4_4958 Depth=3
	s_mov_b64 s[28:29], -1
	s_and_saveexec_b64 s[26:27], s[20:21]
	s_cbranch_execz .LBB4_5026
; %bb.5025:                             ;   in Loop: Header=BB4_4958 Depth=3
	ds_read_b32 v1, v0 offset:720
	s_waitcnt lgkmcnt(0)
	v_and_b32_e32 v1, 15, v1
	v_cmp_eq_u32_e32 vcc, 0, v1
	s_orn2_b64 s[28:29], vcc, exec
.LBB4_5026:                             ;   in Loop: Header=BB4_4958 Depth=3
	s_or_b64 exec, exec, s[26:27]
	s_and_saveexec_b64 s[26:27], s[22:23]
	s_cbranch_execz .LBB4_5028
; %bb.5027:                             ;   in Loop: Header=BB4_4958 Depth=3
	ds_read_b32 v1, v0 offset:784
	s_waitcnt lgkmcnt(0)
	v_and_b32_e32 v1, 15, v1
	v_cmp_eq_u32_e32 vcc, 0, v1
	s_and_b64 vcc, s[28:29], vcc
	s_andn2_b64 s[28:29], s[28:29], exec
	s_and_b64 vcc, vcc, exec
	s_or_b64 s[28:29], s[28:29], vcc
.LBB4_5028:                             ;   in Loop: Header=BB4_4958 Depth=3
	s_or_b64 exec, exec, s[26:27]
	s_xor_b64 s[28:29], s[28:29], -1
	v_cndmask_b32_e64 v1, 0, 1, s[28:29]
	s_mov_b64 s[26:27], -1
	;;#ASMSTART
	;;#ASMEND
	v_cmp_ne_u32_e32 vcc, 0, v1
	v_mov_b32_e32 v5, 0
	v_mov_b32_e32 v14, v17
	;; [unrolled: 1-line block ×3, first 2 shown]
	v_accvgpr_read_b32 v2, a29
	s_cbranch_vccz .LBB4_5044
; %bb.5029:                             ;   in Loop: Header=BB4_4958 Depth=3
	s_and_saveexec_b64 s[30:31], s[26:27]
	s_cbranch_execnz .LBB4_5059
.LBB4_5030:                             ;   in Loop: Header=BB4_4958 Depth=3
	s_or_b64 exec, exec, s[30:31]
.LBB4_5031:                             ;   in Loop: Header=BB4_4958 Depth=3
	s_and_saveexec_b64 s[26:27], s[10:11]
	s_cbranch_execz .LBB4_5077
.LBB4_5032:                             ;   in Loop: Header=BB4_4958 Depth=3
	s_and_saveexec_b64 s[28:29], s[46:47]
	s_xor_b64 s[28:29], exec, s[28:29]
	s_cbranch_execz .LBB4_5107
; %bb.5033:                             ;   in Loop: Header=BB4_4958 Depth=3
	s_and_saveexec_b64 s[30:31], s[16:17]
	s_cbranch_execz .LBB4_5106
; %bb.5034:                             ;   in Loop: Header=BB4_4958 Depth=3
	s_mov_b64 s[64:65], exec
	v_mbcnt_lo_u32_b32 v1, s64, 0
	v_mbcnt_hi_u32_b32 v1, s65, v1
	v_cmp_eq_u32_e32 vcc, 0, v1
	s_waitcnt vmcnt(0) lgkmcnt(0)
	buffer_wbinvl1_vol
	s_and_saveexec_b64 s[34:35], vcc
	s_cbranch_execz .LBB4_5036
; %bb.5035:                             ;   in Loop: Header=BB4_4958 Depth=3
	s_bcnt1_i32_b64 vcc_lo, s[64:65]
	v_mov_b32_e32 v58, vcc_lo
	ds_add_u64 v0, v[58:59]
	s_trap 2
.LBB4_5036:                             ;   in Loop: Header=BB4_4958 Depth=3
	s_or_b64 exec, exec, s[34:35]
	s_trap 2
	ds_read_b64 v[2:3], v0
	v_accvgpr_read_b32 v8, a14
	v_accvgpr_read_b32 v9, a15
	v_add_co_u32_e32 v8, vcc, v8, v24
	v_addc_co_u32_e32 v9, vcc, 0, v9, vcc
	v_accvgpr_write_b32 a15, v9
	v_accvgpr_write_b32 a14, v8
	s_waitcnt lgkmcnt(0)
	v_cmp_lt_u64_e32 vcc, v[2:3], v[8:9]
	s_and_saveexec_b64 s[34:35], vcc
	s_cbranch_execz .LBB4_5105
; %bb.5037:                             ;   in Loop: Header=BB4_4958 Depth=3
	s_mov_b32 s74, 0
	s_mov_b64 s[64:65], 0
                                        ; implicit-def: $sgpr66_sgpr67
                                        ; implicit-def: $sgpr68_sgpr69
	s_branch .LBB4_5039
.LBB4_5038:                             ;   in Loop: Header=BB4_5039 Depth=4
	s_or_b64 exec, exec, s[72:73]
	s_and_b64 vcc, exec, vcc
	s_or_b64 s[64:65], vcc, s[64:65]
	s_andn2_b64 vcc, s[66:67], exec
	s_and_b64 s[66:67], s[68:69], exec
	s_or_b64 s[66:67], vcc, s[66:67]
	s_andn2_b64 exec, exec, s[64:65]
	s_cbranch_execz .LBB4_5103
.LBB4_5039:                             ;   Parent Loop BB4_47 Depth=1
                                        ;     Parent Loop BB4_4955 Depth=2
                                        ;       Parent Loop BB4_4958 Depth=3
                                        ; =>      This Inner Loop Header: Depth=4
	s_add_i32 s74, s74, 1
	s_cmpk_lg_i32 s74, 0x2710
	s_cselect_b64 s[70:71], -1, 0
	s_and_b64 vcc, exec, s[70:71]
                                        ; implicit-def: $sgpr72_sgpr73
	s_cbranch_vccnz .LBB4_5041
; %bb.5040:                             ;   in Loop: Header=BB4_5039 Depth=4
	s_trap 2
	ds_read_b64 v[2:3], v0
	s_andn2_b64 s[70:71], s[70:71], exec
	s_mov_b32 s74, 0
	s_mov_b64 s[72:73], -1
	s_waitcnt lgkmcnt(0)
	flat_load_dword v1, v[2:3] glc
	s_waitcnt vmcnt(0) lgkmcnt(0)
	buffer_invl2
	buffer_wbinvl1_vol
	v_cmp_eq_u32_e32 vcc, 0, v1
	s_and_b64 vcc, vcc, exec
	s_or_b64 s[70:71], s[70:71], vcc
.LBB4_5041:                             ;   in Loop: Header=BB4_5039 Depth=4
	s_andn2_b64 s[68:69], s[68:69], exec
	s_and_b64 s[72:73], s[72:73], exec
	s_mov_b64 vcc, -1
	s_or_b64 s[68:69], s[68:69], s[72:73]
	s_and_saveexec_b64 s[72:73], s[70:71]
	s_cbranch_execz .LBB4_5038
; %bb.5042:                             ;   in Loop: Header=BB4_5039 Depth=4
	s_sleep 1
	s_trap 2
	ds_read_b64 v[2:3], v0
	v_accvgpr_read_b32 v8, a14
	v_accvgpr_read_b32 v9, a15
	s_andn2_b64 s[68:69], s[68:69], exec
	s_waitcnt lgkmcnt(0)
	v_cmp_ge_u64_e32 vcc, v[2:3], v[8:9]
	s_orn2_b64 vcc, vcc, exec
	s_branch .LBB4_5038
.LBB4_5043:                             ;   in Loop: Header=BB4_4958 Depth=3
	s_cbranch_execnz .LBB4_5070
	s_branch .LBB4_5031
.LBB4_5044:                             ;   in Loop: Header=BB4_4958 Depth=3
	v_ashrrev_i32_e32 v1, 31, v17
	v_lshrrev_b32_e32 v1, 21, v1
	v_add_u32_e32 v1, v17, v1
	v_ashrrev_i32_e32 v5, 11, v1
	v_accvgpr_read_b32 v1, a29
	v_sub_u32_e32 v12, v5, v1
	v_cmp_lt_i32_e32 vcc, 0, v12
	s_and_saveexec_b64 s[26:27], vcc
	s_cbranch_execz .LBB4_5048
; %bb.5045:                             ;   in Loop: Header=BB4_4958 Depth=3
	s_trap 2
	ds_read_b64 v[2:3], v0
	ds_read_b128 v[8:11], v0
	v_accvgpr_read_b32 v14, a42
	v_accvgpr_read_b32 v15, a43
	s_mov_b64 s[28:29], 0
	s_waitcnt lgkmcnt(0)
	v_add_co_u32_e32 v2, vcc, v2, v14
	v_addc_co_u32_e32 v3, vcc, v3, v15, vcc
	v_add_co_u32_e32 v8, vcc, v8, v14
	v_addc_co_u32_e32 v9, vcc, v9, v15, vcc
	;; [unrolled: 2-line block ×3, first 2 shown]
	v_mov_b32_e32 v14, v24
	v_accvgpr_read_b32 v1, a31
	v_accvgpr_read_b32 v13, a32
.LBB4_5046:                             ;   Parent Loop BB4_47 Depth=1
                                        ;     Parent Loop BB4_4955 Depth=2
                                        ;       Parent Loop BB4_4958 Depth=3
                                        ; =>      This Inner Loop Header: Depth=4
	global_load_dwordx4 v[18:21], v[2:3], off glc slc
	global_load_dwordx4 v[22:25], v[2:3], off offset:1024 glc slc
	v_add_co_u32_e32 v2, vcc, v2, v1
	v_addc_co_u32_e32 v3, vcc, v3, v13, vcc
	v_sub_u32_e32 v12, v12, v14
	v_cmp_gt_i32_e32 vcc, 1, v12
	s_or_b64 s[28:29], vcc, s[28:29]
	s_waitcnt vmcnt(0)
	global_store_dwordx4 v[8:9], v[18:21], off glc slc
	global_store_dwordx4 v[8:9], v[22:25], off offset:1024 glc slc
	global_store_dwordx4 v[10:11], v[18:21], off glc slc
	global_store_dwordx4 v[10:11], v[22:25], off offset:1024 glc slc
	v_add_co_u32_e32 v8, vcc, v8, v1
	v_addc_co_u32_e32 v9, vcc, v9, v13, vcc
	v_add_co_u32_e32 v10, vcc, v10, v1
	v_addc_co_u32_e32 v11, vcc, v11, v13, vcc
	s_andn2_b64 exec, exec, s[28:29]
	s_cbranch_execnz .LBB4_5046
; %bb.5047:                             ;   in Loop: Header=BB4_4958 Depth=3
	s_or_b64 exec, exec, s[28:29]
	v_mov_b32_e32 v24, v14
.LBB4_5048:                             ;   in Loop: Header=BB4_4958 Depth=3
	s_or_b64 exec, exec, s[26:27]
	v_lshlrev_b32_e32 v18, 11, v5
	v_cmp_ne_u32_e32 vcc, v17, v18
	s_mov_b64 s[26:27], 0
	v_mov_b32_e32 v5, 0
                                        ; implicit-def: $vgpr14
                                        ; implicit-def: $vgpr15
                                        ; implicit-def: $vgpr2
	s_and_saveexec_b64 s[64:65], vcc
	s_cbranch_execz .LBB4_5058
; %bb.5049:                             ;   in Loop: Header=BB4_4958 Depth=3
	v_lshlrev_b32_e32 v1, 6, v12
	v_accvgpr_read_b32 v3, a38
	v_sub_u32_e32 v1, v3, v1
	v_ashrrev_i32_e32 v3, 31, v1
	v_lshrrev_b32_e32 v3, 26, v3
	v_add_u32_e32 v3, v1, v3
	v_sub_u32_e32 v2, v17, v18
	v_ashrrev_i32_e32 v8, 6, v3
	v_and_b32_e32 v3, 0xffffffc0, v3
	v_sub_u32_e32 v19, v1, v3
	v_ashrrev_i32_e32 v3, 31, v2
	v_lshrrev_b32_e32 v3, 22, v3
	v_add_u32_e32 v3, v2, v3
	v_and_b32_e32 v20, 0xfffffc00, v3
	v_lshlrev_b32_e32 v1, 4, v19
	v_sub_u32_e32 v22, v2, v20
	v_lshl_add_u32 v1, v8, 10, v1
	v_ashrrev_i32_e32 v9, 10, v3
	v_cmp_lt_i32_e64 s[26:27], 15, v22
	v_sub_u32_e32 v5, v2, v1
	v_addc_co_u32_e64 v2, vcc, 0, v9, s[26:27]
	v_sub_u32_e32 v21, v2, v8
	v_cmp_lt_i32_e32 vcc, 15, v5
	s_and_saveexec_b64 s[66:67], vcc
	s_cbranch_execz .LBB4_5055
; %bb.5050:                             ;   in Loop: Header=BB4_4958 Depth=3
	s_trap 2
	ds_read_b64 v[2:3], v0
	ds_read_b128 v[8:11], v0
	v_add_u32_e32 v1, v1, v18
	v_ashrrev_i32_e32 v12, 31, v1
	s_mov_b64 s[68:69], 0
	s_waitcnt lgkmcnt(0)
	v_add_co_u32_e32 v14, vcc, v2, v1
	v_addc_co_u32_e32 v15, vcc, v3, v12, vcc
	v_add_co_u32_e32 v2, vcc, v8, v1
	v_addc_co_u32_e32 v3, vcc, v9, v12, vcc
	;; [unrolled: 2-line block ×3, first 2 shown]
.LBB4_5051:                             ;   Parent Loop BB4_47 Depth=1
                                        ;     Parent Loop BB4_4955 Depth=2
                                        ;       Parent Loop BB4_4958 Depth=3
                                        ; =>      This Loop Header: Depth=4
                                        ;           Child Loop BB4_5052 Depth 5
	global_load_dwordx4 v[10:13], v[14:15], off glc slc
	s_mov_b64 s[72:73], -1
	s_mov_b64 s[70:71], 0
	s_waitcnt vmcnt(0)
.LBB4_5052:                             ;   Parent Loop BB4_47 Depth=1
                                        ;     Parent Loop BB4_4955 Depth=2
                                        ;       Parent Loop BB4_4958 Depth=3
                                        ;         Parent Loop BB4_5051 Depth=4
                                        ; =>        This Inner Loop Header: Depth=5
	s_cmp_eq_u32 s70, 0
	s_cselect_b64 s[28:29], -1, 0
	s_cmp_eq_u32 s70, 1
	s_cselect_b64 s[34:35], -1, 0
	v_cndmask_b32_e64 v1, 0, 1, s[72:73]
	v_cndmask_b32_e64 v24, v2, v8, s[34:35]
	v_cmp_ne_u32_e64 s[30:31], 1, v1
	v_cndmask_b32_e64 v25, v3, v9, s[34:35]
	v_add_co_u32_e32 v1, vcc, 0x400, v24
	v_addc_co_u32_e32 v23, vcc, 0, v25, vcc
	s_mov_b64 s[72:73], 0
	s_mov_b64 s[70:71], 1
	v_cndmask_b32_e64 v8, v8, v1, s[34:35]
	s_and_b64 vcc, exec, s[30:31]
	v_cndmask_b32_e64 v9, v9, v23, s[34:35]
	v_cndmask_b32_e64 v3, v3, v23, s[28:29]
	v_cndmask_b32_e64 v2, v2, v1, s[28:29]
	global_store_dwordx4 v[24:25], v[10:13], off glc slc
	s_cbranch_vccz .LBB4_5052
; %bb.5053:                             ;   in Loop: Header=BB4_5051 Depth=4
	v_accvgpr_read_b32 v10, a30
	v_add_co_u32_e32 v2, vcc, v2, v10
	v_accvgpr_read_b32 v1, a33
	v_addc_co_u32_e32 v3, vcc, v3, v1, vcc
	v_add_co_u32_e32 v8, vcc, v8, v10
	v_addc_co_u32_e32 v9, vcc, v9, v1, vcc
	v_accvgpr_read_b32 v1, a39
	v_add_co_u32_e32 v14, vcc, v1, v14
	v_accvgpr_read_b32 v1, a40
	v_addc_co_u32_e32 v15, vcc, v1, v15, vcc
	v_accvgpr_read_b32 v1, a26
	v_sub_u32_e32 v5, v5, v1
	v_cmp_gt_i32_e32 vcc, 16, v5
	v_accvgpr_read_b32 v24, a22
	s_or_b64 s[68:69], vcc, s[68:69]
	v_sub_u32_e32 v21, v21, v24
	s_andn2_b64 exec, exec, s[68:69]
	s_cbranch_execnz .LBB4_5051
; %bb.5054:                             ;   in Loop: Header=BB4_4958 Depth=3
	s_or_b64 exec, exec, s[68:69]
.LBB4_5055:                             ;   in Loop: Header=BB4_4958 Depth=3
	s_or_b64 exec, exec, s[66:67]
	v_and_b32_e32 v1, 15, v17
	v_cndmask_b32_e64 v14, v22, v1, s[26:27]
	v_cmp_ne_u32_e32 vcc, 0, v14
	s_mov_b64 s[28:29], 0
	v_mov_b32_e32 v5, 0
                                        ; implicit-def: $vgpr15
                                        ; implicit-def: $vgpr2
	s_and_saveexec_b64 s[30:31], vcc
	s_cbranch_execz .LBB4_5057
; %bb.5056:                             ;   in Loop: Header=BB4_4958 Depth=3
	v_sub_u32_e32 v1, v22, v1
	v_cndmask_b32_e64 v1, 0, v1, s[26:27]
	v_cmp_lt_i32_e32 vcc, 0, v21
	v_add3_u32 v5, v20, v18, v1
	v_cndmask_b32_e32 v1, 0, v24, vcc
	v_sub_u32_e32 v1, v1, v21
	v_lshl_add_u32 v15, v1, 6, v19
	v_ashrrev_i32_e32 v1, 31, v15
	v_lshrrev_b32_e32 v1, 26, v1
	v_add_u32_e32 v1, v15, v1
	s_mov_b64 s[28:29], exec
	v_ashrrev_i32_e32 v2, 6, v1
.LBB4_5057:                             ;   in Loop: Header=BB4_4958 Depth=3
	s_or_b64 exec, exec, s[30:31]
	s_and_b64 s[26:27], s[28:29], exec
.LBB4_5058:                             ;   in Loop: Header=BB4_4958 Depth=3
	s_or_b64 exec, exec, s[64:65]
	s_and_saveexec_b64 s[30:31], s[26:27]
	s_cbranch_execz .LBB4_5030
.LBB4_5059:                             ;   in Loop: Header=BB4_4958 Depth=3
	v_ashrrev_i32_e32 v1, 31, v14
	v_lshrrev_b32_e32 v1, 22, v1
	v_add_u32_e32 v1, v14, v1
	v_ashrrev_i32_e32 v20, 10, v1
	v_sub_u32_e32 v18, v20, v2
	v_ashrrev_i32_e32 v1, 31, v15
	v_cmp_lt_i32_e32 vcc, 0, v18
	v_lshrrev_b32_e32 v19, 26, v1
	s_and_saveexec_b64 s[28:29], vcc
	s_cbranch_execz .LBB4_5063
; %bb.5060:                             ;   in Loop: Header=BB4_4958 Depth=3
	s_trap 2
	ds_read_b64 v[12:13], v0
	ds_read_b128 v[8:11], v0
	v_add_u32_e32 v1, v15, v19
	v_and_b32_e32 v1, 0xffffffc0, v1
	v_sub_u32_e32 v1, v15, v1
	v_lshlrev_b32_e32 v2, 10, v2
	v_add3_u32 v1, v5, v1, v2
	v_ashrrev_i32_e32 v21, 31, v1
	s_waitcnt lgkmcnt(0)
	v_add_co_u32_e32 v2, vcc, v8, v1
	v_addc_co_u32_e32 v3, vcc, v9, v21, vcc
	v_add_co_u32_e32 v8, vcc, v10, v1
	v_addc_co_u32_e32 v9, vcc, v11, v21, vcc
	;; [unrolled: 2-line block ×4, first 2 shown]
	s_mov_b64 s[34:35], 0
	v_mov_b32_e32 v36, v24
	v_accvgpr_read_b32 v37, a39
	v_accvgpr_read_b32 v38, a40
.LBB4_5061:                             ;   Parent Loop BB4_47 Depth=1
                                        ;     Parent Loop BB4_4955 Depth=2
                                        ;       Parent Loop BB4_4958 Depth=3
                                        ; =>      This Inner Loop Header: Depth=4
	v_add_co_u32_e32 v12, vcc, 0xfffffc40, v10
	v_addc_co_u32_e32 v13, vcc, -1, v11, vcc
	v_add_co_u32_e32 v24, vcc, 0xfffffc80, v10
	v_addc_co_u32_e32 v25, vcc, -1, v11, vcc
	v_add_co_u32_e64 v22, s[26:27], s78, v10
	v_add_co_u32_e32 v26, vcc, 0xfffffcc0, v10
	v_addc_co_u32_e64 v23, s[26:27], -1, v11, s[26:27]
	v_addc_co_u32_e32 v27, vcc, -1, v11, vcc
	flat_load_ubyte v21, v[10:11] glc slc
	s_nop 0
	flat_load_ubyte v22, v[22:23] glc slc
	s_nop 0
	flat_load_ubyte v12, v[12:13] glc slc
	v_sub_u32_e32 v18, v18, v36
	flat_load_ubyte v13, v[24:25] glc slc
	v_add_co_u32_e32 v24, vcc, 0xfffffd00, v10
	v_addc_co_u32_e32 v25, vcc, -1, v11, vcc
	flat_load_ubyte v1, v[26:27] glc slc
	v_add_co_u32_e32 v26, vcc, 0xfffffd40, v10
	v_addc_co_u32_e32 v27, vcc, -1, v11, vcc
	;; [unrolled: 3-line block ×10, first 2 shown]
	flat_load_ubyte v35, v[24:25] glc slc
	v_add_co_u32_e32 v24, vcc, s38, v10
	flat_load_ubyte v26, v[26:27] glc slc
	v_addc_co_u32_e32 v25, vcc, -1, v11, vcc
	flat_load_ubyte v24, v[24:25] glc slc
	v_cmp_gt_i32_e32 vcc, 1, v18
	s_or_b64 s[34:35], vcc, s[34:35]
	v_add_co_u32_e32 v10, vcc, v10, v37
	v_addc_co_u32_e32 v11, vcc, v11, v38, vcc
	s_waitcnt vmcnt(0) lgkmcnt(0)
	flat_store_byte v[2:3], v21 offset:960 glc slc
	flat_store_byte v[2:3], v22 offset:896 glc slc
	flat_store_byte v[2:3], v12 glc slc
	flat_store_byte v[2:3], v13 offset:64 glc slc
	flat_store_byte v[2:3], v1 offset:128 glc slc
	flat_store_byte v[2:3], v23 offset:192 glc slc
	flat_store_byte v[2:3], v28 offset:256 glc slc
	flat_store_byte v[2:3], v29 offset:320 glc slc
	flat_store_byte v[2:3], v30 offset:384 glc slc
	flat_store_byte v[2:3], v31 offset:448 glc slc
	flat_store_byte v[2:3], v32 offset:512 glc slc
	flat_store_byte v[2:3], v33 offset:576 glc slc
	flat_store_byte v[2:3], v34 offset:640 glc slc
	flat_store_byte v[2:3], v35 offset:704 glc slc
	flat_store_byte v[2:3], v26 offset:768 glc slc
	flat_store_byte v[2:3], v24 offset:832 glc slc
	flat_store_byte v[8:9], v12 glc slc
	flat_store_byte v[8:9], v13 offset:64 glc slc
	flat_store_byte v[8:9], v1 offset:128 glc slc
	;; [unrolled: 1-line block ×15, first 2 shown]
	v_add_co_u32_e32 v2, vcc, v2, v37
	v_addc_co_u32_e32 v3, vcc, v3, v38, vcc
	v_add_co_u32_e32 v8, vcc, v8, v37
	v_addc_co_u32_e32 v9, vcc, v9, v38, vcc
	s_andn2_b64 exec, exec, s[34:35]
	s_cbranch_execnz .LBB4_5061
; %bb.5062:                             ;   in Loop: Header=BB4_4958 Depth=3
	s_or_b64 exec, exec, s[34:35]
	v_mov_b32_e32 v24, v36
.LBB4_5063:                             ;   in Loop: Header=BB4_4958 Depth=3
	s_or_b64 exec, exec, s[28:29]
	v_lshlrev_b32_e32 v1, 10, v20
	v_cmp_ne_u32_e32 vcc, v14, v1
	s_and_saveexec_b64 s[34:35], vcc
	s_cbranch_execz .LBB4_5069
; %bb.5064:                             ;   in Loop: Header=BB4_4958 Depth=3
	v_add_u32_e32 v2, v15, v19
	v_and_b32_e32 v2, 0xffffffc0, v2
	v_sub_u32_e32 v2, v15, v2
	v_lshlrev_b32_e32 v3, 6, v18
	v_sub_u32_e32 v2, v2, v3
	v_add_u32_e32 v1, v1, v2
	v_sub_u32_e32 v12, v14, v1
	v_cmp_lt_i32_e32 vcc, 0, v12
	s_and_b64 exec, exec, vcc
	s_cbranch_execz .LBB4_5069
; %bb.5065:                             ;   in Loop: Header=BB4_4958 Depth=3
	s_trap 2
	ds_read_b64 v[2:3], v0
	ds_read_b128 v[18:21], v0
	v_add_u32_e32 v1, v1, v5
	v_ashrrev_i32_e32 v5, 31, v1
	s_mov_b64 s[64:65], 0
	s_waitcnt lgkmcnt(0)
	v_add_co_u32_e32 v10, vcc, v2, v1
	v_addc_co_u32_e32 v11, vcc, v3, v5, vcc
	v_add_co_u32_e32 v2, vcc, v18, v1
	v_addc_co_u32_e32 v3, vcc, v19, v5, vcc
	;; [unrolled: 2-line block ×3, first 2 shown]
.LBB4_5066:                             ;   Parent Loop BB4_47 Depth=1
                                        ;     Parent Loop BB4_4955 Depth=2
                                        ;       Parent Loop BB4_4958 Depth=3
                                        ; =>      This Loop Header: Depth=4
                                        ;           Child Loop BB4_5067 Depth 5
	flat_load_ubyte v5, v[10:11] glc slc
	s_mov_b64 s[66:67], -1
	s_mov_b64 s[68:69], 0
	s_waitcnt vmcnt(0)
.LBB4_5067:                             ;   Parent Loop BB4_47 Depth=1
                                        ;     Parent Loop BB4_4955 Depth=2
                                        ;       Parent Loop BB4_4958 Depth=3
                                        ;         Parent Loop BB4_5066 Depth=4
                                        ; =>        This Inner Loop Header: Depth=5
	s_cmp_eq_u32 s68, 1
	s_cselect_b64 vcc, -1, 0
	v_cndmask_b32_e32 v14, v2, v8, vcc
	v_cndmask_b32_e32 v15, v3, v9, vcc
	v_add_co_u32_e64 v1, s[26:27], 64, v14
	s_cmp_eq_u32 s68, 0
	v_addc_co_u32_e64 v13, s[26:27], 0, v15, s[26:27]
	s_cselect_b64 s[26:27], -1, 0
	s_and_b64 s[28:29], exec, s[66:67]
	s_mov_b64 s[68:69], 1
	s_mov_b64 s[66:67], 0
	v_cndmask_b32_e32 v9, v9, v13, vcc
	v_cndmask_b32_e32 v8, v8, v1, vcc
	v_cndmask_b32_e64 v3, v3, v13, s[26:27]
	v_cndmask_b32_e64 v2, v2, v1, s[26:27]
	s_mov_b64 vcc, s[28:29]
	s_waitcnt lgkmcnt(0)
	flat_store_byte v[14:15], v5 glc slc
	s_cbranch_vccnz .LBB4_5067
; %bb.5068:                             ;   in Loop: Header=BB4_5066 Depth=4
	v_accvgpr_read_b32 v14, a28
	v_add_co_u32_e32 v2, vcc, v2, v14
	v_accvgpr_read_b32 v1, a27
	v_addc_co_u32_e32 v3, vcc, v3, v1, vcc
	v_add_co_u32_e32 v8, vcc, v8, v14
	v_addc_co_u32_e32 v9, vcc, v9, v1, vcc
	v_sub_u32_e32 v12, v12, v41
	v_cmp_gt_i32_e32 vcc, 1, v12
	v_accvgpr_read_b32 v1, a34
	s_or_b64 s[64:65], vcc, s[64:65]
	v_add_co_u32_e32 v10, vcc, v1, v10
	v_accvgpr_read_b32 v1, a35
	v_addc_co_u32_e32 v11, vcc, v1, v11, vcc
	s_andn2_b64 exec, exec, s[64:65]
	s_cbranch_execnz .LBB4_5066
.LBB4_5069:                             ;   in Loop: Header=BB4_4958 Depth=3
	s_or_b64 exec, exec, s[34:35]
	s_or_b64 exec, exec, s[30:31]
	s_branch .LBB4_5031
.LBB4_5070:                             ;   in Loop: Header=BB4_4958 Depth=3
	s_mov_b64 s[26:27], -1
	s_and_saveexec_b64 s[28:29], s[20:21]
	s_cbranch_execz .LBB4_5072
; %bb.5071:                             ;   in Loop: Header=BB4_4958 Depth=3
	ds_read_b32 v1, v0 offset:720
	s_waitcnt lgkmcnt(0)
	v_and_b32_e32 v1, 15, v1
	v_cmp_eq_u32_e32 vcc, 0, v1
	s_orn2_b64 s[26:27], vcc, exec
.LBB4_5072:                             ;   in Loop: Header=BB4_4958 Depth=3
	s_or_b64 exec, exec, s[28:29]
	s_and_saveexec_b64 s[28:29], s[18:19]
	s_cbranch_execz .LBB4_5074
; %bb.5073:                             ;   in Loop: Header=BB4_4958 Depth=3
	ds_read_b32 v1, v0 offset:784
	s_waitcnt lgkmcnt(0)
	v_and_b32_e32 v1, 15, v1
	v_cmp_eq_u32_e32 vcc, 0, v1
	s_and_b64 vcc, s[26:27], vcc
	s_andn2_b64 s[26:27], s[26:27], exec
	s_and_b64 vcc, vcc, exec
	s_or_b64 s[26:27], s[26:27], vcc
.LBB4_5074:                             ;   in Loop: Header=BB4_4958 Depth=3
	s_or_b64 exec, exec, s[28:29]
	s_xor_b64 s[26:27], s[26:27], -1
	v_cndmask_b32_e64 v1, 0, 1, s[26:27]
	s_mov_b64 s[30:31], -1
	;;#ASMSTART
	;;#ASMEND
	v_cmp_ne_u32_e32 vcc, 0, v1
	v_mov_b32_e32 v9, 0
	v_mov_b32_e32 v12, v17
	;; [unrolled: 1-line block ×3, first 2 shown]
	v_accvgpr_read_b32 v5, a29
	s_cbranch_vccz .LBB4_5081
; %bb.5075:                             ;   in Loop: Header=BB4_4958 Depth=3
	s_and_saveexec_b64 s[26:27], s[30:31]
	s_cbranch_execnz .LBB4_5094
.LBB4_5076:                             ;   in Loop: Header=BB4_4958 Depth=3
	s_or_b64 exec, exec, s[26:27]
	s_and_saveexec_b64 s[26:27], s[10:11]
	s_cbranch_execnz .LBB4_5032
.LBB4_5077:                             ;   in Loop: Header=BB4_4958 Depth=3
	s_or_b64 exec, exec, s[26:27]
                                        ; implicit-def: $vgpr2
	s_and_saveexec_b64 s[26:27], s[24:25]
	s_xor_b64 s[28:29], exec, s[26:27]
	s_cbranch_execz .LBB4_5110
.LBB4_5078:                             ;   in Loop: Header=BB4_4958 Depth=3
	v_and_b32_e32 v1, 16, v60
	v_cmp_lt_i32_e32 vcc, 0, v17
	v_cmp_ne_u32_e64 s[26:27], 0, v1
	v_and_b32_e32 v2, 16, v60
	s_and_b64 vcc, s[26:27], vcc
	s_and_saveexec_b64 s[26:27], vcc
	s_cbranch_execz .LBB4_5080
; %bb.5079:                             ;   in Loop: Header=BB4_4958 Depth=3
	v_mov_b32_e32 v2, 1
	s_waitcnt vmcnt(0) lgkmcnt(0)
	buffer_wbinvl1_vol
.LBB4_5080:                             ;   in Loop: Header=BB4_4958 Depth=3
	s_or_b64 exec, exec, s[26:27]
	s_andn2_saveexec_b64 s[26:27], s[28:29]
	s_cbranch_execz .LBB4_5129
	s_branch .LBB4_5111
.LBB4_5081:                             ;   in Loop: Header=BB4_4958 Depth=3
	v_ashrrev_i32_e32 v1, 31, v17
	v_lshrrev_b32_e32 v1, 21, v1
	v_add_u32_e32 v1, v17, v1
	v_ashrrev_i32_e32 v5, 11, v1
	v_accvgpr_read_b32 v1, a29
	v_sub_u32_e32 v11, v5, v1
	v_cmp_lt_i32_e32 vcc, 0, v11
	s_and_saveexec_b64 s[26:27], vcc
	s_cbranch_execz .LBB4_5085
; %bb.5082:                             ;   in Loop: Header=BB4_4958 Depth=3
	s_trap 2
	ds_read_b64 v[2:3], v0
	v_accvgpr_read_b32 v8, a42
	s_mov_b64 s[28:29], 0
	v_accvgpr_read_b32 v9, a43
	v_accvgpr_read_b32 v1, a31
	;; [unrolled: 1-line block ×3, first 2 shown]
.LBB4_5083:                             ;   Parent Loop BB4_47 Depth=1
                                        ;     Parent Loop BB4_4955 Depth=2
                                        ;       Parent Loop BB4_4958 Depth=3
                                        ; =>      This Inner Loop Header: Depth=4
	s_waitcnt lgkmcnt(0)
	v_add_co_u32_e32 v22, vcc, v2, v8
	v_addc_co_u32_e32 v23, vcc, v3, v9, vcc
	global_load_dwordx4 v[12:15], v[22:23], off glc slc
	global_load_dwordx4 v[18:21], v[22:23], off offset:1024 glc slc
	v_add_co_u32_e32 v8, vcc, v8, v1
	v_sub_u32_e32 v11, v11, v24
	v_addc_co_u32_e32 v9, vcc, v9, v10, vcc
	v_cmp_gt_i32_e32 vcc, 1, v11
	s_or_b64 s[28:29], vcc, s[28:29]
	s_waitcnt vmcnt(0)
	global_store_dwordx4 v[22:23], v[12:15], off glc slc
	global_store_dwordx4 v[22:23], v[18:21], off offset:1024 glc slc
	s_andn2_b64 exec, exec, s[28:29]
	s_cbranch_execnz .LBB4_5083
; %bb.5084:                             ;   in Loop: Header=BB4_4958 Depth=3
	s_or_b64 exec, exec, s[28:29]
.LBB4_5085:                             ;   in Loop: Header=BB4_4958 Depth=3
	s_or_b64 exec, exec, s[26:27]
	v_lshlrev_b32_e32 v10, 11, v5
	v_cmp_ne_u32_e32 vcc, v17, v10
	s_mov_b64 s[30:31], 0
	v_mov_b32_e32 v9, 0
                                        ; implicit-def: $vgpr12
                                        ; implicit-def: $vgpr13
                                        ; implicit-def: $vgpr5
	s_and_saveexec_b64 s[28:29], vcc
	s_cbranch_execz .LBB4_5093
; %bb.5086:                             ;   in Loop: Header=BB4_4958 Depth=3
	v_lshlrev_b32_e32 v1, 6, v11
	v_accvgpr_read_b32 v3, a38
	v_sub_u32_e32 v1, v3, v1
	v_ashrrev_i32_e32 v3, 31, v1
	v_lshrrev_b32_e32 v3, 26, v3
	v_add_u32_e32 v3, v1, v3
	v_sub_u32_e32 v2, v17, v10
	v_ashrrev_i32_e32 v5, 6, v3
	v_and_b32_e32 v3, 0xffffffc0, v3
	v_sub_u32_e32 v11, v1, v3
	v_ashrrev_i32_e32 v3, 31, v2
	v_lshrrev_b32_e32 v3, 22, v3
	v_add_u32_e32 v3, v2, v3
	v_and_b32_e32 v14, 0xfffffc00, v3
	v_lshlrev_b32_e32 v1, 4, v11
	v_sub_u32_e32 v18, v2, v14
	v_lshl_add_u32 v1, v5, 10, v1
	v_ashrrev_i32_e32 v8, 10, v3
	v_cmp_lt_i32_e32 vcc, 15, v18
	v_sub_u32_e32 v9, v2, v1
	v_addc_co_u32_e64 v2, s[26:27], 0, v8, vcc
	v_sub_u32_e32 v15, v2, v5
	v_cmp_lt_i32_e64 s[26:27], 15, v9
	s_and_saveexec_b64 s[30:31], s[26:27]
	s_cbranch_execz .LBB4_5090
; %bb.5087:                             ;   in Loop: Header=BB4_4958 Depth=3
	s_trap 2
	ds_read_b64 v[2:3], v0
	v_add_u32_e32 v8, v1, v10
	v_ashrrev_i32_e32 v5, 31, v8
	s_mov_b64 s[34:35], 0
	v_accvgpr_read_b32 v1, a26
	v_accvgpr_read_b32 v19, a39
	;; [unrolled: 1-line block ×3, first 2 shown]
.LBB4_5088:                             ;   Parent Loop BB4_47 Depth=1
                                        ;     Parent Loop BB4_4955 Depth=2
                                        ;       Parent Loop BB4_4958 Depth=3
                                        ; =>      This Inner Loop Header: Depth=4
	s_waitcnt lgkmcnt(0)
	v_add_co_u32_e64 v12, s[26:27], v2, v8
	v_addc_co_u32_e64 v13, s[26:27], v3, v5, s[26:27]
	global_load_dwordx4 v[20:23], v[12:13], off glc slc
	v_add_co_u32_e64 v8, s[26:27], v8, v19
	v_sub_u32_e32 v9, v9, v1
	v_addc_co_u32_e64 v5, s[26:27], v5, v25, s[26:27]
	v_cmp_gt_i32_e64 s[26:27], 16, v9
	v_sub_u32_e32 v15, v15, v24
	s_or_b64 s[34:35], s[26:27], s[34:35]
	s_waitcnt vmcnt(0)
	global_store_dwordx4 v[12:13], v[20:23], off glc slc
	s_andn2_b64 exec, exec, s[34:35]
	s_cbranch_execnz .LBB4_5088
; %bb.5089:                             ;   in Loop: Header=BB4_4958 Depth=3
	s_or_b64 exec, exec, s[34:35]
.LBB4_5090:                             ;   in Loop: Header=BB4_4958 Depth=3
	s_or_b64 exec, exec, s[30:31]
	v_and_b32_e32 v1, 15, v17
	v_cndmask_b32_e32 v12, v18, v1, vcc
	v_cmp_ne_u32_e64 s[26:27], 0, v12
	s_mov_b64 s[30:31], 0
	v_mov_b32_e32 v9, 0
                                        ; implicit-def: $vgpr13
                                        ; implicit-def: $vgpr5
	s_and_saveexec_b64 s[34:35], s[26:27]
	s_cbranch_execz .LBB4_5092
; %bb.5091:                             ;   in Loop: Header=BB4_4958 Depth=3
	v_sub_u32_e32 v1, v18, v1
	v_cndmask_b32_e32 v1, 0, v1, vcc
	v_cmp_lt_i32_e32 vcc, 0, v15
	v_add3_u32 v9, v14, v10, v1
	v_cndmask_b32_e32 v1, 0, v24, vcc
	v_sub_u32_e32 v1, v1, v15
	v_lshl_add_u32 v13, v1, 6, v11
	v_ashrrev_i32_e32 v1, 31, v13
	v_lshrrev_b32_e32 v1, 26, v1
	v_add_u32_e32 v1, v13, v1
	s_mov_b64 s[30:31], exec
	v_ashrrev_i32_e32 v5, 6, v1
.LBB4_5092:                             ;   in Loop: Header=BB4_4958 Depth=3
	s_or_b64 exec, exec, s[34:35]
	s_and_b64 s[30:31], s[30:31], exec
.LBB4_5093:                             ;   in Loop: Header=BB4_4958 Depth=3
	s_or_b64 exec, exec, s[28:29]
	s_and_saveexec_b64 s[26:27], s[30:31]
	s_cbranch_execz .LBB4_5076
.LBB4_5094:                             ;   in Loop: Header=BB4_4958 Depth=3
	v_ashrrev_i32_e32 v1, 31, v12
	v_lshrrev_b32_e32 v1, 22, v1
	v_add_u32_e32 v1, v12, v1
	v_ashrrev_i32_e32 v15, 10, v1
	v_sub_u32_e32 v14, v15, v5
	v_cmp_lt_i32_e32 vcc, 0, v14
	s_and_saveexec_b64 s[28:29], vcc
	s_cbranch_execz .LBB4_5098
; %bb.5095:                             ;   in Loop: Header=BB4_4958 Depth=3
	v_ashrrev_i32_e32 v1, 31, v13
	s_trap 2
	ds_read_b64 v[2:3], v0
	v_lshrrev_b32_e32 v1, 26, v1
	v_add_u32_e32 v1, v13, v1
	v_and_b32_e32 v1, 0xffffffc0, v1
	v_sub_u32_e32 v1, v13, v1
	v_lshlrev_b32_e32 v5, 10, v5
	v_add3_u32 v8, v9, v1, v5
	v_ashrrev_i32_e32 v5, 31, v8
	s_mov_b64 s[30:31], 0
	s_waitcnt lgkmcnt(0)
	v_pk_mov_b32 v[10:11], v[2:3], v[2:3] op_sel:[0,1]
	v_mov_b32_e32 v36, v24
	v_accvgpr_read_b32 v35, a39
	v_accvgpr_read_b32 v37, a40
.LBB4_5096:                             ;   Parent Loop BB4_47 Depth=1
                                        ;     Parent Loop BB4_4955 Depth=2
                                        ;       Parent Loop BB4_4958 Depth=3
                                        ; =>      This Inner Loop Header: Depth=4
	v_add_co_u32_e32 v18, vcc, v8, v10
	v_addc_co_u32_e32 v19, vcc, v5, v11, vcc
	flat_load_ubyte v1, v[18:19] glc slc
	flat_load_ubyte v20, v[18:19] offset:64 glc slc
	flat_load_ubyte v21, v[18:19] offset:128 glc slc
	flat_load_ubyte v22, v[18:19] offset:192 glc slc
	flat_load_ubyte v23, v[18:19] offset:256 glc slc
	flat_load_ubyte v24, v[18:19] offset:320 glc slc
	flat_load_ubyte v25, v[18:19] offset:384 glc slc
	flat_load_ubyte v26, v[18:19] offset:448 glc slc
	flat_load_ubyte v27, v[18:19] offset:512 glc slc
	flat_load_ubyte v28, v[18:19] offset:576 glc slc
	flat_load_ubyte v29, v[18:19] offset:640 glc slc
	flat_load_ubyte v30, v[18:19] offset:704 glc slc
	flat_load_ubyte v31, v[18:19] offset:768 glc slc
	flat_load_ubyte v32, v[18:19] offset:832 glc slc
	flat_load_ubyte v33, v[18:19] offset:896 glc slc
	flat_load_ubyte v34, v[18:19] offset:960 glc slc
	v_add_co_u32_e32 v18, vcc, v8, v2
	v_addc_co_u32_e32 v19, vcc, v5, v3, vcc
	v_add_co_u32_e32 v10, vcc, v10, v35
	v_addc_co_u32_e32 v11, vcc, v11, v37, vcc
	v_add_co_u32_e32 v2, vcc, v2, v35
	v_sub_u32_e32 v14, v14, v36
	v_addc_co_u32_e32 v3, vcc, v3, v37, vcc
	v_cmp_gt_i32_e32 vcc, 1, v14
	s_or_b64 s[30:31], vcc, s[30:31]
	s_waitcnt vmcnt(0) lgkmcnt(0)
	flat_store_byte v[18:19], v1 glc slc
	flat_store_byte v[18:19], v20 offset:64 glc slc
	flat_store_byte v[18:19], v21 offset:128 glc slc
	;; [unrolled: 1-line block ×15, first 2 shown]
	s_andn2_b64 exec, exec, s[30:31]
	s_cbranch_execnz .LBB4_5096
; %bb.5097:                             ;   in Loop: Header=BB4_4958 Depth=3
	s_or_b64 exec, exec, s[30:31]
	v_mov_b32_e32 v24, v36
.LBB4_5098:                             ;   in Loop: Header=BB4_4958 Depth=3
	s_or_b64 exec, exec, s[28:29]
	v_lshlrev_b32_e32 v1, 10, v15
	v_cmp_ne_u32_e32 vcc, v12, v1
	s_mov_b64 s[28:29], exec
	s_and_b64 vcc, s[28:29], vcc
	v_accvgpr_read_b32 v11, a34
	v_accvgpr_read_b32 v15, a35
	s_mov_b64 exec, vcc
	s_cbranch_execz .LBB4_5102
; %bb.5099:                             ;   in Loop: Header=BB4_4958 Depth=3
	v_ashrrev_i32_e32 v2, 31, v13
	v_lshrrev_b32_e32 v2, 26, v2
	v_add_u32_e32 v2, v13, v2
	v_and_b32_e32 v2, 0xffffffc0, v2
	v_sub_u32_e32 v2, v13, v2
	v_lshlrev_b32_e32 v3, 6, v14
	v_sub_u32_e32 v2, v2, v3
	v_add_u32_e32 v1, v1, v2
	v_sub_u32_e32 v10, v12, v1
	v_cmp_lt_i32_e32 vcc, 0, v10
	s_and_b64 exec, exec, vcc
	s_cbranch_execz .LBB4_5102
; %bb.5100:                             ;   in Loop: Header=BB4_4958 Depth=3
	s_trap 2
	ds_read_b64 v[2:3], v0
	v_add_u32_e32 v8, v1, v9
	v_ashrrev_i32_e32 v5, 31, v8
	s_mov_b64 s[30:31], 0
.LBB4_5101:                             ;   Parent Loop BB4_47 Depth=1
                                        ;     Parent Loop BB4_4955 Depth=2
                                        ;       Parent Loop BB4_4958 Depth=3
                                        ; =>      This Inner Loop Header: Depth=4
	s_waitcnt lgkmcnt(0)
	v_add_co_u32_e32 v12, vcc, v2, v8
	v_addc_co_u32_e32 v13, vcc, v3, v5, vcc
	flat_load_ubyte v1, v[12:13] glc slc
	v_add_co_u32_e32 v8, vcc, v8, v11
	v_sub_u32_e32 v10, v10, v41
	v_addc_co_u32_e32 v5, vcc, v5, v15, vcc
	v_cmp_gt_i32_e32 vcc, 1, v10
	s_or_b64 s[30:31], vcc, s[30:31]
	s_waitcnt vmcnt(0) lgkmcnt(0)
	flat_store_byte v[12:13], v1 glc slc
	s_andn2_b64 exec, exec, s[30:31]
	s_cbranch_execnz .LBB4_5101
.LBB4_5102:                             ;   in Loop: Header=BB4_4958 Depth=3
	s_or_b64 exec, exec, s[28:29]
	s_or_b64 exec, exec, s[26:27]
	s_and_saveexec_b64 s[26:27], s[10:11]
	s_cbranch_execnz .LBB4_5032
	s_branch .LBB4_5077
.LBB4_5103:                             ;   in Loop: Header=BB4_4958 Depth=3
	s_or_b64 exec, exec, s[64:65]
	s_and_saveexec_b64 vcc, s[66:67]
	s_xor_b64 vcc, exec, vcc
	s_cbranch_execz .LBB4_5105
; %bb.5104:                             ;   in Loop: Header=BB4_4958 Depth=3
	v_mov_b32_e32 v1, 1
	ds_write_b32 v0, v1
	s_trap 2
.LBB4_5105:                             ;   in Loop: Header=BB4_4958 Depth=3
	s_or_b64 exec, exec, s[34:35]
	;;#ASMSTART
	s_wakeup
	;;#ASMEND
.LBB4_5106:                             ;   in Loop: Header=BB4_4958 Depth=3
	s_or_b64 exec, exec, s[30:31]
.LBB4_5107:                             ;   in Loop: Header=BB4_4958 Depth=3
	s_andn2_saveexec_b64 s[28:29], s[28:29]
	s_cbranch_execz .LBB4_5109
; %bb.5108:                             ;   in Loop: Header=BB4_4958 Depth=3
	s_waitcnt vmcnt(0) lgkmcnt(0)
	buffer_wbinvl1_vol
	s_barrier
.LBB4_5109:                             ;   in Loop: Header=BB4_4958 Depth=3
	s_or_b64 exec, exec, s[28:29]
	s_or_b64 exec, exec, s[26:27]
                                        ; implicit-def: $vgpr2
	s_and_saveexec_b64 s[26:27], s[24:25]
	s_xor_b64 s[28:29], exec, s[26:27]
	s_cbranch_execnz .LBB4_5078
.LBB4_5110:                             ;   in Loop: Header=BB4_4958 Depth=3
	s_andn2_saveexec_b64 s[26:27], s[28:29]
	s_cbranch_execz .LBB4_5129
.LBB4_5111:                             ;   in Loop: Header=BB4_4958 Depth=3
	s_and_saveexec_b64 s[28:29], s[46:47]
	s_xor_b64 s[28:29], exec, s[28:29]
	s_cbranch_execz .LBB4_5126
; %bb.5112:                             ;   in Loop: Header=BB4_4958 Depth=3
	s_and_saveexec_b64 s[30:31], s[16:17]
	s_cbranch_execz .LBB4_5125
; %bb.5113:                             ;   in Loop: Header=BB4_4958 Depth=3
	s_mov_b64 s[64:65], exec
	v_mbcnt_lo_u32_b32 v1, s64, 0
	v_mbcnt_hi_u32_b32 v1, s65, v1
	v_cmp_eq_u32_e32 vcc, 0, v1
	;;#ASMSTART
	s_waitcnt lgkmcnt(0) vmcnt(0)
	;;#ASMEND
	s_and_saveexec_b64 s[34:35], vcc
	s_cbranch_execz .LBB4_5115
; %bb.5114:                             ;   in Loop: Header=BB4_4958 Depth=3
	s_bcnt1_i32_b64 vcc_lo, s[64:65]
	v_mov_b32_e32 v58, vcc_lo
	ds_add_u64 v0, v[58:59]
	s_trap 2
.LBB4_5115:                             ;   in Loop: Header=BB4_4958 Depth=3
	s_or_b64 exec, exec, s[34:35]
	s_trap 2
	ds_read_b64 v[2:3], v0
	v_accvgpr_read_b32 v8, a14
	v_accvgpr_read_b32 v9, a15
	v_add_co_u32_e32 v8, vcc, v8, v24
	v_addc_co_u32_e32 v9, vcc, 0, v9, vcc
	v_accvgpr_write_b32 a15, v9
	v_accvgpr_write_b32 a14, v8
	s_waitcnt lgkmcnt(0)
	v_cmp_lt_u64_e32 vcc, v[2:3], v[8:9]
	s_and_saveexec_b64 s[34:35], vcc
	s_cbranch_execz .LBB4_5124
; %bb.5116:                             ;   in Loop: Header=BB4_4958 Depth=3
	s_mov_b32 s74, 0
	s_mov_b64 s[64:65], 0
                                        ; implicit-def: $sgpr66_sgpr67
                                        ; implicit-def: $sgpr68_sgpr69
	s_branch .LBB4_5118
.LBB4_5117:                             ;   in Loop: Header=BB4_5118 Depth=4
	s_or_b64 exec, exec, s[72:73]
	s_and_b64 vcc, exec, vcc
	s_or_b64 s[64:65], vcc, s[64:65]
	s_andn2_b64 vcc, s[66:67], exec
	s_and_b64 s[66:67], s[68:69], exec
	s_or_b64 s[66:67], vcc, s[66:67]
	s_andn2_b64 exec, exec, s[64:65]
	s_cbranch_execz .LBB4_5122
.LBB4_5118:                             ;   Parent Loop BB4_47 Depth=1
                                        ;     Parent Loop BB4_4955 Depth=2
                                        ;       Parent Loop BB4_4958 Depth=3
                                        ; =>      This Inner Loop Header: Depth=4
	s_add_i32 s74, s74, 1
	s_cmpk_lg_i32 s74, 0x2710
	s_cselect_b64 s[70:71], -1, 0
	s_and_b64 vcc, exec, s[70:71]
                                        ; implicit-def: $sgpr72_sgpr73
	s_cbranch_vccnz .LBB4_5120
; %bb.5119:                             ;   in Loop: Header=BB4_5118 Depth=4
	s_trap 2
	ds_read_b64 v[2:3], v0
	s_andn2_b64 s[70:71], s[70:71], exec
	s_mov_b32 s74, 0
	s_mov_b64 s[72:73], -1
	s_waitcnt vmcnt(0) lgkmcnt(0)
	flat_load_dword v1, v[2:3] glc
	s_waitcnt vmcnt(0) lgkmcnt(0)
	buffer_invl2
	buffer_wbinvl1_vol
	v_cmp_eq_u32_e32 vcc, 0, v1
	s_and_b64 vcc, vcc, exec
	s_or_b64 s[70:71], s[70:71], vcc
.LBB4_5120:                             ;   in Loop: Header=BB4_5118 Depth=4
	s_andn2_b64 s[68:69], s[68:69], exec
	s_and_b64 s[72:73], s[72:73], exec
	s_mov_b64 vcc, -1
	s_or_b64 s[68:69], s[68:69], s[72:73]
	s_and_saveexec_b64 s[72:73], s[70:71]
	s_cbranch_execz .LBB4_5117
; %bb.5121:                             ;   in Loop: Header=BB4_5118 Depth=4
	s_sleep 1
	s_trap 2
	ds_read_b64 v[2:3], v0
	v_accvgpr_read_b32 v8, a14
	v_accvgpr_read_b32 v9, a15
	s_andn2_b64 s[68:69], s[68:69], exec
	s_waitcnt lgkmcnt(0)
	v_cmp_ge_u64_e32 vcc, v[2:3], v[8:9]
	s_orn2_b64 vcc, vcc, exec
	s_branch .LBB4_5117
.LBB4_5122:                             ;   in Loop: Header=BB4_4958 Depth=3
	s_or_b64 exec, exec, s[64:65]
	s_and_saveexec_b64 vcc, s[66:67]
	s_xor_b64 vcc, exec, vcc
	s_cbranch_execz .LBB4_5124
; %bb.5123:                             ;   in Loop: Header=BB4_4958 Depth=3
	v_mov_b32_e32 v1, 1
	ds_write_b32 v0, v1
	s_trap 2
.LBB4_5124:                             ;   in Loop: Header=BB4_4958 Depth=3
	s_or_b64 exec, exec, s[34:35]
	;;#ASMSTART
	s_wakeup
	;;#ASMEND
.LBB4_5125:                             ;   in Loop: Header=BB4_4958 Depth=3
	s_or_b64 exec, exec, s[30:31]
.LBB4_5126:                             ;   in Loop: Header=BB4_4958 Depth=3
	s_andn2_saveexec_b64 s[28:29], s[28:29]
	s_cbranch_execz .LBB4_5128
; %bb.5127:                             ;   in Loop: Header=BB4_4958 Depth=3
	;;#ASMSTART
	s_waitcnt lgkmcnt(0) vmcnt(0)
	;;#ASMEND
	s_barrier
.LBB4_5128:                             ;   in Loop: Header=BB4_4958 Depth=3
	s_or_b64 exec, exec, s[28:29]
	v_and_b32_e32 v2, 16, v60
.LBB4_5129:                             ;   in Loop: Header=BB4_4958 Depth=3
	s_or_b64 exec, exec, s[26:27]
	v_cmp_ne_u32_e32 vcc, 0, v2
	s_xor_b64 s[26:27], s[12:13], -1
	s_and_b64 s[28:29], vcc, s[26:27]
	s_and_saveexec_b64 s[26:27], s[28:29]
	s_cbranch_execz .LBB4_5131
; %bb.5130:                             ;   in Loop: Header=BB4_4958 Depth=3
	v_accvgpr_read_b32 v2, a20
	v_accvgpr_read_b32 v3, a21
	v_mov_b32_e32 v1, 1
	flat_store_dword v[2:3], v1
.LBB4_5131:                             ;   in Loop: Header=BB4_4958 Depth=3
	s_or_b64 exec, exec, s[26:27]
	v_and_b32_e32 v1, 48, v60
	v_cmp_ne_u32_e32 vcc, 0, v1
	s_and_saveexec_b64 s[26:27], vcc
	s_cbranch_execz .LBB4_4957
; %bb.5132:                             ;   in Loop: Header=BB4_4958 Depth=3
	v_add_co_u32_e32 v44, vcc, 2, v44
	v_addc_co_u32_e32 v45, vcc, 0, v45, vcc
	flat_store_dwordx2 v[48:49], v[44:45]
	s_branch .LBB4_4957
.LBB4_5133:                             ;   in Loop: Header=BB4_4955 Depth=2
	s_or_b64 exec, exec, s[36:37]
	v_cmp_gt_i32_e32 vcc, 2, v5
	s_and_saveexec_b64 s[28:29], vcc
	s_cbranch_execz .LBB4_5207
.LBB4_5134:                             ;   in Loop: Header=BB4_4955 Depth=2
	v_cmp_eq_u32_e64 s[26:27], 0, v5
	s_mov_b64 s[30:31], 0
	s_branch .LBB4_5136
.LBB4_5135:                             ;   in Loop: Header=BB4_5136 Depth=3
	s_or_b64 exec, exec, s[26:27]
	v_add_u32_e32 v6, v4, v6
	s_mov_b64 s[26:27], 0
	s_andn2_b64 exec, exec, s[30:31]
	s_cbranch_execz .LBB4_5208
.LBB4_5136:                             ;   Parent Loop BB4_47 Depth=1
                                        ;     Parent Loop BB4_4955 Depth=2
                                        ; =>    This Loop Header: Depth=3
                                        ;         Child Loop BB4_5142 Depth 4
                                        ;         Child Loop BB4_5172 Depth 4
	;; [unrolled: 1-line block ×3, first 2 shown]
	v_and_b32_e32 v1, 12, v60
	s_mov_b64 s[36:37], -1
	v_cmp_ne_u32_e32 vcc, 0, v1
	s_and_saveexec_b64 s[34:35], vcc
	s_cbranch_execz .LBB4_5148
; %bb.5137:                             ;   in Loop: Header=BB4_5136 Depth=3
	v_and_b32_e32 v2, 8, v60
	v_add_co_u32_e32 v10, vcc, v50, v2
	v_addc_co_u32_e32 v11, vcc, 0, v51, vcc
	v_add_co_u32_e32 v8, vcc, 2, v44
	v_addc_co_u32_e32 v9, vcc, 0, v45, vcc
	v_cmp_lt_u64_e32 vcc, v[10:11], v[8:9]
	v_mov_b32_e32 v1, 1
	s_and_saveexec_b64 s[36:37], vcc
	s_cbranch_execz .LBB4_5147
; %bb.5138:                             ;   in Loop: Header=BB4_5136 Depth=3
	s_mov_b64 s[60:61], 0
	v_mov_b32_e32 v3, 0
                                        ; implicit-def: $sgpr62_sgpr63
	s_branch .LBB4_5142
.LBB4_5139:                             ;   in Loop: Header=BB4_5142 Depth=4
	s_or_b64 exec, exec, s[70:71]
	v_mov_b32_e32 v5, 0
	s_orn2_b64 s[68:69], s[68:69], exec
.LBB4_5140:                             ;   in Loop: Header=BB4_5142 Depth=4
	s_or_b64 exec, exec, s[66:67]
	s_andn2_b64 vcc, s[62:63], exec
	s_and_b64 s[62:63], s[68:69], exec
	s_or_b64 s[62:63], vcc, s[62:63]
	v_mov_b32_e32 v3, v5
.LBB4_5141:                             ;   in Loop: Header=BB4_5142 Depth=4
	s_or_b64 exec, exec, s[64:65]
	s_waitcnt vmcnt(0) lgkmcnt(0)
	v_add_co_u32_e32 v10, vcc, v50, v2
	v_addc_co_u32_e32 v11, vcc, 0, v51, vcc
	v_cmp_ge_u64_e32 vcc, v[10:11], v[8:9]
	s_xor_b64 s[64:65], s[62:63], -1
	s_or_b64 vcc, s[64:65], vcc
	s_and_b64 vcc, exec, vcc
	s_or_b64 s[60:61], vcc, s[60:61]
	s_andn2_b64 exec, exec, s[60:61]
	s_cbranch_execz .LBB4_5146
.LBB4_5142:                             ;   Parent Loop BB4_47 Depth=1
                                        ;     Parent Loop BB4_4955 Depth=2
                                        ;       Parent Loop BB4_5136 Depth=3
                                        ; =>      This Inner Loop Header: Depth=4
	s_sleep 1
	flat_load_dwordx2 v[50:51], v[48:49] glc
	v_and_b32_e32 v1, 64, v60
	v_cmp_eq_u32_e32 vcc, 0, v1
	s_andn2_b64 s[62:63], s[62:63], exec
	s_and_saveexec_b64 s[64:65], vcc
	s_cbranch_execz .LBB4_5141
; %bb.5143:                             ;   in Loop: Header=BB4_5142 Depth=4
	v_add_u32_e32 v5, 1, v3
	v_cmp_lt_i32_e32 vcc, s89, v3
	s_mov_b64 s[68:69], -1
	s_and_saveexec_b64 s[66:67], vcc
	s_cbranch_execz .LBB4_5140
; %bb.5144:                             ;   in Loop: Header=BB4_5142 Depth=4
	s_trap 2
	ds_read_b64 v[10:11], v0
	s_waitcnt vmcnt(0) lgkmcnt(0)
	flat_load_dword v1, v[10:11] glc
	s_waitcnt vmcnt(0) lgkmcnt(0)
	buffer_invl2
	buffer_wbinvl1_vol
	v_cmp_ne_u32_e32 vcc, 0, v1
	s_and_saveexec_b64 s[70:71], vcc
	s_cbranch_execz .LBB4_5139
; %bb.5145:                             ;   in Loop: Header=BB4_5142 Depth=4
	v_or_b32_e32 v60, 64, v60
	s_xor_b64 s[68:69], exec, -1
	ds_write_b32 v0, v1
	s_trap 2
	s_branch .LBB4_5139
.LBB4_5146:                             ;   in Loop: Header=BB4_5136 Depth=3
	s_or_b64 exec, exec, s[60:61]
	v_and_b32_e32 v1, 12, v60
.LBB4_5147:                             ;   in Loop: Header=BB4_5136 Depth=3
	s_or_b64 exec, exec, s[36:37]
	v_cmp_eq_u32_e32 vcc, 0, v1
	s_orn2_b64 s[36:37], vcc, exec
	;;#ASMSTART
	s_wakeup
	;;#ASMEND
.LBB4_5148:                             ;   in Loop: Header=BB4_5136 Depth=3
	s_or_b64 exec, exec, s[34:35]
	s_xor_b64 s[26:27], s[26:27], -1
	s_and_b64 s[26:27], exec, s[26:27]
	s_or_b64 s[30:31], s[26:27], s[30:31]
	v_sub_u32_e32 v1, v0, v6
	s_xor_b64 s[26:27], s[36:37], -1
	v_min_i32_e32 v4, v4, v1
	s_and_saveexec_b64 s[34:35], s[26:27]
	s_cbranch_execz .LBB4_5164
; %bb.5149:                             ;   in Loop: Header=BB4_5136 Depth=3
	v_and_b32_e32 v1, 0x108, v60
	v_cmp_ne_u32_e32 vcc, s90, v1
	v_and_b32_e32 v2, 7, v44
	s_and_saveexec_b64 s[26:27], vcc
	s_xor_b64 s[26:27], exec, s[26:27]
	s_andn2_saveexec_b64 s[26:27], s[26:27]
	s_cbranch_execz .LBB4_5151
; %bb.5150:                             ;   in Loop: Header=BB4_5136 Depth=3
	v_accvgpr_read_b32 v8, a12
	v_accvgpr_read_b32 v9, a13
	v_mad_u64_u32 v[8:9], vcc, v2, 24, v[8:9]
	v_ashrrev_i32_e32 v5, 31, v4
	flat_store_dwordx2 v[8:9], v[4:5] offset:8
.LBB4_5151:                             ;   in Loop: Header=BB4_5136 Depth=3
	s_or_b64 exec, exec, s[26:27]
	v_and_b32_e32 v1, 0x100, v60
	v_cmp_ne_u32_e32 vcc, 0, v1
	s_mov_b64 s[26:27], -1
                                        ; implicit-def: $vgpr8_vgpr9
	s_and_saveexec_b64 s[36:37], vcc
	s_cbranch_execz .LBB4_5155
; %bb.5152:                             ;   in Loop: Header=BB4_5136 Depth=3
	v_accvgpr_read_b32 v8, a12
	v_accvgpr_read_b32 v9, a13
	v_mad_u64_u32 v[10:11], s[26:27], v2, 24, v[8:9]
	v_mov_b32_e32 v8, v11
	v_mad_u64_u32 v[8:9], s[26:27], v59, 24, v[8:9]
	v_mov_b32_e32 v11, v8
	flat_load_dword v1, v[10:11]
                                        ; implicit-def: $vgpr8_vgpr9
	s_waitcnt vmcnt(0) lgkmcnt(0)
	v_cmp_ne_u32_e32 vcc, 1, v1
	v_cmp_eq_u32_e64 s[26:27], 1, v1
	s_and_saveexec_b64 s[60:61], s[26:27]
	s_cbranch_execz .LBB4_5154
; %bb.5153:                             ;   in Loop: Header=BB4_5136 Depth=3
	flat_load_dword v8, v[10:11] offset:4 glc
	s_waitcnt vmcnt(0) lgkmcnt(0)
	v_ashrrev_i32_e32 v9, 31, v8
.LBB4_5154:                             ;   in Loop: Header=BB4_5136 Depth=3
	s_or_b64 exec, exec, s[60:61]
	s_orn2_b64 s[26:27], vcc, exec
.LBB4_5155:                             ;   in Loop: Header=BB4_5136 Depth=3
	s_or_b64 exec, exec, s[36:37]
	s_and_saveexec_b64 vcc, s[26:27]
; %bb.5156:                             ;   in Loop: Header=BB4_5136 Depth=3
	v_accvgpr_read_b32 v8, a16
	v_accvgpr_read_b32 v3, a17
	v_mul_lo_u32 v1, v59, v8
	v_mul_lo_u32 v3, v2, v3
	v_mad_u64_u32 v[8:9], s[26:27], v2, v8, 0
	v_add3_u32 v9, v9, v3, v1
; %bb.5157:                             ;   in Loop: Header=BB4_5136 Depth=3
	s_or_b64 exec, exec, vcc
	v_accvgpr_read_b32 v2, a18
	v_accvgpr_read_b32 v3, a19
	v_add_co_u32_e32 v2, vcc, v2, v8
	v_addc_co_u32_e32 v3, vcc, v3, v9, vcc
	v_and_b32_e32 v1, 0x2000, v60
	v_cmp_ne_u32_e32 vcc, 0, v1
	s_trap 2
	ds_write_b64 v0, v[2:3]
	s_and_saveexec_b64 s[26:27], vcc
	s_cbranch_execz .LBB4_5159
; %bb.5158:                             ;   in Loop: Header=BB4_5136 Depth=3
	ds_read_b64 v[2:3], v0 offset:584
	s_waitcnt lgkmcnt(0)
	v_add_co_u32_e32 v2, vcc, 1, v2
	v_addc_co_u32_e32 v3, vcc, 0, v3, vcc
	ds_write_b64 v0, v[2:3] offset:584
.LBB4_5159:                             ;   in Loop: Header=BB4_5136 Depth=3
	s_or_b64 exec, exec, s[26:27]
	v_add_co_u32_e32 v44, vcc, 2, v44
	v_addc_co_u32_e32 v45, vcc, 0, v45, vcc
	s_or_b64 exec, exec, s[34:35]
	s_and_saveexec_b64 s[26:27], s[10:11]
	s_cbranch_execnz .LBB4_5165
.LBB4_5160:                             ;   in Loop: Header=BB4_5136 Depth=3
	s_or_b64 exec, exec, s[26:27]
                                        ; implicit-def: $vgpr2
	s_and_saveexec_b64 s[26:27], s[24:25]
	s_xor_b64 s[26:27], exec, s[26:27]
	s_cbranch_execz .LBB4_5183
.LBB4_5161:                             ;   in Loop: Header=BB4_5136 Depth=3
	s_trap 2
	ds_read_b32 v1, v0
	v_cmp_lt_i32_e32 vcc, 0, v4
	v_and_b32_e32 v3, 16, v60
	v_and_b32_e32 v2, 16, v60
	s_waitcnt lgkmcnt(0)
	v_readfirstlane_b32 s34, v1
	s_cmp_eq_u32 s34, 0
	s_cselect_b64 s[34:35], -1, 0
	s_and_b64 s[34:35], vcc, s[34:35]
	v_cmp_ne_u32_e32 vcc, 0, v3
	s_and_b64 s[34:35], vcc, s[34:35]
	s_and_saveexec_b64 vcc, s[34:35]
	s_cbranch_execz .LBB4_5163
; %bb.5162:                             ;   in Loop: Header=BB4_5136 Depth=3
	v_mov_b32_e32 v2, 1
	s_waitcnt vmcnt(0)
	buffer_wbinvl1_vol
.LBB4_5163:                             ;   in Loop: Header=BB4_5136 Depth=3
	s_or_b64 exec, exec, vcc
	s_andn2_saveexec_b64 s[26:27], s[26:27]
	s_cbranch_execz .LBB4_5202
	s_branch .LBB4_5184
.LBB4_5164:                             ;   in Loop: Header=BB4_5136 Depth=3
	s_or_b64 exec, exec, s[34:35]
	s_and_saveexec_b64 s[26:27], s[10:11]
	s_cbranch_execz .LBB4_5160
.LBB4_5165:                             ;   in Loop: Header=BB4_5136 Depth=3
	s_and_saveexec_b64 vcc, s[46:47]
	s_xor_b64 s[34:35], exec, vcc
	s_cbranch_execz .LBB4_5180
; %bb.5166:                             ;   in Loop: Header=BB4_5136 Depth=3
	s_and_saveexec_b64 s[36:37], s[16:17]
	s_cbranch_execz .LBB4_5179
; %bb.5167:                             ;   in Loop: Header=BB4_5136 Depth=3
	s_mov_b64 s[62:63], exec
	v_mbcnt_lo_u32_b32 v1, s62, 0
	v_mbcnt_hi_u32_b32 v1, s63, v1
	v_cmp_eq_u32_e32 vcc, 0, v1
	s_waitcnt vmcnt(0) lgkmcnt(0)
	buffer_wbinvl1_vol
	s_and_saveexec_b64 s[60:61], vcc
	s_cbranch_execz .LBB4_5169
; %bb.5168:                             ;   in Loop: Header=BB4_5136 Depth=3
	s_bcnt1_i32_b64 vcc_lo, s[62:63]
	v_mov_b32_e32 v58, vcc_lo
	ds_add_u64 v0, v[58:59]
	s_trap 2
.LBB4_5169:                             ;   in Loop: Header=BB4_5136 Depth=3
	s_or_b64 exec, exec, s[60:61]
	s_trap 2
	ds_read_b64 v[2:3], v0
	v_accvgpr_read_b32 v8, a14
	v_accvgpr_read_b32 v9, a15
	v_add_co_u32_e32 v8, vcc, v8, v24
	v_addc_co_u32_e32 v9, vcc, 0, v9, vcc
	v_accvgpr_write_b32 a15, v9
	v_accvgpr_write_b32 a14, v8
	s_waitcnt lgkmcnt(0)
	v_cmp_lt_u64_e32 vcc, v[2:3], v[8:9]
	s_and_saveexec_b64 s[60:61], vcc
	s_cbranch_execz .LBB4_5178
; %bb.5170:                             ;   in Loop: Header=BB4_5136 Depth=3
	s_mov_b32 s39, 0
	s_mov_b64 s[62:63], 0
                                        ; implicit-def: $sgpr64_sgpr65
                                        ; implicit-def: $sgpr66_sgpr67
	s_branch .LBB4_5172
.LBB4_5171:                             ;   in Loop: Header=BB4_5172 Depth=4
	s_or_b64 exec, exec, s[70:71]
	s_and_b64 vcc, exec, vcc
	s_or_b64 s[62:63], vcc, s[62:63]
	s_andn2_b64 vcc, s[64:65], exec
	s_and_b64 s[64:65], s[66:67], exec
	s_or_b64 s[64:65], vcc, s[64:65]
	s_andn2_b64 exec, exec, s[62:63]
	s_cbranch_execz .LBB4_5176
.LBB4_5172:                             ;   Parent Loop BB4_47 Depth=1
                                        ;     Parent Loop BB4_4955 Depth=2
                                        ;       Parent Loop BB4_5136 Depth=3
                                        ; =>      This Inner Loop Header: Depth=4
	s_add_i32 s39, s39, 1
	s_cmpk_lg_i32 s39, 0x2710
	s_cselect_b64 s[68:69], -1, 0
	s_and_b64 vcc, exec, s[68:69]
                                        ; implicit-def: $sgpr70_sgpr71
	s_cbranch_vccnz .LBB4_5174
; %bb.5173:                             ;   in Loop: Header=BB4_5172 Depth=4
	s_trap 2
	ds_read_b64 v[2:3], v0
	s_andn2_b64 s[68:69], s[68:69], exec
	s_mov_b32 s39, 0
	s_mov_b64 s[70:71], -1
	s_waitcnt lgkmcnt(0)
	flat_load_dword v1, v[2:3] glc
	s_waitcnt vmcnt(0) lgkmcnt(0)
	buffer_invl2
	buffer_wbinvl1_vol
	v_cmp_eq_u32_e32 vcc, 0, v1
	s_and_b64 vcc, vcc, exec
	s_or_b64 s[68:69], s[68:69], vcc
.LBB4_5174:                             ;   in Loop: Header=BB4_5172 Depth=4
	s_andn2_b64 s[66:67], s[66:67], exec
	s_and_b64 s[70:71], s[70:71], exec
	s_mov_b64 vcc, -1
	s_or_b64 s[66:67], s[66:67], s[70:71]
	s_and_saveexec_b64 s[70:71], s[68:69]
	s_cbranch_execz .LBB4_5171
; %bb.5175:                             ;   in Loop: Header=BB4_5172 Depth=4
	s_sleep 1
	s_trap 2
	ds_read_b64 v[2:3], v0
	v_accvgpr_read_b32 v8, a14
	v_accvgpr_read_b32 v9, a15
	s_andn2_b64 s[66:67], s[66:67], exec
	s_waitcnt lgkmcnt(0)
	v_cmp_ge_u64_e32 vcc, v[2:3], v[8:9]
	s_orn2_b64 vcc, vcc, exec
	s_branch .LBB4_5171
.LBB4_5176:                             ;   in Loop: Header=BB4_5136 Depth=3
	s_or_b64 exec, exec, s[62:63]
	s_and_saveexec_b64 vcc, s[64:65]
	s_xor_b64 vcc, exec, vcc
	s_cbranch_execz .LBB4_5178
; %bb.5177:                             ;   in Loop: Header=BB4_5136 Depth=3
	v_mov_b32_e32 v1, 1
	ds_write_b32 v0, v1
	s_trap 2
.LBB4_5178:                             ;   in Loop: Header=BB4_5136 Depth=3
	s_or_b64 exec, exec, s[60:61]
	;;#ASMSTART
	s_wakeup
	;;#ASMEND
.LBB4_5179:                             ;   in Loop: Header=BB4_5136 Depth=3
	s_or_b64 exec, exec, s[36:37]
.LBB4_5180:                             ;   in Loop: Header=BB4_5136 Depth=3
	s_andn2_saveexec_b64 vcc, s[34:35]
	s_cbranch_execz .LBB4_5182
; %bb.5181:                             ;   in Loop: Header=BB4_5136 Depth=3
	s_waitcnt vmcnt(0) lgkmcnt(0)
	buffer_wbinvl1_vol
	s_barrier
.LBB4_5182:                             ;   in Loop: Header=BB4_5136 Depth=3
	s_or_b64 exec, exec, vcc
	s_or_b64 exec, exec, s[26:27]
                                        ; implicit-def: $vgpr2
	s_and_saveexec_b64 s[26:27], s[24:25]
	s_xor_b64 s[26:27], exec, s[26:27]
	s_cbranch_execnz .LBB4_5161
.LBB4_5183:                             ;   in Loop: Header=BB4_5136 Depth=3
	s_andn2_saveexec_b64 s[26:27], s[26:27]
	s_cbranch_execz .LBB4_5202
.LBB4_5184:                             ;   in Loop: Header=BB4_5136 Depth=3
	s_and_saveexec_b64 vcc, s[46:47]
	s_xor_b64 s[34:35], exec, vcc
	s_cbranch_execz .LBB4_5199
; %bb.5185:                             ;   in Loop: Header=BB4_5136 Depth=3
	s_and_saveexec_b64 s[36:37], s[16:17]
	s_cbranch_execz .LBB4_5198
; %bb.5186:                             ;   in Loop: Header=BB4_5136 Depth=3
	s_mov_b64 s[62:63], exec
	v_mbcnt_lo_u32_b32 v1, s62, 0
	v_mbcnt_hi_u32_b32 v1, s63, v1
	v_cmp_eq_u32_e32 vcc, 0, v1
	;;#ASMSTART
	s_waitcnt lgkmcnt(0) vmcnt(0)
	;;#ASMEND
	s_and_saveexec_b64 s[60:61], vcc
	s_cbranch_execz .LBB4_5188
; %bb.5187:                             ;   in Loop: Header=BB4_5136 Depth=3
	s_bcnt1_i32_b64 vcc_lo, s[62:63]
	v_mov_b32_e32 v58, vcc_lo
	ds_add_u64 v0, v[58:59]
	s_trap 2
.LBB4_5188:                             ;   in Loop: Header=BB4_5136 Depth=3
	s_or_b64 exec, exec, s[60:61]
	s_trap 2
	ds_read_b64 v[2:3], v0
	v_accvgpr_read_b32 v8, a14
	v_accvgpr_read_b32 v9, a15
	v_add_co_u32_e32 v8, vcc, v8, v24
	v_addc_co_u32_e32 v9, vcc, 0, v9, vcc
	v_accvgpr_write_b32 a15, v9
	v_accvgpr_write_b32 a14, v8
	s_waitcnt lgkmcnt(0)
	v_cmp_lt_u64_e32 vcc, v[2:3], v[8:9]
	s_and_saveexec_b64 s[60:61], vcc
	s_cbranch_execz .LBB4_5197
; %bb.5189:                             ;   in Loop: Header=BB4_5136 Depth=3
	s_mov_b32 s39, 0
	s_mov_b64 s[62:63], 0
                                        ; implicit-def: $sgpr64_sgpr65
                                        ; implicit-def: $sgpr66_sgpr67
	s_branch .LBB4_5191
.LBB4_5190:                             ;   in Loop: Header=BB4_5191 Depth=4
	s_or_b64 exec, exec, s[70:71]
	s_and_b64 vcc, exec, vcc
	s_or_b64 s[62:63], vcc, s[62:63]
	s_andn2_b64 vcc, s[64:65], exec
	s_and_b64 s[64:65], s[66:67], exec
	s_or_b64 s[64:65], vcc, s[64:65]
	s_andn2_b64 exec, exec, s[62:63]
	s_cbranch_execz .LBB4_5195
.LBB4_5191:                             ;   Parent Loop BB4_47 Depth=1
                                        ;     Parent Loop BB4_4955 Depth=2
                                        ;       Parent Loop BB4_5136 Depth=3
                                        ; =>      This Inner Loop Header: Depth=4
	s_add_i32 s39, s39, 1
	s_cmpk_lg_i32 s39, 0x2710
	s_cselect_b64 s[68:69], -1, 0
	s_and_b64 vcc, exec, s[68:69]
                                        ; implicit-def: $sgpr70_sgpr71
	s_cbranch_vccnz .LBB4_5193
; %bb.5192:                             ;   in Loop: Header=BB4_5191 Depth=4
	s_trap 2
	ds_read_b64 v[2:3], v0
	s_andn2_b64 s[68:69], s[68:69], exec
	s_mov_b32 s39, 0
	s_mov_b64 s[70:71], -1
	s_waitcnt vmcnt(0) lgkmcnt(0)
	flat_load_dword v1, v[2:3] glc
	s_waitcnt vmcnt(0) lgkmcnt(0)
	buffer_invl2
	buffer_wbinvl1_vol
	v_cmp_eq_u32_e32 vcc, 0, v1
	s_and_b64 vcc, vcc, exec
	s_or_b64 s[68:69], s[68:69], vcc
.LBB4_5193:                             ;   in Loop: Header=BB4_5191 Depth=4
	s_andn2_b64 s[66:67], s[66:67], exec
	s_and_b64 s[70:71], s[70:71], exec
	s_mov_b64 vcc, -1
	s_or_b64 s[66:67], s[66:67], s[70:71]
	s_and_saveexec_b64 s[70:71], s[68:69]
	s_cbranch_execz .LBB4_5190
; %bb.5194:                             ;   in Loop: Header=BB4_5191 Depth=4
	s_sleep 1
	s_trap 2
	ds_read_b64 v[2:3], v0
	v_accvgpr_read_b32 v8, a14
	v_accvgpr_read_b32 v9, a15
	s_andn2_b64 s[66:67], s[66:67], exec
	s_waitcnt lgkmcnt(0)
	v_cmp_ge_u64_e32 vcc, v[2:3], v[8:9]
	s_orn2_b64 vcc, vcc, exec
	s_branch .LBB4_5190
.LBB4_5195:                             ;   in Loop: Header=BB4_5136 Depth=3
	s_or_b64 exec, exec, s[62:63]
	s_and_saveexec_b64 vcc, s[64:65]
	s_xor_b64 vcc, exec, vcc
	s_cbranch_execz .LBB4_5197
; %bb.5196:                             ;   in Loop: Header=BB4_5136 Depth=3
	v_mov_b32_e32 v1, 1
	ds_write_b32 v0, v1
	s_trap 2
.LBB4_5197:                             ;   in Loop: Header=BB4_5136 Depth=3
	s_or_b64 exec, exec, s[60:61]
	;;#ASMSTART
	s_wakeup
	;;#ASMEND
.LBB4_5198:                             ;   in Loop: Header=BB4_5136 Depth=3
	s_or_b64 exec, exec, s[36:37]
.LBB4_5199:                             ;   in Loop: Header=BB4_5136 Depth=3
	s_andn2_saveexec_b64 vcc, s[34:35]
	s_cbranch_execz .LBB4_5201
; %bb.5200:                             ;   in Loop: Header=BB4_5136 Depth=3
	;;#ASMSTART
	s_waitcnt lgkmcnt(0) vmcnt(0)
	;;#ASMEND
	s_barrier
.LBB4_5201:                             ;   in Loop: Header=BB4_5136 Depth=3
	s_or_b64 exec, exec, vcc
	v_and_b32_e32 v2, 16, v60
.LBB4_5202:                             ;   in Loop: Header=BB4_5136 Depth=3
	s_or_b64 exec, exec, s[26:27]
	v_cmp_ne_u32_e32 vcc, 0, v2
	s_xor_b64 s[26:27], s[12:13], -1
	s_and_b64 vcc, vcc, s[26:27]
	s_and_saveexec_b64 s[26:27], vcc
	s_cbranch_execz .LBB4_5204
; %bb.5203:                             ;   in Loop: Header=BB4_5136 Depth=3
	v_accvgpr_read_b32 v2, a20
	v_accvgpr_read_b32 v3, a21
	v_mov_b32_e32 v1, 1
	flat_store_dword v[2:3], v1
.LBB4_5204:                             ;   in Loop: Header=BB4_5136 Depth=3
	s_or_b64 exec, exec, s[26:27]
	v_and_b32_e32 v1, 48, v60
	v_cmp_ne_u32_e32 vcc, 0, v1
	s_and_saveexec_b64 s[26:27], vcc
	s_cbranch_execz .LBB4_5135
; %bb.5205:                             ;   in Loop: Header=BB4_5136 Depth=3
	v_add_co_u32_e32 v44, vcc, 2, v44
	v_addc_co_u32_e32 v45, vcc, 0, v45, vcc
	flat_store_dwordx2 v[48:49], v[44:45]
	s_branch .LBB4_5135
.LBB4_5206:                             ;   in Loop: Header=BB4_4955 Depth=2
	s_or_b64 exec, exec, s[60:61]
	s_or_b64 exec, exec, s[36:37]
	v_cmp_gt_i32_e32 vcc, 2, v5
	s_and_saveexec_b64 s[28:29], vcc
	s_cbranch_execnz .LBB4_5134
.LBB4_5207:                             ;   in Loop: Header=BB4_4955 Depth=2
	s_or_b64 exec, exec, s[28:29]
	s_add_i32 s26, s9, 1
	s_cmp_eq_u32 s9, s86
	s_cbranch_scc0 .LBB4_5209
	s_branch .LBB4_5210
.LBB4_5208:                             ;   in Loop: Header=BB4_4955 Depth=2
	s_or_b64 exec, exec, s[30:31]
	s_or_b64 exec, exec, s[28:29]
	s_add_i32 s26, s9, 1
	s_cmp_eq_u32 s9, s86
	s_cbranch_scc1 .LBB4_5210
.LBB4_5209:                             ;   in Loop: Header=BB4_4955 Depth=2
	s_mov_b32 s9, s26
	s_branch .LBB4_4955
.LBB4_5210:                             ;   in Loop: Header=BB4_47 Depth=1
	v_accvgpr_read_b32 v4, a46
	v_accvgpr_read_b32 v5, a47
	v_mul_lo_u32 v0, v5, s87
	v_mul_lo_u32 v1, v4, s88
	v_mad_u64_u32 v[2:3], s[26:27], v4, s87, 0
	v_add3_u32 v3, v3, v1, v0
	v_accvgpr_read_b32 v0, a48
	v_accvgpr_read_b32 v1, a49
	v_sub_co_u32_e32 v0, vcc, v0, v2
	v_subb_co_u32_e32 v1, vcc, v1, v3, vcc
	v_cmp_lt_i64_e32 vcc, v[4:5], v[0:1]
	v_cndmask_b32_e32 v1, v0, v4, vcc
	v_max_i32_e32 v0, 0, v1
	v_add_u32_e32 v4, 31, v0
	v_lshrrev_b32_e32 v4, 1, v4
	v_and_b32_e32 v4, 0x3ffffff0, v4
	v_cmp_lt_i32_e32 vcc, 0, v1
	v_max_i32_e32 v6, s85, v4
	s_and_b64 s[26:27], s[52:53], vcc
	v_mov_b32_e32 v4, 0
	v_mov_b32_e32 v7, 0
	s_and_saveexec_b64 s[28:29], s[26:27]
	s_cbranch_execz .LBB4_5350
; %bb.5211:                             ;   in Loop: Header=BB4_47 Depth=1
	v_accvgpr_read_b32 v1, a41
	v_add_co_u32_e32 v10, vcc, v2, v1
	v_accvgpr_read_b32 v1, a50
	v_addc_co_u32_e32 v11, vcc, v3, v1, vcc
	s_mov_b32 s9, 1
	s_mov_b64 s[34:35], -1
	s_mov_b64 s[30:31], 0
	v_mov_b32_e32 v7, 0
	s_branch .LBB4_5213
.LBB4_5212:                             ;   in Loop: Header=BB4_5213 Depth=2
	s_or_b64 exec, exec, s[26:27]
	v_add_u32_e32 v7, v6, v7
	v_cmp_ge_i32_e32 vcc, v7, v0
	s_xor_b64 s[26:27], s[34:35], -1
	s_or_b64 s[26:27], s[26:27], vcc
	s_and_b64 s[26:27], exec, s[26:27]
	s_or_b64 s[30:31], s[26:27], s[30:31]
	s_mov_b64 s[34:35], 0
	v_mov_b32_e32 v4, s9
	s_mov_b32 s9, 2
	s_andn2_b64 exec, exec, s[30:31]
	s_cbranch_execz .LBB4_5349
.LBB4_5213:                             ;   Parent Loop BB4_47 Depth=1
                                        ; =>  This Loop Header: Depth=2
                                        ;       Child Loop BB4_5221 Depth 3
                                        ;       Child Loop BB4_5245 Depth 3
	;; [unrolled: 1-line block ×9, first 2 shown]
	s_and_saveexec_b64 s[26:27], s[4:5]
	s_cbranch_execz .LBB4_5215
; %bb.5214:                             ;   in Loop: Header=BB4_5213 Depth=2
	s_trap 2
	ds_read_b128 v[2:5], v0
	v_ashrrev_i32_e32 v8, 31, v7
	s_waitcnt lgkmcnt(0)
	v_add_co_u32_e32 v1, vcc, v2, v10
	v_addc_co_u32_e32 v3, vcc, v3, v11, vcc
	v_add_co_u32_e32 v2, vcc, v1, v7
	v_addc_co_u32_e32 v3, vcc, v3, v8, vcc
	v_add_co_u32_e32 v1, vcc, v4, v10
	ds_write_b64 v0, v[2:3]
	v_addc_co_u32_e32 v2, vcc, v5, v11, vcc
	v_add_co_u32_e32 v1, vcc, v1, v7
	v_addc_co_u32_e32 v2, vcc, v2, v8, vcc
	v_cmp_ne_u64_e32 vcc, 0, v[4:5]
	v_cndmask_b32_e32 v3, 0, v2, vcc
	v_cndmask_b32_e32 v2, 0, v1, vcc
	ds_write_b64 v0, v[2:3]
.LBB4_5215:                             ;   in Loop: Header=BB4_5213 Depth=2
	s_or_b64 exec, exec, s[26:27]
	v_and_b32_e32 v1, 4, v60
	v_cmp_ne_u32_e32 vcc, 0, v1
	s_mov_b64 s[36:37], -1
	s_and_saveexec_b64 s[26:27], vcc
	s_cbranch_execz .LBB4_5225
; %bb.5216:                             ;   in Loop: Header=BB4_5213 Depth=2
	v_add_co_u32_e32 v2, vcc, 2, v44
	v_addc_co_u32_e32 v3, vcc, 0, v45, vcc
	v_cmp_lt_u64_e32 vcc, v[50:51], v[2:3]
	v_mov_b32_e32 v1, 1
	s_and_saveexec_b64 s[36:37], vcc
	s_cbranch_execz .LBB4_5236
; %bb.5217:                             ;   in Loop: Header=BB4_5213 Depth=2
	s_mov_b64 s[60:61], 0
	v_mov_b32_e32 v4, 0
                                        ; implicit-def: $sgpr62_sgpr63
	s_branch .LBB4_5221
.LBB4_5218:                             ;   in Loop: Header=BB4_5221 Depth=3
	s_or_b64 exec, exec, s[70:71]
	v_mov_b32_e32 v5, 0
	s_orn2_b64 s[68:69], s[68:69], exec
.LBB4_5219:                             ;   in Loop: Header=BB4_5221 Depth=3
	s_or_b64 exec, exec, s[66:67]
	s_andn2_b64 vcc, s[62:63], exec
	s_and_b64 s[62:63], s[68:69], exec
	s_or_b64 s[62:63], vcc, s[62:63]
	v_mov_b32_e32 v4, v5
.LBB4_5220:                             ;   in Loop: Header=BB4_5221 Depth=3
	s_or_b64 exec, exec, s[64:65]
	s_waitcnt vmcnt(0) lgkmcnt(0)
	v_cmp_ge_u64_e32 vcc, v[50:51], v[2:3]
	s_xor_b64 s[64:65], s[62:63], -1
	s_or_b64 vcc, s[64:65], vcc
	s_and_b64 vcc, exec, vcc
	s_or_b64 s[60:61], vcc, s[60:61]
	s_andn2_b64 exec, exec, s[60:61]
	s_cbranch_execz .LBB4_5235
.LBB4_5221:                             ;   Parent Loop BB4_47 Depth=1
                                        ;     Parent Loop BB4_5213 Depth=2
                                        ; =>    This Inner Loop Header: Depth=3
	s_sleep 1
	flat_load_dwordx2 v[50:51], v[48:49] glc
	v_and_b32_e32 v1, 64, v60
	v_cmp_eq_u32_e32 vcc, 0, v1
	s_andn2_b64 s[62:63], s[62:63], exec
	s_and_saveexec_b64 s[64:65], vcc
	s_cbranch_execz .LBB4_5220
; %bb.5222:                             ;   in Loop: Header=BB4_5221 Depth=3
	v_add_u32_e32 v5, 1, v4
	v_cmp_lt_i32_e32 vcc, s89, v4
	s_mov_b64 s[68:69], -1
	s_and_saveexec_b64 s[66:67], vcc
	s_cbranch_execz .LBB4_5219
; %bb.5223:                             ;   in Loop: Header=BB4_5221 Depth=3
	s_trap 2
	ds_read_b64 v[4:5], v0
	s_waitcnt vmcnt(0) lgkmcnt(0)
	flat_load_dword v1, v[4:5] glc
	s_waitcnt vmcnt(0) lgkmcnt(0)
	buffer_invl2
	buffer_wbinvl1_vol
	v_cmp_ne_u32_e32 vcc, 0, v1
	s_and_saveexec_b64 s[70:71], vcc
	s_cbranch_execz .LBB4_5218
; %bb.5224:                             ;   in Loop: Header=BB4_5221 Depth=3
	v_or_b32_e32 v60, 64, v60
	s_xor_b64 s[68:69], exec, -1
	ds_write_b32 v0, v1
	s_trap 2
	s_branch .LBB4_5218
.LBB4_5225:                             ;   in Loop: Header=BB4_5213 Depth=2
	s_or_b64 exec, exec, s[26:27]
	s_xor_b64 s[26:27], s[36:37], -1
	s_and_saveexec_b64 s[36:37], s[26:27]
	s_cbranch_execz .LBB4_5237
.LBB4_5226:                             ;   in Loop: Header=BB4_5213 Depth=2
	v_and_b32_e32 v1, 0x100, v60
	v_cmp_ne_u32_e32 vcc, 0, v1
	v_and_b32_e32 v8, 7, v44
	s_mov_b64 s[26:27], -1
                                        ; implicit-def: $vgpr2_vgpr3
	s_and_saveexec_b64 s[60:61], vcc
	s_cbranch_execz .LBB4_5230
; %bb.5227:                             ;   in Loop: Header=BB4_5213 Depth=2
	v_accvgpr_read_b32 v2, a12
	v_accvgpr_read_b32 v3, a13
	v_mad_u64_u32 v[4:5], s[26:27], v8, 24, v[2:3]
	flat_load_dword v1, v[4:5]
                                        ; implicit-def: $vgpr2_vgpr3
	s_waitcnt vmcnt(0) lgkmcnt(0)
	v_cmp_ne_u32_e32 vcc, 1, v1
	v_cmp_eq_u32_e64 s[26:27], 1, v1
	s_and_saveexec_b64 s[62:63], s[26:27]
	s_cbranch_execz .LBB4_5229
; %bb.5228:                             ;   in Loop: Header=BB4_5213 Depth=2
	flat_load_dword v2, v[4:5] offset:4 glc
	s_waitcnt vmcnt(0) lgkmcnt(0)
	v_ashrrev_i32_e32 v3, 31, v2
.LBB4_5229:                             ;   in Loop: Header=BB4_5213 Depth=2
	s_or_b64 exec, exec, s[62:63]
	s_orn2_b64 s[26:27], vcc, exec
.LBB4_5230:                             ;   in Loop: Header=BB4_5213 Depth=2
	s_or_b64 exec, exec, s[60:61]
	s_and_saveexec_b64 vcc, s[26:27]
; %bb.5231:                             ;   in Loop: Header=BB4_5213 Depth=2
	v_accvgpr_read_b32 v2, a16
	v_mad_i64_i32 v[2:3], s[26:27], v8, v2, 0
; %bb.5232:                             ;   in Loop: Header=BB4_5213 Depth=2
	s_or_b64 exec, exec, vcc
	v_accvgpr_read_b32 v4, a18
	v_accvgpr_read_b32 v5, a19
	v_add_co_u32_e32 v2, vcc, v4, v2
	v_addc_co_u32_e32 v3, vcc, v5, v3, vcc
	v_and_b32_e32 v1, 0x2000, v60
	v_cmp_ne_u32_e32 vcc, 0, v1
	ds_write_b64 v0, v[2:3] offset:720
	s_and_saveexec_b64 s[26:27], vcc
	s_cbranch_execz .LBB4_5234
; %bb.5233:                             ;   in Loop: Header=BB4_5213 Depth=2
	ds_read_b64 v[2:3], v0 offset:584
	s_waitcnt lgkmcnt(0)
	v_add_co_u32_e32 v2, vcc, 1, v2
	v_addc_co_u32_e32 v3, vcc, 0, v3, vcc
	ds_write_b64 v0, v[2:3] offset:584
.LBB4_5234:                             ;   in Loop: Header=BB4_5213 Depth=2
	s_or_b64 exec, exec, s[26:27]
	v_add_co_u32_e32 v44, vcc, 2, v44
	v_addc_co_u32_e32 v45, vcc, 0, v45, vcc
	s_or_b64 exec, exec, s[36:37]
	s_and_saveexec_b64 s[26:27], s[10:11]
	s_cbranch_execz .LBB4_5256
	s_branch .LBB4_5238
.LBB4_5235:                             ;   in Loop: Header=BB4_5213 Depth=2
	s_or_b64 exec, exec, s[60:61]
	v_and_b32_e32 v1, 4, v60
.LBB4_5236:                             ;   in Loop: Header=BB4_5213 Depth=2
	s_or_b64 exec, exec, s[36:37]
	v_cmp_eq_u32_e32 vcc, 0, v1
	s_orn2_b64 s[36:37], vcc, exec
	;;#ASMSTART
	s_wakeup
	;;#ASMEND
	s_or_b64 exec, exec, s[26:27]
	s_xor_b64 s[26:27], s[36:37], -1
	s_and_saveexec_b64 s[36:37], s[26:27]
	s_cbranch_execnz .LBB4_5226
.LBB4_5237:                             ;   in Loop: Header=BB4_5213 Depth=2
	s_or_b64 exec, exec, s[36:37]
	s_and_saveexec_b64 s[26:27], s[10:11]
	s_cbranch_execz .LBB4_5256
.LBB4_5238:                             ;   in Loop: Header=BB4_5213 Depth=2
	s_and_saveexec_b64 vcc, s[46:47]
	s_xor_b64 s[36:37], exec, vcc
	s_cbranch_execz .LBB4_5253
; %bb.5239:                             ;   in Loop: Header=BB4_5213 Depth=2
	s_and_saveexec_b64 s[60:61], s[16:17]
	s_cbranch_execz .LBB4_5252
; %bb.5240:                             ;   in Loop: Header=BB4_5213 Depth=2
	s_mov_b64 s[64:65], exec
	v_mbcnt_lo_u32_b32 v1, s64, 0
	v_mbcnt_hi_u32_b32 v1, s65, v1
	v_cmp_eq_u32_e32 vcc, 0, v1
	s_waitcnt vmcnt(0) lgkmcnt(0)
	buffer_wbinvl1_vol
	s_and_saveexec_b64 s[62:63], vcc
	s_cbranch_execz .LBB4_5242
; %bb.5241:                             ;   in Loop: Header=BB4_5213 Depth=2
	s_bcnt1_i32_b64 vcc_lo, s[64:65]
	v_mov_b32_e32 v58, vcc_lo
	ds_add_u64 v0, v[58:59]
	s_trap 2
.LBB4_5242:                             ;   in Loop: Header=BB4_5213 Depth=2
	s_or_b64 exec, exec, s[62:63]
	s_trap 2
	ds_read_b64 v[2:3], v0
	v_accvgpr_read_b32 v4, a14
	v_accvgpr_read_b32 v5, a15
	v_add_co_u32_e32 v4, vcc, v4, v24
	v_addc_co_u32_e32 v5, vcc, 0, v5, vcc
	v_accvgpr_write_b32 a15, v5
	v_accvgpr_write_b32 a14, v4
	s_waitcnt lgkmcnt(0)
	v_cmp_lt_u64_e32 vcc, v[2:3], v[4:5]
	s_and_saveexec_b64 s[62:63], vcc
	s_cbranch_execz .LBB4_5251
; %bb.5243:                             ;   in Loop: Header=BB4_5213 Depth=2
	s_mov_b32 s39, 0
	s_mov_b64 s[64:65], 0
                                        ; implicit-def: $sgpr66_sgpr67
                                        ; implicit-def: $sgpr68_sgpr69
	s_branch .LBB4_5245
.LBB4_5244:                             ;   in Loop: Header=BB4_5245 Depth=3
	s_or_b64 exec, exec, s[72:73]
	s_and_b64 vcc, exec, vcc
	s_or_b64 s[64:65], vcc, s[64:65]
	s_andn2_b64 vcc, s[66:67], exec
	s_and_b64 s[66:67], s[68:69], exec
	s_or_b64 s[66:67], vcc, s[66:67]
	s_andn2_b64 exec, exec, s[64:65]
	s_cbranch_execz .LBB4_5249
.LBB4_5245:                             ;   Parent Loop BB4_47 Depth=1
                                        ;     Parent Loop BB4_5213 Depth=2
                                        ; =>    This Inner Loop Header: Depth=3
	s_add_i32 s39, s39, 1
	s_cmpk_lg_i32 s39, 0x2710
	s_cselect_b64 s[70:71], -1, 0
	s_and_b64 vcc, exec, s[70:71]
                                        ; implicit-def: $sgpr72_sgpr73
	s_cbranch_vccnz .LBB4_5247
; %bb.5246:                             ;   in Loop: Header=BB4_5245 Depth=3
	s_trap 2
	ds_read_b64 v[2:3], v0
	s_andn2_b64 s[70:71], s[70:71], exec
	s_mov_b32 s39, 0
	s_mov_b64 s[72:73], -1
	s_waitcnt lgkmcnt(0)
	flat_load_dword v1, v[2:3] glc
	s_waitcnt vmcnt(0) lgkmcnt(0)
	buffer_invl2
	buffer_wbinvl1_vol
	v_cmp_eq_u32_e32 vcc, 0, v1
	s_and_b64 vcc, vcc, exec
	s_or_b64 s[70:71], s[70:71], vcc
.LBB4_5247:                             ;   in Loop: Header=BB4_5245 Depth=3
	s_andn2_b64 s[68:69], s[68:69], exec
	s_and_b64 s[72:73], s[72:73], exec
	s_mov_b64 vcc, -1
	s_or_b64 s[68:69], s[68:69], s[72:73]
	s_and_saveexec_b64 s[72:73], s[70:71]
	s_cbranch_execz .LBB4_5244
; %bb.5248:                             ;   in Loop: Header=BB4_5245 Depth=3
	s_sleep 1
	s_trap 2
	ds_read_b64 v[2:3], v0
	v_accvgpr_read_b32 v4, a14
	v_accvgpr_read_b32 v5, a15
	s_andn2_b64 s[68:69], s[68:69], exec
	s_waitcnt lgkmcnt(0)
	v_cmp_ge_u64_e32 vcc, v[2:3], v[4:5]
	s_orn2_b64 vcc, vcc, exec
	s_branch .LBB4_5244
.LBB4_5249:                             ;   in Loop: Header=BB4_5213 Depth=2
	s_or_b64 exec, exec, s[64:65]
	s_and_saveexec_b64 vcc, s[66:67]
	s_xor_b64 vcc, exec, vcc
	s_cbranch_execz .LBB4_5251
; %bb.5250:                             ;   in Loop: Header=BB4_5213 Depth=2
	v_mov_b32_e32 v1, 1
	ds_write_b32 v0, v1
	s_trap 2
.LBB4_5251:                             ;   in Loop: Header=BB4_5213 Depth=2
	s_or_b64 exec, exec, s[62:63]
	;;#ASMSTART
	s_wakeup
	;;#ASMEND
.LBB4_5252:                             ;   in Loop: Header=BB4_5213 Depth=2
	s_or_b64 exec, exec, s[60:61]
.LBB4_5253:                             ;   in Loop: Header=BB4_5213 Depth=2
	s_andn2_saveexec_b64 vcc, s[36:37]
	s_cbranch_execz .LBB4_5255
; %bb.5254:                             ;   in Loop: Header=BB4_5213 Depth=2
	s_waitcnt vmcnt(0) lgkmcnt(0)
	buffer_wbinvl1_vol
	s_barrier
.LBB4_5255:                             ;   in Loop: Header=BB4_5213 Depth=2
	s_or_b64 exec, exec, vcc
.LBB4_5256:                             ;   in Loop: Header=BB4_5213 Depth=2
	s_or_b64 exec, exec, s[26:27]
	s_trap 2
	ds_read_b32 v2, v0
	v_and_b32_e32 v1, 0x4000, v60
	v_cmp_ne_u32_e32 vcc, 0, v1
	s_xor_b64 s[26:27], s[6:7], -1
	s_and_b64 vcc, s[26:27], vcc
	s_and_saveexec_b64 s[26:27], vcc
	s_cbranch_execz .LBB4_5275
; %bb.5257:                             ;   in Loop: Header=BB4_5213 Depth=2
	s_and_saveexec_b64 vcc, s[46:47]
	s_xor_b64 s[36:37], exec, vcc
	s_cbranch_execz .LBB4_5272
; %bb.5258:                             ;   in Loop: Header=BB4_5213 Depth=2
	s_and_saveexec_b64 s[60:61], s[16:17]
	s_cbranch_execz .LBB4_5271
; %bb.5259:                             ;   in Loop: Header=BB4_5213 Depth=2
	s_mov_b64 s[64:65], exec
	v_mbcnt_lo_u32_b32 v1, s64, 0
	v_mbcnt_hi_u32_b32 v1, s65, v1
	v_cmp_eq_u32_e32 vcc, 0, v1
	s_waitcnt vmcnt(0) lgkmcnt(0)
	buffer_wbinvl1_vol
	s_and_saveexec_b64 s[62:63], vcc
	s_cbranch_execz .LBB4_5261
; %bb.5260:                             ;   in Loop: Header=BB4_5213 Depth=2
	s_bcnt1_i32_b64 vcc_lo, s[64:65]
	v_mov_b32_e32 v58, vcc_lo
	ds_add_u64 v0, v[58:59]
	s_trap 2
.LBB4_5261:                             ;   in Loop: Header=BB4_5213 Depth=2
	s_or_b64 exec, exec, s[62:63]
	s_trap 2
	ds_read_b64 v[4:5], v0
	v_accvgpr_read_b32 v8, a14
	v_accvgpr_read_b32 v9, a15
	v_add_co_u32_e32 v8, vcc, v8, v24
	v_addc_co_u32_e32 v9, vcc, 0, v9, vcc
	v_accvgpr_write_b32 a15, v9
	v_accvgpr_write_b32 a14, v8
	s_waitcnt lgkmcnt(0)
	v_cmp_lt_u64_e32 vcc, v[4:5], v[8:9]
	s_and_saveexec_b64 s[62:63], vcc
	s_cbranch_execz .LBB4_5270
; %bb.5262:                             ;   in Loop: Header=BB4_5213 Depth=2
	s_mov_b32 s39, 0
	s_mov_b64 s[64:65], 0
                                        ; implicit-def: $sgpr66_sgpr67
                                        ; implicit-def: $sgpr68_sgpr69
	s_branch .LBB4_5264
.LBB4_5263:                             ;   in Loop: Header=BB4_5264 Depth=3
	s_or_b64 exec, exec, s[72:73]
	s_and_b64 vcc, exec, vcc
	s_or_b64 s[64:65], vcc, s[64:65]
	s_andn2_b64 vcc, s[66:67], exec
	s_and_b64 s[66:67], s[68:69], exec
	s_or_b64 s[66:67], vcc, s[66:67]
	s_andn2_b64 exec, exec, s[64:65]
	s_cbranch_execz .LBB4_5268
.LBB4_5264:                             ;   Parent Loop BB4_47 Depth=1
                                        ;     Parent Loop BB4_5213 Depth=2
                                        ; =>    This Inner Loop Header: Depth=3
	s_add_i32 s39, s39, 1
	s_cmpk_lg_i32 s39, 0x2710
	s_cselect_b64 s[70:71], -1, 0
	s_and_b64 vcc, exec, s[70:71]
                                        ; implicit-def: $sgpr72_sgpr73
	s_cbranch_vccnz .LBB4_5266
; %bb.5265:                             ;   in Loop: Header=BB4_5264 Depth=3
	s_trap 2
	ds_read_b64 v[4:5], v0
	s_andn2_b64 s[70:71], s[70:71], exec
	s_mov_b32 s39, 0
	s_mov_b64 s[72:73], -1
	s_waitcnt lgkmcnt(0)
	flat_load_dword v1, v[4:5] glc
	s_waitcnt vmcnt(0) lgkmcnt(0)
	buffer_invl2
	buffer_wbinvl1_vol
	v_cmp_eq_u32_e32 vcc, 0, v1
	s_and_b64 vcc, vcc, exec
	s_or_b64 s[70:71], s[70:71], vcc
.LBB4_5266:                             ;   in Loop: Header=BB4_5264 Depth=3
	s_andn2_b64 s[68:69], s[68:69], exec
	s_and_b64 s[72:73], s[72:73], exec
	s_mov_b64 vcc, -1
	s_or_b64 s[68:69], s[68:69], s[72:73]
	s_and_saveexec_b64 s[72:73], s[70:71]
	s_cbranch_execz .LBB4_5263
; %bb.5267:                             ;   in Loop: Header=BB4_5264 Depth=3
	s_sleep 1
	s_trap 2
	ds_read_b64 v[4:5], v0
	v_accvgpr_read_b32 v8, a14
	v_accvgpr_read_b32 v9, a15
	s_andn2_b64 s[68:69], s[68:69], exec
	s_waitcnt lgkmcnt(0)
	v_cmp_ge_u64_e32 vcc, v[4:5], v[8:9]
	s_orn2_b64 vcc, vcc, exec
	s_branch .LBB4_5263
.LBB4_5268:                             ;   in Loop: Header=BB4_5213 Depth=2
	s_or_b64 exec, exec, s[64:65]
	s_and_saveexec_b64 vcc, s[66:67]
	s_xor_b64 vcc, exec, vcc
	s_cbranch_execz .LBB4_5270
; %bb.5269:                             ;   in Loop: Header=BB4_5213 Depth=2
	v_mov_b32_e32 v1, 1
	ds_write_b32 v0, v1
	s_trap 2
.LBB4_5270:                             ;   in Loop: Header=BB4_5213 Depth=2
	s_or_b64 exec, exec, s[62:63]
	;;#ASMSTART
	s_wakeup
	;;#ASMEND
.LBB4_5271:                             ;   in Loop: Header=BB4_5213 Depth=2
	s_or_b64 exec, exec, s[60:61]
.LBB4_5272:                             ;   in Loop: Header=BB4_5213 Depth=2
	s_andn2_saveexec_b64 vcc, s[36:37]
	s_cbranch_execz .LBB4_5274
; %bb.5273:                             ;   in Loop: Header=BB4_5213 Depth=2
	s_waitcnt vmcnt(0) lgkmcnt(0)
	buffer_wbinvl1_vol
	s_barrier
.LBB4_5274:                             ;   in Loop: Header=BB4_5213 Depth=2
	s_or_b64 exec, exec, vcc
.LBB4_5275:                             ;   in Loop: Header=BB4_5213 Depth=2
	s_or_b64 exec, exec, s[26:27]
	s_trap 2
	ds_read_b64 v[4:5], v0
	v_sub_u32_e32 v1, v0, v7
	v_min_i32_e32 v6, v6, v1
	v_mov_b32_e32 v12, 0
	s_waitcnt lgkmcnt(0)
	v_readfirstlane_b32 s26, v4
	v_readfirstlane_b32 s27, v5
	s_cmp_eq_u64 s[26:27], 0
	s_cselect_b64 s[26:27], -1, 0
	s_or_b64 s[26:27], s[26:27], s[26:27]
	s_and_b64 vcc, exec, s[26:27]
	s_cbranch_vccnz .LBB4_5291
; %bb.5276:                             ;   in Loop: Header=BB4_5213 Depth=2
	s_mov_b64 s[26:27], -1
	s_and_saveexec_b64 s[36:37], s[20:21]
	s_cbranch_execz .LBB4_5278
; %bb.5277:                             ;   in Loop: Header=BB4_5213 Depth=2
	ds_read_b32 v1, v0 offset:720
	s_waitcnt lgkmcnt(0)
	v_and_b32_e32 v1, 15, v1
	v_cmp_eq_u32_e32 vcc, 0, v1
	s_orn2_b64 s[26:27], vcc, exec
.LBB4_5278:                             ;   in Loop: Header=BB4_5213 Depth=2
	s_or_b64 exec, exec, s[36:37]
	s_and_saveexec_b64 s[36:37], s[18:19]
	s_cbranch_execz .LBB4_5280
; %bb.5279:                             ;   in Loop: Header=BB4_5213 Depth=2
	ds_read_b32 v1, v0 offset:784
	s_waitcnt lgkmcnt(0)
	v_and_b32_e32 v1, 15, v1
	v_cmp_eq_u32_e32 vcc, 0, v1
	s_and_b64 vcc, s[26:27], vcc
	s_andn2_b64 s[26:27], s[26:27], exec
	s_and_b64 vcc, vcc, exec
	s_or_b64 s[26:27], s[26:27], vcc
.LBB4_5280:                             ;   in Loop: Header=BB4_5213 Depth=2
	s_or_b64 exec, exec, s[36:37]
	v_cmp_eq_u32_e32 vcc, 0, v2
	s_xor_b64 s[26:27], s[26:27], -1
	v_cndmask_b32_e32 v12, 0, v6, vcc
	v_cndmask_b32_e64 v1, 0, 1, s[26:27]
	v_mov_b32_e32 v13, 0
	s_mov_b64 s[60:61], -1
	;;#ASMSTART
	;;#ASMEND
	v_cmp_ne_u32_e32 vcc, 0, v1
	v_mov_b32_e32 v14, v12
	v_mov_b32_e32 v15, v40
	v_accvgpr_read_b32 v4, a29
	s_cbranch_vccz .LBB4_5303
; %bb.5281:                             ;   in Loop: Header=BB4_5213 Depth=2
	s_and_saveexec_b64 s[26:27], s[60:61]
	s_cbranch_execz .LBB4_5316
.LBB4_5282:                             ;   in Loop: Header=BB4_5213 Depth=2
	v_ashrrev_i32_e32 v1, 31, v14
	v_lshrrev_b32_e32 v1, 22, v1
	v_add_u32_e32 v1, v14, v1
	v_ashrrev_i32_e32 v18, 10, v1
	v_sub_u32_e32 v16, v18, v4
	v_ashrrev_i32_e32 v1, 31, v15
	v_cmp_lt_i32_e32 vcc, 0, v16
	v_lshrrev_b32_e32 v17, 26, v1
	s_and_saveexec_b64 s[36:37], vcc
	s_cbranch_execz .LBB4_5286
; %bb.5283:                             ;   in Loop: Header=BB4_5213 Depth=2
	s_trap 2
	ds_read_b64 v[2:3], v0
	v_add_u32_e32 v1, v15, v17
	v_and_b32_e32 v1, 0xffffffc0, v1
	v_sub_u32_e32 v1, v15, v1
	v_lshlrev_b32_e32 v4, 10, v4
	v_add3_u32 v4, v13, v1, v4
	v_ashrrev_i32_e32 v5, 31, v4
	s_mov_b64 s[60:61], 0
	s_waitcnt lgkmcnt(0)
	v_pk_mov_b32 v[8:9], v[2:3], v[2:3] op_sel:[0,1]
	v_mov_b32_e32 v36, v24
	v_accvgpr_read_b32 v37, a39
	v_accvgpr_read_b32 v38, a40
.LBB4_5284:                             ;   Parent Loop BB4_47 Depth=1
                                        ;     Parent Loop BB4_5213 Depth=2
                                        ; =>    This Inner Loop Header: Depth=3
	v_add_co_u32_e32 v20, vcc, v4, v8
	v_addc_co_u32_e32 v21, vcc, v5, v9, vcc
	flat_load_ubyte v1, v[20:21] glc slc
	flat_load_ubyte v19, v[20:21] offset:64 glc slc
	flat_load_ubyte v22, v[20:21] offset:128 glc slc
	;; [unrolled: 1-line block ×15, first 2 shown]
	v_add_co_u32_e32 v20, vcc, v4, v2
	v_addc_co_u32_e32 v21, vcc, v5, v3, vcc
	v_add_co_u32_e32 v8, vcc, v8, v37
	v_addc_co_u32_e32 v9, vcc, v9, v38, vcc
	v_add_co_u32_e32 v2, vcc, v2, v37
	v_sub_u32_e32 v16, v16, v36
	v_addc_co_u32_e32 v3, vcc, v3, v38, vcc
	v_cmp_gt_i32_e32 vcc, 1, v16
	s_or_b64 s[60:61], vcc, s[60:61]
	s_waitcnt vmcnt(0) lgkmcnt(0)
	flat_store_byte v[20:21], v1 glc slc
	flat_store_byte v[20:21], v19 offset:64 glc slc
	flat_store_byte v[20:21], v22 offset:128 glc slc
	;; [unrolled: 1-line block ×15, first 2 shown]
	s_andn2_b64 exec, exec, s[60:61]
	s_cbranch_execnz .LBB4_5284
; %bb.5285:                             ;   in Loop: Header=BB4_5213 Depth=2
	s_or_b64 exec, exec, s[60:61]
	v_mov_b32_e32 v24, v36
.LBB4_5286:                             ;   in Loop: Header=BB4_5213 Depth=2
	s_or_b64 exec, exec, s[36:37]
	v_lshlrev_b32_e32 v1, 10, v18
	v_cmp_ne_u32_e32 vcc, v14, v1
	s_mov_b64 s[36:37], exec
	s_and_b64 vcc, s[36:37], vcc
	v_accvgpr_read_b32 v9, a34
	v_accvgpr_read_b32 v18, a35
	s_mov_b64 exec, vcc
	s_cbranch_execz .LBB4_5290
; %bb.5287:                             ;   in Loop: Header=BB4_5213 Depth=2
	v_add_u32_e32 v2, v15, v17
	v_and_b32_e32 v2, 0xffffffc0, v2
	v_sub_u32_e32 v2, v15, v2
	v_lshlrev_b32_e32 v3, 6, v16
	v_sub_u32_e32 v2, v2, v3
	v_add_u32_e32 v1, v1, v2
	v_sub_u32_e32 v8, v14, v1
	v_cmp_lt_i32_e32 vcc, 0, v8
	s_and_b64 exec, exec, vcc
	s_cbranch_execz .LBB4_5290
; %bb.5288:                             ;   in Loop: Header=BB4_5213 Depth=2
	s_trap 2
	ds_read_b64 v[2:3], v0
	v_add_u32_e32 v4, v1, v13
	v_ashrrev_i32_e32 v5, 31, v4
	s_mov_b64 s[60:61], 0
.LBB4_5289:                             ;   Parent Loop BB4_47 Depth=1
                                        ;     Parent Loop BB4_5213 Depth=2
                                        ; =>    This Inner Loop Header: Depth=3
	s_waitcnt lgkmcnt(0)
	v_add_co_u32_e32 v14, vcc, v2, v4
	v_addc_co_u32_e32 v15, vcc, v3, v5, vcc
	flat_load_ubyte v1, v[14:15] glc slc
	v_add_co_u32_e32 v4, vcc, v4, v9
	v_sub_u32_e32 v8, v8, v41
	v_addc_co_u32_e32 v5, vcc, v5, v18, vcc
	v_cmp_gt_i32_e32 vcc, 1, v8
	s_or_b64 s[60:61], vcc, s[60:61]
	s_waitcnt vmcnt(0) lgkmcnt(0)
	flat_store_byte v[14:15], v1 glc slc
	s_andn2_b64 exec, exec, s[60:61]
	s_cbranch_execnz .LBB4_5289
.LBB4_5290:                             ;   in Loop: Header=BB4_5213 Depth=2
	s_or_b64 exec, exec, s[36:37]
	s_or_b64 exec, exec, s[26:27]
	s_and_saveexec_b64 s[26:27], s[10:11]
	s_cbranch_execz .LBB4_5317
	s_branch .LBB4_5292
.LBB4_5291:                             ;   in Loop: Header=BB4_5213 Depth=2
	s_and_saveexec_b64 s[26:27], s[10:11]
	s_cbranch_execz .LBB4_5317
.LBB4_5292:                             ;   in Loop: Header=BB4_5213 Depth=2
	s_and_saveexec_b64 vcc, s[46:47]
	s_xor_b64 s[36:37], exec, vcc
	s_cbranch_execz .LBB4_5325
; %bb.5293:                             ;   in Loop: Header=BB4_5213 Depth=2
	s_and_saveexec_b64 s[60:61], s[16:17]
	s_cbranch_execz .LBB4_5324
; %bb.5294:                             ;   in Loop: Header=BB4_5213 Depth=2
	s_mov_b64 s[64:65], exec
	v_mbcnt_lo_u32_b32 v1, s64, 0
	v_mbcnt_hi_u32_b32 v1, s65, v1
	v_cmp_eq_u32_e32 vcc, 0, v1
	s_waitcnt vmcnt(0) lgkmcnt(0)
	buffer_wbinvl1_vol
	s_and_saveexec_b64 s[62:63], vcc
	s_cbranch_execz .LBB4_5296
; %bb.5295:                             ;   in Loop: Header=BB4_5213 Depth=2
	s_bcnt1_i32_b64 vcc_lo, s[64:65]
	v_mov_b32_e32 v58, vcc_lo
	ds_add_u64 v0, v[58:59]
	s_trap 2
.LBB4_5296:                             ;   in Loop: Header=BB4_5213 Depth=2
	s_or_b64 exec, exec, s[62:63]
	s_trap 2
	ds_read_b64 v[2:3], v0
	v_accvgpr_read_b32 v4, a14
	v_accvgpr_read_b32 v5, a15
	v_add_co_u32_e32 v4, vcc, v4, v24
	v_addc_co_u32_e32 v5, vcc, 0, v5, vcc
	v_accvgpr_write_b32 a15, v5
	v_accvgpr_write_b32 a14, v4
	s_waitcnt lgkmcnt(0)
	v_cmp_lt_u64_e32 vcc, v[2:3], v[4:5]
	s_and_saveexec_b64 s[62:63], vcc
	s_cbranch_execz .LBB4_5323
; %bb.5297:                             ;   in Loop: Header=BB4_5213 Depth=2
	s_mov_b32 s39, 0
	s_mov_b64 s[64:65], 0
                                        ; implicit-def: $sgpr66_sgpr67
                                        ; implicit-def: $sgpr68_sgpr69
	s_branch .LBB4_5299
.LBB4_5298:                             ;   in Loop: Header=BB4_5299 Depth=3
	s_or_b64 exec, exec, s[72:73]
	s_and_b64 vcc, exec, vcc
	s_or_b64 s[64:65], vcc, s[64:65]
	s_andn2_b64 vcc, s[66:67], exec
	s_and_b64 s[66:67], s[68:69], exec
	s_or_b64 s[66:67], vcc, s[66:67]
	s_andn2_b64 exec, exec, s[64:65]
	s_cbranch_execz .LBB4_5321
.LBB4_5299:                             ;   Parent Loop BB4_47 Depth=1
                                        ;     Parent Loop BB4_5213 Depth=2
                                        ; =>    This Inner Loop Header: Depth=3
	s_add_i32 s39, s39, 1
	s_cmpk_lg_i32 s39, 0x2710
	s_cselect_b64 s[70:71], -1, 0
	s_and_b64 vcc, exec, s[70:71]
                                        ; implicit-def: $sgpr72_sgpr73
	s_cbranch_vccnz .LBB4_5301
; %bb.5300:                             ;   in Loop: Header=BB4_5299 Depth=3
	s_trap 2
	ds_read_b64 v[2:3], v0
	s_andn2_b64 s[70:71], s[70:71], exec
	s_mov_b32 s39, 0
	s_mov_b64 s[72:73], -1
	s_waitcnt lgkmcnt(0)
	flat_load_dword v1, v[2:3] glc
	s_waitcnt vmcnt(0) lgkmcnt(0)
	buffer_invl2
	buffer_wbinvl1_vol
	v_cmp_eq_u32_e32 vcc, 0, v1
	s_and_b64 vcc, vcc, exec
	s_or_b64 s[70:71], s[70:71], vcc
.LBB4_5301:                             ;   in Loop: Header=BB4_5299 Depth=3
	s_andn2_b64 s[68:69], s[68:69], exec
	s_and_b64 s[72:73], s[72:73], exec
	s_mov_b64 vcc, -1
	s_or_b64 s[68:69], s[68:69], s[72:73]
	s_and_saveexec_b64 s[72:73], s[70:71]
	s_cbranch_execz .LBB4_5298
; %bb.5302:                             ;   in Loop: Header=BB4_5299 Depth=3
	s_sleep 1
	s_trap 2
	ds_read_b64 v[2:3], v0
	v_accvgpr_read_b32 v4, a14
	v_accvgpr_read_b32 v5, a15
	s_andn2_b64 s[68:69], s[68:69], exec
	s_waitcnt lgkmcnt(0)
	v_cmp_ge_u64_e32 vcc, v[2:3], v[4:5]
	s_orn2_b64 vcc, vcc, exec
	s_branch .LBB4_5298
.LBB4_5303:                             ;   in Loop: Header=BB4_5213 Depth=2
	v_ashrrev_i32_e32 v1, 31, v12
	v_lshrrev_b32_e32 v1, 21, v1
	v_add_u32_e32 v1, v12, v1
	v_ashrrev_i32_e32 v8, 11, v1
	v_accvgpr_read_b32 v1, a29
	v_sub_u32_e32 v9, v8, v1
	v_cmp_lt_i32_e32 vcc, 0, v9
	s_and_saveexec_b64 s[26:27], vcc
	s_cbranch_execz .LBB4_5307
; %bb.5304:                             ;   in Loop: Header=BB4_5213 Depth=2
	s_trap 2
	ds_read_b64 v[2:3], v0
	v_accvgpr_read_b32 v4, a42
	s_mov_b64 s[36:37], 0
	v_accvgpr_read_b32 v5, a43
	v_accvgpr_read_b32 v1, a31
	;; [unrolled: 1-line block ×3, first 2 shown]
.LBB4_5305:                             ;   Parent Loop BB4_47 Depth=1
                                        ;     Parent Loop BB4_5213 Depth=2
                                        ; =>    This Inner Loop Header: Depth=3
	s_waitcnt lgkmcnt(0)
	v_add_co_u32_e32 v22, vcc, v2, v4
	v_addc_co_u32_e32 v23, vcc, v3, v5, vcc
	global_load_dwordx4 v[14:17], v[22:23], off glc slc
	global_load_dwordx4 v[18:21], v[22:23], off offset:1024 glc slc
	v_add_co_u32_e32 v4, vcc, v4, v1
	v_sub_u32_e32 v9, v9, v24
	v_addc_co_u32_e32 v5, vcc, v5, v13, vcc
	v_cmp_gt_i32_e32 vcc, 1, v9
	s_or_b64 s[36:37], vcc, s[36:37]
	s_waitcnt vmcnt(0)
	global_store_dwordx4 v[22:23], v[14:17], off glc slc
	global_store_dwordx4 v[22:23], v[18:21], off offset:1024 glc slc
	s_andn2_b64 exec, exec, s[36:37]
	s_cbranch_execnz .LBB4_5305
; %bb.5306:                             ;   in Loop: Header=BB4_5213 Depth=2
	s_or_b64 exec, exec, s[36:37]
.LBB4_5307:                             ;   in Loop: Header=BB4_5213 Depth=2
	s_or_b64 exec, exec, s[26:27]
	v_lshlrev_b32_e32 v8, 11, v8
	v_cmp_ne_u32_e32 vcc, v12, v8
	s_mov_b64 s[60:61], 0
	v_mov_b32_e32 v13, 0
                                        ; implicit-def: $vgpr14
                                        ; implicit-def: $vgpr15
                                        ; implicit-def: $vgpr4
	s_and_saveexec_b64 s[36:37], vcc
	s_cbranch_execz .LBB4_5315
; %bb.5308:                             ;   in Loop: Header=BB4_5213 Depth=2
	v_lshlrev_b32_e32 v1, 6, v9
	v_accvgpr_read_b32 v3, a38
	v_sub_u32_e32 v1, v3, v1
	v_ashrrev_i32_e32 v3, 31, v1
	v_lshrrev_b32_e32 v3, 26, v3
	v_add_u32_e32 v3, v1, v3
	v_sub_u32_e32 v2, v12, v8
	v_ashrrev_i32_e32 v4, 6, v3
	v_and_b32_e32 v3, 0xffffffc0, v3
	v_sub_u32_e32 v9, v1, v3
	v_ashrrev_i32_e32 v3, 31, v2
	v_lshrrev_b32_e32 v3, 22, v3
	v_add_u32_e32 v3, v2, v3
	v_and_b32_e32 v16, 0xfffffc00, v3
	v_lshlrev_b32_e32 v1, 4, v9
	v_sub_u32_e32 v18, v2, v16
	v_lshl_add_u32 v1, v4, 10, v1
	v_ashrrev_i32_e32 v5, 10, v3
	v_cmp_lt_i32_e32 vcc, 15, v18
	v_sub_u32_e32 v13, v2, v1
	v_addc_co_u32_e64 v2, s[26:27], 0, v5, vcc
	v_sub_u32_e32 v17, v2, v4
	v_cmp_lt_i32_e64 s[26:27], 15, v13
	s_and_saveexec_b64 s[60:61], s[26:27]
	s_cbranch_execz .LBB4_5312
; %bb.5309:                             ;   in Loop: Header=BB4_5213 Depth=2
	s_trap 2
	ds_read_b64 v[2:3], v0
	v_add_u32_e32 v4, v1, v8
	v_ashrrev_i32_e32 v5, 31, v4
	s_mov_b64 s[62:63], 0
	v_accvgpr_read_b32 v1, a26
	v_accvgpr_read_b32 v19, a39
	;; [unrolled: 1-line block ×3, first 2 shown]
.LBB4_5310:                             ;   Parent Loop BB4_47 Depth=1
                                        ;     Parent Loop BB4_5213 Depth=2
                                        ; =>    This Inner Loop Header: Depth=3
	s_waitcnt lgkmcnt(0)
	v_add_co_u32_e64 v14, s[26:27], v2, v4
	v_addc_co_u32_e64 v15, s[26:27], v3, v5, s[26:27]
	global_load_dwordx4 v[20:23], v[14:15], off glc slc
	v_add_co_u32_e64 v4, s[26:27], v4, v19
	v_sub_u32_e32 v13, v13, v1
	v_addc_co_u32_e64 v5, s[26:27], v5, v25, s[26:27]
	v_cmp_gt_i32_e64 s[26:27], 16, v13
	v_sub_u32_e32 v17, v17, v24
	s_or_b64 s[62:63], s[26:27], s[62:63]
	s_waitcnt vmcnt(0)
	global_store_dwordx4 v[14:15], v[20:23], off glc slc
	s_andn2_b64 exec, exec, s[62:63]
	s_cbranch_execnz .LBB4_5310
; %bb.5311:                             ;   in Loop: Header=BB4_5213 Depth=2
	s_or_b64 exec, exec, s[62:63]
.LBB4_5312:                             ;   in Loop: Header=BB4_5213 Depth=2
	s_or_b64 exec, exec, s[60:61]
	v_and_b32_e32 v1, 15, v12
	v_cndmask_b32_e32 v14, v18, v1, vcc
	v_cmp_ne_u32_e64 s[26:27], 0, v14
	s_mov_b64 s[60:61], 0
	v_mov_b32_e32 v13, 0
                                        ; implicit-def: $vgpr15
                                        ; implicit-def: $vgpr4
	s_and_saveexec_b64 s[62:63], s[26:27]
	s_cbranch_execz .LBB4_5314
; %bb.5313:                             ;   in Loop: Header=BB4_5213 Depth=2
	v_sub_u32_e32 v1, v18, v1
	v_cndmask_b32_e32 v1, 0, v1, vcc
	v_cmp_lt_i32_e32 vcc, 0, v17
	v_add3_u32 v13, v16, v8, v1
	v_cndmask_b32_e32 v1, 0, v24, vcc
	v_sub_u32_e32 v1, v1, v17
	v_lshl_add_u32 v15, v1, 6, v9
	v_ashrrev_i32_e32 v1, 31, v15
	v_lshrrev_b32_e32 v1, 26, v1
	v_add_u32_e32 v1, v15, v1
	s_mov_b64 s[60:61], exec
	v_ashrrev_i32_e32 v4, 6, v1
.LBB4_5314:                             ;   in Loop: Header=BB4_5213 Depth=2
	s_or_b64 exec, exec, s[62:63]
	s_and_b64 s[60:61], s[60:61], exec
.LBB4_5315:                             ;   in Loop: Header=BB4_5213 Depth=2
	s_or_b64 exec, exec, s[36:37]
	s_and_saveexec_b64 s[26:27], s[60:61]
	s_cbranch_execnz .LBB4_5282
.LBB4_5316:                             ;   in Loop: Header=BB4_5213 Depth=2
	s_or_b64 exec, exec, s[26:27]
	s_and_saveexec_b64 s[26:27], s[10:11]
	s_cbranch_execnz .LBB4_5292
.LBB4_5317:                             ;   in Loop: Header=BB4_5213 Depth=2
	s_or_b64 exec, exec, s[26:27]
	s_and_saveexec_b64 s[26:27], s[24:25]
	s_xor_b64 s[36:37], exec, s[26:27]
	s_cbranch_execz .LBB4_5328
.LBB4_5318:                             ;   in Loop: Header=BB4_5213 Depth=2
	v_and_b32_e32 v1, 16, v60
	v_cmp_lt_i32_e32 vcc, 0, v12
	v_cmp_ne_u32_e64 s[26:27], 0, v1
	s_and_b64 vcc, s[26:27], vcc
	s_and_saveexec_b64 s[26:27], vcc
	s_cbranch_execz .LBB4_5320
; %bb.5319:                             ;   in Loop: Header=BB4_5213 Depth=2
	s_waitcnt vmcnt(0) lgkmcnt(0)
	buffer_wbinvl1_vol
.LBB4_5320:                             ;   in Loop: Header=BB4_5213 Depth=2
	s_or_b64 exec, exec, s[26:27]
	s_andn2_saveexec_b64 s[26:27], s[36:37]
	s_cbranch_execz .LBB4_5347
	s_branch .LBB4_5329
.LBB4_5321:                             ;   in Loop: Header=BB4_5213 Depth=2
	s_or_b64 exec, exec, s[64:65]
	s_and_saveexec_b64 vcc, s[66:67]
	s_xor_b64 vcc, exec, vcc
	s_cbranch_execz .LBB4_5323
; %bb.5322:                             ;   in Loop: Header=BB4_5213 Depth=2
	v_mov_b32_e32 v1, 1
	ds_write_b32 v0, v1
	s_trap 2
.LBB4_5323:                             ;   in Loop: Header=BB4_5213 Depth=2
	s_or_b64 exec, exec, s[62:63]
	;;#ASMSTART
	s_wakeup
	;;#ASMEND
.LBB4_5324:                             ;   in Loop: Header=BB4_5213 Depth=2
	s_or_b64 exec, exec, s[60:61]
.LBB4_5325:                             ;   in Loop: Header=BB4_5213 Depth=2
	s_andn2_saveexec_b64 vcc, s[36:37]
	s_cbranch_execz .LBB4_5327
; %bb.5326:                             ;   in Loop: Header=BB4_5213 Depth=2
	s_waitcnt vmcnt(0) lgkmcnt(0)
	buffer_wbinvl1_vol
	s_barrier
.LBB4_5327:                             ;   in Loop: Header=BB4_5213 Depth=2
	s_or_b64 exec, exec, vcc
	s_or_b64 exec, exec, s[26:27]
	s_and_saveexec_b64 s[26:27], s[24:25]
	s_xor_b64 s[36:37], exec, s[26:27]
	s_cbranch_execnz .LBB4_5318
.LBB4_5328:                             ;   in Loop: Header=BB4_5213 Depth=2
	s_andn2_saveexec_b64 s[26:27], s[36:37]
	s_cbranch_execz .LBB4_5347
.LBB4_5329:                             ;   in Loop: Header=BB4_5213 Depth=2
	s_and_saveexec_b64 vcc, s[46:47]
	s_xor_b64 s[36:37], exec, vcc
	s_cbranch_execz .LBB4_5344
; %bb.5330:                             ;   in Loop: Header=BB4_5213 Depth=2
	s_and_saveexec_b64 s[60:61], s[16:17]
	s_cbranch_execz .LBB4_5343
; %bb.5331:                             ;   in Loop: Header=BB4_5213 Depth=2
	s_mov_b64 s[64:65], exec
	v_mbcnt_lo_u32_b32 v1, s64, 0
	v_mbcnt_hi_u32_b32 v1, s65, v1
	v_cmp_eq_u32_e32 vcc, 0, v1
	;;#ASMSTART
	s_waitcnt lgkmcnt(0) vmcnt(0)
	;;#ASMEND
	s_and_saveexec_b64 s[62:63], vcc
	s_cbranch_execz .LBB4_5333
; %bb.5332:                             ;   in Loop: Header=BB4_5213 Depth=2
	s_bcnt1_i32_b64 vcc_lo, s[64:65]
	v_mov_b32_e32 v58, vcc_lo
	ds_add_u64 v0, v[58:59]
	s_trap 2
.LBB4_5333:                             ;   in Loop: Header=BB4_5213 Depth=2
	s_or_b64 exec, exec, s[62:63]
	s_trap 2
	ds_read_b64 v[2:3], v0
	v_accvgpr_read_b32 v4, a14
	v_accvgpr_read_b32 v5, a15
	v_add_co_u32_e32 v4, vcc, v4, v24
	v_addc_co_u32_e32 v5, vcc, 0, v5, vcc
	v_accvgpr_write_b32 a15, v5
	v_accvgpr_write_b32 a14, v4
	s_waitcnt lgkmcnt(0)
	v_cmp_lt_u64_e32 vcc, v[2:3], v[4:5]
	s_and_saveexec_b64 s[62:63], vcc
	s_cbranch_execz .LBB4_5342
; %bb.5334:                             ;   in Loop: Header=BB4_5213 Depth=2
	s_mov_b32 s39, 0
	s_mov_b64 s[64:65], 0
                                        ; implicit-def: $sgpr66_sgpr67
                                        ; implicit-def: $sgpr68_sgpr69
	s_branch .LBB4_5336
.LBB4_5335:                             ;   in Loop: Header=BB4_5336 Depth=3
	s_or_b64 exec, exec, s[72:73]
	s_and_b64 vcc, exec, vcc
	s_or_b64 s[64:65], vcc, s[64:65]
	s_andn2_b64 vcc, s[66:67], exec
	s_and_b64 s[66:67], s[68:69], exec
	s_or_b64 s[66:67], vcc, s[66:67]
	s_andn2_b64 exec, exec, s[64:65]
	s_cbranch_execz .LBB4_5340
.LBB4_5336:                             ;   Parent Loop BB4_47 Depth=1
                                        ;     Parent Loop BB4_5213 Depth=2
                                        ; =>    This Inner Loop Header: Depth=3
	s_add_i32 s39, s39, 1
	s_cmpk_lg_i32 s39, 0x2710
	s_cselect_b64 s[70:71], -1, 0
	s_and_b64 vcc, exec, s[70:71]
                                        ; implicit-def: $sgpr72_sgpr73
	s_cbranch_vccnz .LBB4_5338
; %bb.5337:                             ;   in Loop: Header=BB4_5336 Depth=3
	s_trap 2
	ds_read_b64 v[2:3], v0
	s_andn2_b64 s[70:71], s[70:71], exec
	s_mov_b32 s39, 0
	s_mov_b64 s[72:73], -1
	s_waitcnt vmcnt(0) lgkmcnt(0)
	flat_load_dword v1, v[2:3] glc
	s_waitcnt vmcnt(0) lgkmcnt(0)
	buffer_invl2
	buffer_wbinvl1_vol
	v_cmp_eq_u32_e32 vcc, 0, v1
	s_and_b64 vcc, vcc, exec
	s_or_b64 s[70:71], s[70:71], vcc
.LBB4_5338:                             ;   in Loop: Header=BB4_5336 Depth=3
	s_andn2_b64 s[68:69], s[68:69], exec
	s_and_b64 s[72:73], s[72:73], exec
	s_mov_b64 vcc, -1
	s_or_b64 s[68:69], s[68:69], s[72:73]
	s_and_saveexec_b64 s[72:73], s[70:71]
	s_cbranch_execz .LBB4_5335
; %bb.5339:                             ;   in Loop: Header=BB4_5336 Depth=3
	s_sleep 1
	s_trap 2
	ds_read_b64 v[2:3], v0
	v_accvgpr_read_b32 v4, a14
	v_accvgpr_read_b32 v5, a15
	s_andn2_b64 s[68:69], s[68:69], exec
	s_waitcnt lgkmcnt(0)
	v_cmp_ge_u64_e32 vcc, v[2:3], v[4:5]
	s_orn2_b64 vcc, vcc, exec
	s_branch .LBB4_5335
.LBB4_5340:                             ;   in Loop: Header=BB4_5213 Depth=2
	s_or_b64 exec, exec, s[64:65]
	s_and_saveexec_b64 vcc, s[66:67]
	s_xor_b64 vcc, exec, vcc
	s_cbranch_execz .LBB4_5342
; %bb.5341:                             ;   in Loop: Header=BB4_5213 Depth=2
	v_mov_b32_e32 v1, 1
	ds_write_b32 v0, v1
	s_trap 2
.LBB4_5342:                             ;   in Loop: Header=BB4_5213 Depth=2
	s_or_b64 exec, exec, s[62:63]
	;;#ASMSTART
	s_wakeup
	;;#ASMEND
.LBB4_5343:                             ;   in Loop: Header=BB4_5213 Depth=2
	s_or_b64 exec, exec, s[60:61]
.LBB4_5344:                             ;   in Loop: Header=BB4_5213 Depth=2
	s_andn2_saveexec_b64 vcc, s[36:37]
	s_cbranch_execz .LBB4_5346
; %bb.5345:                             ;   in Loop: Header=BB4_5213 Depth=2
	;;#ASMSTART
	s_waitcnt lgkmcnt(0) vmcnt(0)
	;;#ASMEND
	s_barrier
.LBB4_5346:                             ;   in Loop: Header=BB4_5213 Depth=2
	s_or_b64 exec, exec, vcc
.LBB4_5347:                             ;   in Loop: Header=BB4_5213 Depth=2
	s_or_b64 exec, exec, s[26:27]
	v_and_b32_e32 v1, 32, v60
	v_cmp_ne_u32_e32 vcc, 0, v1
	s_and_saveexec_b64 s[26:27], vcc
	s_cbranch_execz .LBB4_5212
; %bb.5348:                             ;   in Loop: Header=BB4_5213 Depth=2
	v_add_co_u32_e32 v44, vcc, 2, v44
	v_addc_co_u32_e32 v45, vcc, 0, v45, vcc
	flat_store_dwordx2 v[48:49], v[44:45]
	s_branch .LBB4_5212
.LBB4_5349:                             ;   in Loop: Header=BB4_47 Depth=1
	s_or_b64 exec, exec, s[30:31]
.LBB4_5350:                             ;   in Loop: Header=BB4_47 Depth=1
	s_or_b64 exec, exec, s[28:29]
	v_cmp_gt_i32_e32 vcc, 2, v4
	s_and_saveexec_b64 s[28:29], vcc
	s_cbranch_execnz .LBB4_5351
; %bb.5465:                             ;   in Loop: Header=BB4_47 Depth=1
	s_getpc_b64 s[98:99]
.Lpost_getpc8:
	s_add_u32 s98, s98, (.LBB4_46-.Lpost_getpc8)&4294967295
	s_addc_u32 s99, s99, (.LBB4_46-.Lpost_getpc8)>>32
	s_setpc_b64 s[98:99]
.LBB4_5351:                             ;   in Loop: Header=BB4_47 Depth=1
	v_cmp_eq_u32_e64 s[26:27], 0, v4
	s_mov_b64 s[30:31], 0
	s_branch .LBB4_5353
.LBB4_5352:                             ;   in Loop: Header=BB4_5353 Depth=2
	s_or_b64 exec, exec, s[26:27]
	v_add_u32_e32 v7, v6, v7
	s_mov_b64 s[26:27], 0
	s_andn2_b64 exec, exec, s[30:31]
	s_cbranch_execnz .LBB4_5353
; %bb.5467:                             ;   in Loop: Header=BB4_47 Depth=1
	s_getpc_b64 s[98:99]
.Lpost_getpc9:
	s_add_u32 s98, s98, (.LBB4_45-.Lpost_getpc9)&4294967295
	s_addc_u32 s99, s99, (.LBB4_45-.Lpost_getpc9)>>32
	s_setpc_b64 s[98:99]
.LBB4_5353:                             ;   Parent Loop BB4_47 Depth=1
                                        ; =>  This Loop Header: Depth=2
                                        ;       Child Loop BB4_5359 Depth 3
                                        ;       Child Loop BB4_5383 Depth 3
	;; [unrolled: 1-line block ×3, first 2 shown]
	v_and_b32_e32 v1, 4, v60
	s_mov_b64 s[36:37], -1
	v_cmp_ne_u32_e32 vcc, 0, v1
	s_and_saveexec_b64 s[34:35], vcc
	s_cbranch_execz .LBB4_5365
; %bb.5354:                             ;   in Loop: Header=BB4_5353 Depth=2
	v_add_co_u32_e32 v2, vcc, 2, v44
	v_addc_co_u32_e32 v3, vcc, 0, v45, vcc
	v_cmp_lt_u64_e32 vcc, v[50:51], v[2:3]
	v_mov_b32_e32 v1, 1
	s_and_saveexec_b64 s[36:37], vcc
	s_cbranch_execz .LBB4_5364
; %bb.5355:                             ;   in Loop: Header=BB4_5353 Depth=2
	s_mov_b64 s[60:61], 0
	v_mov_b32_e32 v4, 0
                                        ; implicit-def: $sgpr62_sgpr63
	s_branch .LBB4_5359
.LBB4_5356:                             ;   in Loop: Header=BB4_5359 Depth=3
	s_or_b64 exec, exec, s[70:71]
	v_mov_b32_e32 v5, 0
	s_orn2_b64 s[68:69], s[68:69], exec
.LBB4_5357:                             ;   in Loop: Header=BB4_5359 Depth=3
	s_or_b64 exec, exec, s[66:67]
	s_andn2_b64 vcc, s[62:63], exec
	s_and_b64 s[62:63], s[68:69], exec
	s_or_b64 s[62:63], vcc, s[62:63]
	v_mov_b32_e32 v4, v5
.LBB4_5358:                             ;   in Loop: Header=BB4_5359 Depth=3
	s_or_b64 exec, exec, s[64:65]
	s_waitcnt vmcnt(0) lgkmcnt(0)
	v_cmp_ge_u64_e32 vcc, v[50:51], v[2:3]
	s_xor_b64 s[64:65], s[62:63], -1
	s_or_b64 vcc, s[64:65], vcc
	s_and_b64 vcc, exec, vcc
	s_or_b64 s[60:61], vcc, s[60:61]
	s_andn2_b64 exec, exec, s[60:61]
	s_cbranch_execz .LBB4_5363
.LBB4_5359:                             ;   Parent Loop BB4_47 Depth=1
                                        ;     Parent Loop BB4_5353 Depth=2
                                        ; =>    This Inner Loop Header: Depth=3
	s_sleep 1
	flat_load_dwordx2 v[50:51], v[48:49] glc
	v_and_b32_e32 v1, 64, v60
	v_cmp_eq_u32_e32 vcc, 0, v1
	s_andn2_b64 s[62:63], s[62:63], exec
	s_and_saveexec_b64 s[64:65], vcc
	s_cbranch_execz .LBB4_5358
; %bb.5360:                             ;   in Loop: Header=BB4_5359 Depth=3
	v_add_u32_e32 v5, 1, v4
	v_cmp_lt_i32_e32 vcc, s89, v4
	s_mov_b64 s[68:69], -1
	s_and_saveexec_b64 s[66:67], vcc
	s_cbranch_execz .LBB4_5357
; %bb.5361:                             ;   in Loop: Header=BB4_5359 Depth=3
	s_trap 2
	ds_read_b64 v[4:5], v0
	s_waitcnt vmcnt(0) lgkmcnt(0)
	flat_load_dword v1, v[4:5] glc
	s_waitcnt vmcnt(0) lgkmcnt(0)
	buffer_invl2
	buffer_wbinvl1_vol
	v_cmp_ne_u32_e32 vcc, 0, v1
	s_and_saveexec_b64 s[70:71], vcc
	s_cbranch_execz .LBB4_5356
; %bb.5362:                             ;   in Loop: Header=BB4_5359 Depth=3
	v_or_b32_e32 v60, 64, v60
	s_xor_b64 s[68:69], exec, -1
	ds_write_b32 v0, v1
	s_trap 2
	s_branch .LBB4_5356
.LBB4_5363:                             ;   in Loop: Header=BB4_5353 Depth=2
	s_or_b64 exec, exec, s[60:61]
	v_and_b32_e32 v1, 4, v60
.LBB4_5364:                             ;   in Loop: Header=BB4_5353 Depth=2
	s_or_b64 exec, exec, s[36:37]
	v_cmp_eq_u32_e32 vcc, 0, v1
	s_orn2_b64 s[36:37], vcc, exec
	;;#ASMSTART
	s_wakeup
	;;#ASMEND
.LBB4_5365:                             ;   in Loop: Header=BB4_5353 Depth=2
	s_or_b64 exec, exec, s[34:35]
	s_xor_b64 s[26:27], s[26:27], -1
	s_and_b64 s[26:27], exec, s[26:27]
	s_or_b64 s[30:31], s[26:27], s[30:31]
	s_xor_b64 s[26:27], s[36:37], -1
	s_and_saveexec_b64 s[34:35], s[26:27]
	s_cbranch_execz .LBB4_5375
; %bb.5366:                             ;   in Loop: Header=BB4_5353 Depth=2
	v_and_b32_e32 v1, 0x100, v60
	v_cmp_ne_u32_e32 vcc, 0, v1
	v_and_b32_e32 v8, 7, v44
	s_mov_b64 s[26:27], -1
                                        ; implicit-def: $vgpr2_vgpr3
	s_and_saveexec_b64 s[36:37], vcc
	s_cbranch_execz .LBB4_5370
; %bb.5367:                             ;   in Loop: Header=BB4_5353 Depth=2
	v_accvgpr_read_b32 v2, a12
	v_accvgpr_read_b32 v3, a13
	v_mad_u64_u32 v[4:5], s[26:27], v8, 24, v[2:3]
	flat_load_dword v1, v[4:5]
                                        ; implicit-def: $vgpr2_vgpr3
	s_waitcnt vmcnt(0) lgkmcnt(0)
	v_cmp_ne_u32_e32 vcc, 1, v1
	v_cmp_eq_u32_e64 s[26:27], 1, v1
	s_and_saveexec_b64 s[60:61], s[26:27]
	s_cbranch_execz .LBB4_5369
; %bb.5368:                             ;   in Loop: Header=BB4_5353 Depth=2
	flat_load_dword v2, v[4:5] offset:4 glc
	s_waitcnt vmcnt(0) lgkmcnt(0)
	v_ashrrev_i32_e32 v3, 31, v2
.LBB4_5369:                             ;   in Loop: Header=BB4_5353 Depth=2
	s_or_b64 exec, exec, s[60:61]
	s_orn2_b64 s[26:27], vcc, exec
.LBB4_5370:                             ;   in Loop: Header=BB4_5353 Depth=2
	s_or_b64 exec, exec, s[36:37]
	s_and_saveexec_b64 vcc, s[26:27]
; %bb.5371:                             ;   in Loop: Header=BB4_5353 Depth=2
	v_accvgpr_read_b32 v2, a16
	v_mad_i64_i32 v[2:3], s[26:27], v8, v2, 0
; %bb.5372:                             ;   in Loop: Header=BB4_5353 Depth=2
	s_or_b64 exec, exec, vcc
	v_accvgpr_read_b32 v4, a18
	v_accvgpr_read_b32 v5, a19
	v_add_co_u32_e32 v2, vcc, v4, v2
	v_addc_co_u32_e32 v3, vcc, v5, v3, vcc
	v_and_b32_e32 v1, 0x2000, v60
	v_cmp_ne_u32_e32 vcc, 0, v1
	ds_write_b64 v0, v[2:3] offset:720
	s_and_saveexec_b64 s[26:27], vcc
	s_cbranch_execz .LBB4_5374
; %bb.5373:                             ;   in Loop: Header=BB4_5353 Depth=2
	ds_read_b64 v[2:3], v0 offset:584
	s_waitcnt lgkmcnt(0)
	v_add_co_u32_e32 v2, vcc, 1, v2
	v_addc_co_u32_e32 v3, vcc, 0, v3, vcc
	ds_write_b64 v0, v[2:3] offset:584
.LBB4_5374:                             ;   in Loop: Header=BB4_5353 Depth=2
	s_or_b64 exec, exec, s[26:27]
	v_add_co_u32_e32 v44, vcc, 2, v44
	v_addc_co_u32_e32 v45, vcc, 0, v45, vcc
.LBB4_5375:                             ;   in Loop: Header=BB4_5353 Depth=2
	s_or_b64 exec, exec, s[34:35]
	s_and_saveexec_b64 s[26:27], s[10:11]
	s_cbranch_execz .LBB4_5394
; %bb.5376:                             ;   in Loop: Header=BB4_5353 Depth=2
	s_and_saveexec_b64 vcc, s[46:47]
	s_xor_b64 s[34:35], exec, vcc
	s_cbranch_execz .LBB4_5391
; %bb.5377:                             ;   in Loop: Header=BB4_5353 Depth=2
	s_and_saveexec_b64 s[36:37], s[16:17]
	s_cbranch_execz .LBB4_5390
; %bb.5378:                             ;   in Loop: Header=BB4_5353 Depth=2
	s_mov_b64 s[62:63], exec
	v_mbcnt_lo_u32_b32 v1, s62, 0
	v_mbcnt_hi_u32_b32 v1, s63, v1
	v_cmp_eq_u32_e32 vcc, 0, v1
	s_waitcnt vmcnt(0) lgkmcnt(0)
	buffer_wbinvl1_vol
	s_and_saveexec_b64 s[60:61], vcc
	s_cbranch_execz .LBB4_5380
; %bb.5379:                             ;   in Loop: Header=BB4_5353 Depth=2
	s_bcnt1_i32_b64 s9, s[62:63]
	v_mov_b32_e32 v58, s9
	ds_add_u64 v0, v[58:59]
	s_trap 2
.LBB4_5380:                             ;   in Loop: Header=BB4_5353 Depth=2
	s_or_b64 exec, exec, s[60:61]
	s_trap 2
	ds_read_b64 v[2:3], v0
	v_accvgpr_read_b32 v4, a14
	v_accvgpr_read_b32 v5, a15
	v_add_co_u32_e32 v4, vcc, v4, v24
	v_addc_co_u32_e32 v5, vcc, 0, v5, vcc
	v_accvgpr_write_b32 a15, v5
	v_accvgpr_write_b32 a14, v4
	s_waitcnt lgkmcnt(0)
	v_cmp_lt_u64_e32 vcc, v[2:3], v[4:5]
	s_and_saveexec_b64 s[60:61], vcc
	s_cbranch_execz .LBB4_5389
; %bb.5381:                             ;   in Loop: Header=BB4_5353 Depth=2
	s_mov_b32 s9, 0
	s_mov_b64 s[62:63], 0
                                        ; implicit-def: $sgpr64_sgpr65
                                        ; implicit-def: $sgpr66_sgpr67
	s_branch .LBB4_5383
.LBB4_5382:                             ;   in Loop: Header=BB4_5383 Depth=3
	s_or_b64 exec, exec, s[70:71]
	s_and_b64 vcc, exec, vcc
	s_or_b64 s[62:63], vcc, s[62:63]
	s_andn2_b64 vcc, s[64:65], exec
	s_and_b64 s[64:65], s[66:67], exec
	s_or_b64 s[64:65], vcc, s[64:65]
	s_andn2_b64 exec, exec, s[62:63]
	s_cbranch_execz .LBB4_5387
.LBB4_5383:                             ;   Parent Loop BB4_47 Depth=1
                                        ;     Parent Loop BB4_5353 Depth=2
                                        ; =>    This Inner Loop Header: Depth=3
	s_add_i32 s9, s9, 1
	s_cmpk_lg_i32 s9, 0x2710
	s_cselect_b64 s[68:69], -1, 0
	s_and_b64 vcc, exec, s[68:69]
                                        ; implicit-def: $sgpr70_sgpr71
	s_cbranch_vccnz .LBB4_5385
; %bb.5384:                             ;   in Loop: Header=BB4_5383 Depth=3
	s_trap 2
	ds_read_b64 v[2:3], v0
	s_andn2_b64 s[68:69], s[68:69], exec
	s_mov_b32 s9, 0
	s_mov_b64 s[70:71], -1
	s_waitcnt lgkmcnt(0)
	flat_load_dword v1, v[2:3] glc
	s_waitcnt vmcnt(0) lgkmcnt(0)
	buffer_invl2
	buffer_wbinvl1_vol
	v_cmp_eq_u32_e32 vcc, 0, v1
	s_and_b64 vcc, vcc, exec
	s_or_b64 s[68:69], s[68:69], vcc
.LBB4_5385:                             ;   in Loop: Header=BB4_5383 Depth=3
	s_andn2_b64 s[66:67], s[66:67], exec
	s_and_b64 s[70:71], s[70:71], exec
	s_mov_b64 vcc, -1
	s_or_b64 s[66:67], s[66:67], s[70:71]
	s_and_saveexec_b64 s[70:71], s[68:69]
	s_cbranch_execz .LBB4_5382
; %bb.5386:                             ;   in Loop: Header=BB4_5383 Depth=3
	s_sleep 1
	s_trap 2
	ds_read_b64 v[2:3], v0
	v_accvgpr_read_b32 v4, a14
	v_accvgpr_read_b32 v5, a15
	s_andn2_b64 s[66:67], s[66:67], exec
	s_waitcnt lgkmcnt(0)
	v_cmp_ge_u64_e32 vcc, v[2:3], v[4:5]
	s_orn2_b64 vcc, vcc, exec
	s_branch .LBB4_5382
.LBB4_5387:                             ;   in Loop: Header=BB4_5353 Depth=2
	s_or_b64 exec, exec, s[62:63]
	s_and_saveexec_b64 vcc, s[64:65]
	s_xor_b64 vcc, exec, vcc
	s_cbranch_execz .LBB4_5389
; %bb.5388:                             ;   in Loop: Header=BB4_5353 Depth=2
	v_mov_b32_e32 v1, 1
	ds_write_b32 v0, v1
	s_trap 2
.LBB4_5389:                             ;   in Loop: Header=BB4_5353 Depth=2
	s_or_b64 exec, exec, s[60:61]
	;;#ASMSTART
	s_wakeup
	;;#ASMEND
.LBB4_5390:                             ;   in Loop: Header=BB4_5353 Depth=2
	s_or_b64 exec, exec, s[36:37]
.LBB4_5391:                             ;   in Loop: Header=BB4_5353 Depth=2
	s_andn2_saveexec_b64 vcc, s[34:35]
	s_cbranch_execz .LBB4_5393
; %bb.5392:                             ;   in Loop: Header=BB4_5353 Depth=2
	s_waitcnt vmcnt(0) lgkmcnt(0)
	buffer_wbinvl1_vol
	s_barrier
.LBB4_5393:                             ;   in Loop: Header=BB4_5353 Depth=2
	s_or_b64 exec, exec, vcc
.LBB4_5394:                             ;   in Loop: Header=BB4_5353 Depth=2
	s_or_b64 exec, exec, s[26:27]
	v_sub_u32_e32 v1, v0, v7
	v_min_i32_e32 v6, v6, v1
	s_and_saveexec_b64 s[26:27], s[24:25]
	s_xor_b64 s[26:27], exec, s[26:27]
	s_cbranch_execz .LBB4_5398
; %bb.5395:                             ;   in Loop: Header=BB4_5353 Depth=2
	s_trap 2
	ds_read_b32 v1, v0
	v_cmp_lt_i32_e32 vcc, 0, v6
	v_and_b32_e32 v2, 16, v60
	s_waitcnt lgkmcnt(0)
	v_readfirstlane_b32 s9, v1
	s_cmp_eq_u32 s9, 0
	s_cselect_b64 s[34:35], -1, 0
	s_and_b64 s[34:35], vcc, s[34:35]
	v_cmp_ne_u32_e32 vcc, 0, v2
	s_and_b64 s[34:35], vcc, s[34:35]
	s_and_saveexec_b64 vcc, s[34:35]
	s_cbranch_execz .LBB4_5397
; %bb.5396:                             ;   in Loop: Header=BB4_5353 Depth=2
	s_waitcnt vmcnt(0)
	buffer_wbinvl1_vol
.LBB4_5397:                             ;   in Loop: Header=BB4_5353 Depth=2
	s_or_b64 exec, exec, vcc
.LBB4_5398:                             ;   in Loop: Header=BB4_5353 Depth=2
	s_andn2_saveexec_b64 s[26:27], s[26:27]
	s_cbranch_execz .LBB4_5417
; %bb.5399:                             ;   in Loop: Header=BB4_5353 Depth=2
	s_and_saveexec_b64 vcc, s[46:47]
	s_xor_b64 s[34:35], exec, vcc
	s_cbranch_execz .LBB4_5414
; %bb.5400:                             ;   in Loop: Header=BB4_5353 Depth=2
	s_and_saveexec_b64 s[36:37], s[16:17]
	s_cbranch_execz .LBB4_5413
; %bb.5401:                             ;   in Loop: Header=BB4_5353 Depth=2
	s_mov_b64 s[62:63], exec
	v_mbcnt_lo_u32_b32 v1, s62, 0
	v_mbcnt_hi_u32_b32 v1, s63, v1
	v_cmp_eq_u32_e32 vcc, 0, v1
	;;#ASMSTART
	s_waitcnt lgkmcnt(0) vmcnt(0)
	;;#ASMEND
	s_and_saveexec_b64 s[60:61], vcc
	s_cbranch_execz .LBB4_5403
; %bb.5402:                             ;   in Loop: Header=BB4_5353 Depth=2
	s_bcnt1_i32_b64 s9, s[62:63]
	v_mov_b32_e32 v58, s9
	ds_add_u64 v0, v[58:59]
	s_trap 2
.LBB4_5403:                             ;   in Loop: Header=BB4_5353 Depth=2
	s_or_b64 exec, exec, s[60:61]
	s_trap 2
	ds_read_b64 v[2:3], v0
	v_accvgpr_read_b32 v4, a14
	v_accvgpr_read_b32 v5, a15
	v_add_co_u32_e32 v4, vcc, v4, v24
	v_addc_co_u32_e32 v5, vcc, 0, v5, vcc
	v_accvgpr_write_b32 a15, v5
	v_accvgpr_write_b32 a14, v4
	s_waitcnt lgkmcnt(0)
	v_cmp_lt_u64_e32 vcc, v[2:3], v[4:5]
	s_and_saveexec_b64 s[60:61], vcc
	s_cbranch_execz .LBB4_5412
; %bb.5404:                             ;   in Loop: Header=BB4_5353 Depth=2
	s_mov_b32 s9, 0
	s_mov_b64 s[62:63], 0
                                        ; implicit-def: $sgpr64_sgpr65
                                        ; implicit-def: $sgpr66_sgpr67
	s_branch .LBB4_5406
.LBB4_5405:                             ;   in Loop: Header=BB4_5406 Depth=3
	s_or_b64 exec, exec, s[70:71]
	s_and_b64 vcc, exec, vcc
	s_or_b64 s[62:63], vcc, s[62:63]
	s_andn2_b64 vcc, s[64:65], exec
	s_and_b64 s[64:65], s[66:67], exec
	s_or_b64 s[64:65], vcc, s[64:65]
	s_andn2_b64 exec, exec, s[62:63]
	s_cbranch_execz .LBB4_5410
.LBB4_5406:                             ;   Parent Loop BB4_47 Depth=1
                                        ;     Parent Loop BB4_5353 Depth=2
                                        ; =>    This Inner Loop Header: Depth=3
	s_add_i32 s9, s9, 1
	s_cmpk_lg_i32 s9, 0x2710
	s_cselect_b64 s[68:69], -1, 0
	s_and_b64 vcc, exec, s[68:69]
                                        ; implicit-def: $sgpr70_sgpr71
	s_cbranch_vccnz .LBB4_5408
; %bb.5407:                             ;   in Loop: Header=BB4_5406 Depth=3
	s_trap 2
	ds_read_b64 v[2:3], v0
	s_andn2_b64 s[68:69], s[68:69], exec
	s_mov_b32 s9, 0
	s_mov_b64 s[70:71], -1
	s_waitcnt vmcnt(0) lgkmcnt(0)
	flat_load_dword v1, v[2:3] glc
	s_waitcnt vmcnt(0) lgkmcnt(0)
	buffer_invl2
	buffer_wbinvl1_vol
	v_cmp_eq_u32_e32 vcc, 0, v1
	s_and_b64 vcc, vcc, exec
	s_or_b64 s[68:69], s[68:69], vcc
.LBB4_5408:                             ;   in Loop: Header=BB4_5406 Depth=3
	s_andn2_b64 s[66:67], s[66:67], exec
	s_and_b64 s[70:71], s[70:71], exec
	s_mov_b64 vcc, -1
	s_or_b64 s[66:67], s[66:67], s[70:71]
	s_and_saveexec_b64 s[70:71], s[68:69]
	s_cbranch_execz .LBB4_5405
; %bb.5409:                             ;   in Loop: Header=BB4_5406 Depth=3
	s_sleep 1
	s_trap 2
	ds_read_b64 v[2:3], v0
	v_accvgpr_read_b32 v4, a14
	v_accvgpr_read_b32 v5, a15
	s_andn2_b64 s[66:67], s[66:67], exec
	s_waitcnt lgkmcnt(0)
	v_cmp_ge_u64_e32 vcc, v[2:3], v[4:5]
	s_orn2_b64 vcc, vcc, exec
	s_branch .LBB4_5405
.LBB4_5410:                             ;   in Loop: Header=BB4_5353 Depth=2
	s_or_b64 exec, exec, s[62:63]
	s_and_saveexec_b64 vcc, s[64:65]
	s_xor_b64 vcc, exec, vcc
	s_cbranch_execz .LBB4_5412
; %bb.5411:                             ;   in Loop: Header=BB4_5353 Depth=2
	v_mov_b32_e32 v1, 1
	ds_write_b32 v0, v1
	s_trap 2
.LBB4_5412:                             ;   in Loop: Header=BB4_5353 Depth=2
	s_or_b64 exec, exec, s[60:61]
	;;#ASMSTART
	s_wakeup
	;;#ASMEND
.LBB4_5413:                             ;   in Loop: Header=BB4_5353 Depth=2
	s_or_b64 exec, exec, s[36:37]
.LBB4_5414:                             ;   in Loop: Header=BB4_5353 Depth=2
	s_andn2_saveexec_b64 vcc, s[34:35]
	s_cbranch_execz .LBB4_5416
; %bb.5415:                             ;   in Loop: Header=BB4_5353 Depth=2
	;;#ASMSTART
	s_waitcnt lgkmcnt(0) vmcnt(0)
	;;#ASMEND
	s_barrier
.LBB4_5416:                             ;   in Loop: Header=BB4_5353 Depth=2
	s_or_b64 exec, exec, vcc
.LBB4_5417:                             ;   in Loop: Header=BB4_5353 Depth=2
	s_or_b64 exec, exec, s[26:27]
	v_and_b32_e32 v1, 32, v60
	v_cmp_ne_u32_e32 vcc, 0, v1
	s_and_saveexec_b64 s[26:27], vcc
	s_cbranch_execz .LBB4_5352
; %bb.5418:                             ;   in Loop: Header=BB4_5353 Depth=2
	v_add_co_u32_e32 v44, vcc, 2, v44
	v_addc_co_u32_e32 v45, vcc, 0, v45, vcc
	flat_store_dwordx2 v[48:49], v[44:45]
	s_branch .LBB4_5352
.LBB4_5419:
	s_or_b64 exec, exec, s[42:43]
	v_readlane_b32 s28, v61, 4
	v_readlane_b32 s29, v61, 5
	v_accvgpr_read_b32 v18, a0
	v_accvgpr_read_b32 v31, a1
.LBB4_5420:
	v_readlane_b32 s4, v61, 2
	v_readlane_b32 s5, v61, 3
	s_or_b64 exec, exec, s[4:5]
	v_and_b32_e32 v0, 0x800, v60
	v_cmp_eq_u32_e32 vcc, 0, v0
	s_and_saveexec_b64 s[4:5], vcc
	s_cbranch_execz .LBB4_5455
; %bb.5421:
	v_and_b32_e32 v0, 48, v60
	v_cmp_ne_u32_e32 vcc, 0, v0
	s_and_saveexec_b64 s[6:7], vcc
	s_cbranch_execz .LBB4_5423
; %bb.5422:
	v_accvgpr_read_b32 v0, a10
	v_accvgpr_read_b32 v1, a11
	flat_store_dwordx2 v[0:1], v[44:45] offset:104
.LBB4_5423:
	s_or_b64 exec, exec, s[6:7]
	s_movk_i32 s6, 0x88
	v_and_b32_e32 v0, 0x88, v60
	v_cmp_eq_u32_e32 vcc, s6, v0
	s_and_saveexec_b64 s[6:7], vcc
	s_cbranch_execz .LBB4_5435
; %bb.5424:
	v_add_u32_e32 v0, 6, v44
	v_accvgpr_read_b32 v2, a12
	v_and_b32_e32 v0, 7, v0
	v_accvgpr_read_b32 v3, a13
	v_mad_u64_u32 v[0:1], s[8:9], v0, 24, v[2:3]
	v_add_co_u32_e32 v2, vcc, 8, v0
	v_addc_co_u32_e32 v3, vcc, 0, v1, vcc
	s_mov_b64 s[10:11], 0
	v_mov_b32_e32 v0, 0
	s_movk_i32 s8, 0x270e
                                        ; implicit-def: $sgpr12_sgpr13
	s_branch .LBB4_5429
.LBB4_5425:                             ;   in Loop: Header=BB4_5429 Depth=1
	s_or_b64 exec, exec, s[22:23]
	v_mov_b32_e32 v1, 0
	s_orn2_b64 s[20:21], s[20:21], exec
.LBB4_5426:                             ;   in Loop: Header=BB4_5429 Depth=1
	s_or_b64 exec, exec, s[18:19]
	s_and_b64 s[18:19], s[20:21], exec
	v_mov_b32_e32 v0, v1
.LBB4_5427:                             ;   in Loop: Header=BB4_5429 Depth=1
	s_or_b64 exec, exec, s[16:17]
	s_xor_b64 s[16:17], s[18:19], -1
	s_andn2_b64 s[12:13], s[12:13], exec
	s_and_b64 s[16:17], s[16:17], exec
	s_or_b64 s[12:13], s[12:13], s[16:17]
.LBB4_5428:                             ;   in Loop: Header=BB4_5429 Depth=1
	s_or_b64 exec, exec, s[14:15]
	s_and_b64 s[14:15], exec, s[12:13]
	s_or_b64 s[10:11], s[14:15], s[10:11]
	s_andn2_b64 exec, exec, s[10:11]
	s_cbranch_execz .LBB4_5434
.LBB4_5429:                             ; =>This Inner Loop Header: Depth=1
	flat_load_dwordx2 v[4:5], v[2:3] glc
	s_waitcnt vmcnt(0)
	s_or_b64 s[12:13], s[12:13], exec
	s_waitcnt lgkmcnt(0)
	v_cmp_ne_u64_e32 vcc, -1, v[4:5]
	s_and_saveexec_b64 s[14:15], vcc
	s_cbranch_execz .LBB4_5428
; %bb.5430:                             ;   in Loop: Header=BB4_5429 Depth=1
	v_and_b32_e32 v1, 64, v60
	v_cmp_eq_u32_e32 vcc, 0, v1
	s_mov_b64 s[18:19], 0
	s_and_saveexec_b64 s[16:17], vcc
	s_cbranch_execz .LBB4_5427
; %bb.5431:                             ;   in Loop: Header=BB4_5429 Depth=1
	v_add_u32_e32 v1, 1, v0
	v_cmp_lt_i32_e32 vcc, s8, v0
	s_mov_b64 s[20:21], -1
	s_and_saveexec_b64 s[18:19], vcc
	s_cbranch_execz .LBB4_5426
; %bb.5432:                             ;   in Loop: Header=BB4_5429 Depth=1
	s_trap 2
	ds_read_b64 v[0:1], v0
	s_waitcnt lgkmcnt(0)
	flat_load_dword v0, v[0:1] glc
	s_waitcnt vmcnt(0) lgkmcnt(0)
	buffer_invl2
	buffer_wbinvl1_vol
	v_cmp_ne_u32_e32 vcc, 0, v0
	s_and_saveexec_b64 s[22:23], vcc
	s_cbranch_execz .LBB4_5425
; %bb.5433:                             ;   in Loop: Header=BB4_5429 Depth=1
	v_or_b32_e32 v60, 64, v60
	s_xor_b64 s[20:21], exec, -1
	ds_write_b32 v0, v0
	s_trap 2
	s_branch .LBB4_5425
.LBB4_5434:
	s_or_b64 exec, exec, s[10:11]
.LBB4_5435:
	s_or_b64 exec, exec, s[6:7]
	v_and_b32_e32 v0, 0x2000, v60
	v_cmp_ne_u32_e32 vcc, 0, v0
	s_and_saveexec_b64 s[6:7], vcc
	s_cbranch_execz .LBB4_5437
; %bb.5436:
	s_trap 2
	ds_read_b64 v[0:1], v0
	v_accvgpr_read_b32 v2, a8
	v_accvgpr_read_b32 v3, a9
	s_waitcnt lgkmcnt(0)
	flat_store_dwordx2 v[2:3], v[0:1] offset:16
.LBB4_5437:
	s_or_b64 exec, exec, s[6:7]
	v_cmp_ne_u32_e32 vcc, 64, v18
	s_and_b64 exec, exec, vcc
	s_cbranch_execz .LBB4_5455
; %bb.5438:
	v_accvgpr_read_b32 v0, a2
	v_cmp_ne_u32_sdwa s[6:7], v0, v18 src0_sel:WORD_0 src1_sel:DWORD
	s_and_saveexec_b64 s[8:9], s[6:7]
	s_xor_b64 s[6:7], exec, s[8:9]
	s_cbranch_execz .LBB4_5453
; %bb.5439:
	v_and_b32_e32 v0, 63, v31
	v_cmp_eq_u32_e32 vcc, 0, v0
	s_and_saveexec_b64 s[10:11], vcc
	s_cbranch_execz .LBB4_5452
; %bb.5440:
	s_mov_b64 s[14:15], exec
	v_mbcnt_lo_u32_b32 v0, s14, 0
	v_mbcnt_hi_u32_b32 v0, s15, v0
	v_cmp_eq_u32_e32 vcc, 0, v0
	s_waitcnt vmcnt(0) lgkmcnt(0)
	buffer_wbinvl1_vol
	s_and_saveexec_b64 s[12:13], vcc
	s_cbranch_execz .LBB4_5442
; %bb.5441:
	s_bcnt1_i32_b64 s8, s[14:15]
	v_mov_b32_e32 v0, s8
	v_mov_b32_e32 v1, 0
	ds_add_u64 v0, v[0:1]
	s_trap 2
.LBB4_5442:
	s_or_b64 exec, exec, s[12:13]
	v_ashrrev_i32_e32 v0, 31, v18
	v_lshrrev_b32_e32 v0, 26, v0
	v_add_u32_e32 v0, v18, v0
	v_ashrrev_i32_e32 v0, 6, v0
	s_trap 2
	ds_read_b64 v[2:3], v0
	v_accvgpr_read_b32 v4, a14
	v_ashrrev_i32_e32 v1, 31, v0
	v_accvgpr_read_b32 v5, a15
	v_add_co_u32_e32 v0, vcc, v4, v0
	v_addc_co_u32_e32 v1, vcc, v5, v1, vcc
	s_waitcnt lgkmcnt(0)
	v_cmp_lt_u64_e32 vcc, v[2:3], v[0:1]
	s_and_saveexec_b64 s[12:13], vcc
	s_cbranch_execz .LBB4_5451
; %bb.5443:
	s_mov_b32 s8, 0
	s_mov_b64 s[14:15], 0
                                        ; implicit-def: $sgpr16_sgpr17
                                        ; implicit-def: $sgpr18_sgpr19
	s_branch .LBB4_5445
.LBB4_5444:                             ;   in Loop: Header=BB4_5445 Depth=1
	s_or_b64 exec, exec, s[24:25]
	s_and_b64 s[20:21], exec, s[22:23]
	s_or_b64 s[14:15], s[20:21], s[14:15]
	s_andn2_b64 s[16:17], s[16:17], exec
	s_and_b64 s[20:21], s[18:19], exec
	s_or_b64 s[16:17], s[16:17], s[20:21]
	s_andn2_b64 exec, exec, s[14:15]
	s_cbranch_execz .LBB4_5449
.LBB4_5445:                             ; =>This Inner Loop Header: Depth=1
	s_add_i32 s8, s8, 1
	s_cmpk_lg_i32 s8, 0x2710
	s_cselect_b64 s[20:21], -1, 0
	s_and_b64 vcc, exec, s[20:21]
                                        ; implicit-def: $sgpr24_sgpr25
	s_cbranch_vccnz .LBB4_5447
; %bb.5446:                             ;   in Loop: Header=BB4_5445 Depth=1
	s_trap 2
	ds_read_b64 v[2:3], v0
	s_andn2_b64 s[20:21], s[20:21], exec
	s_mov_b32 s8, 0
	s_mov_b64 s[24:25], -1
	s_waitcnt lgkmcnt(0)
	flat_load_dword v2, v[2:3] glc
	s_waitcnt vmcnt(0) lgkmcnt(0)
	buffer_invl2
	buffer_wbinvl1_vol
	v_cmp_eq_u32_e32 vcc, 0, v2
	s_and_b64 s[22:23], vcc, exec
	s_or_b64 s[20:21], s[20:21], s[22:23]
.LBB4_5447:                             ;   in Loop: Header=BB4_5445 Depth=1
	s_andn2_b64 s[18:19], s[18:19], exec
	s_and_b64 s[24:25], s[24:25], exec
	s_mov_b64 s[22:23], -1
	s_or_b64 s[18:19], s[18:19], s[24:25]
	s_and_saveexec_b64 s[24:25], s[20:21]
	s_cbranch_execz .LBB4_5444
; %bb.5448:                             ;   in Loop: Header=BB4_5445 Depth=1
	s_sleep 1
	s_trap 2
	ds_read_b64 v[2:3], v0
	s_andn2_b64 s[18:19], s[18:19], exec
	s_waitcnt lgkmcnt(0)
	v_cmp_ge_u64_e32 vcc, v[2:3], v[0:1]
	s_orn2_b64 s[22:23], vcc, exec
	s_branch .LBB4_5444
.LBB4_5449:
	s_or_b64 exec, exec, s[14:15]
	s_and_saveexec_b64 s[8:9], s[16:17]
	s_xor_b64 s[8:9], exec, s[8:9]
	s_cbranch_execz .LBB4_5451
; %bb.5450:
	v_mov_b32_e32 v0, 1
	ds_write_b32 v0, v0
	s_trap 2
.LBB4_5451:
	s_or_b64 exec, exec, s[12:13]
	;;#ASMSTART
	s_wakeup
	;;#ASMEND
.LBB4_5452:
	s_or_b64 exec, exec, s[10:11]
.LBB4_5453:
	s_andn2_saveexec_b64 s[6:7], s[6:7]
	s_cbranch_execz .LBB4_5455
; %bb.5454:
	s_waitcnt vmcnt(0) lgkmcnt(0)
	buffer_wbinvl1_vol
	s_barrier
.LBB4_5455:
	s_or_b64 exec, exec, s[4:5]
.LBB4_5456:
	v_readlane_b32 s4, v61, 0
	v_readlane_b32 s5, v61, 1
	s_andn2_saveexec_b64 s[26:27], s[4:5]
	s_cbranch_execz .LBB4_5458
; %bb.5457:
	s_getpc_b64 s[4:5]
	s_add_u32 s4, s4, __PRETTY_FUNCTION__._ZN10PrimitivesI14__hip_fp8_e4m37FuncSumIS0_E12FanSymmetricILi1EELi0E11ProtoSimpleILi2ELi2ELi0ELi2ELi0ELi0EELi0ELb0ELi0ELi0ELi0EEC2EiiPKiS9_PKvPvmhhhP15ncclDevWorkCollP14ncclDevWorkP2pii@rel32@lo+4
	s_addc_u32 s5, s5, __PRETTY_FUNCTION__._ZN10PrimitivesI14__hip_fp8_e4m37FuncSumIS0_E12FanSymmetricILi1EELi0E11ProtoSimpleILi2ELi2ELi0ELi2ELi0ELi0EELi0ELb0ELi0ELi0ELi0EEC2EiiPKiS9_PKvPvmhhhP15ncclDevWorkCollP14ncclDevWorkP2pii@rel32@hi+12
	s_mov_b64 s[8:9], s[28:29]
	v_mov_b32_e32 v0, s4
	v_mov_b32_e32 v1, s5
	s_getpc_b64 s[6:7]
	s_add_u32 s6, s6, __assert_fail@rel32@lo+4
	s_addc_u32 s7, s7, __assert_fail@rel32@hi+12
	s_swappc_b64 s[30:31], s[6:7]
	; divergent unreachable
.LBB4_5458:
	s_or_b64 exec, exec, s[26:27]
	buffer_load_dword a56, off, s[0:3], s33 ; 4-byte Folded Reload
	buffer_load_dword a55, off, s[0:3], s33 offset:4 ; 4-byte Folded Reload
	buffer_load_dword a54, off, s[0:3], s33 offset:8 ; 4-byte Folded Reload
	;; [unrolled: 1-line block ×37, first 2 shown]
	v_readlane_b32 s30, v62, 0
	v_readlane_b32 s31, v62, 1
	;; [unrolled: 1-line block ×67, first 2 shown]
	s_or_saveexec_b64 s[6:7], -1
	buffer_load_dword v63, off, s[0:3], s33 offset:172 ; 4-byte Folded Reload
	buffer_load_dword v62, off, s[0:3], s33 offset:176 ; 4-byte Folded Reload
	;; [unrolled: 1-line block ×3, first 2 shown]
	s_mov_b64 exec, s[6:7]
	s_addk_i32 s32, 0xd000
	s_mov_b32 s33, s4
	s_waitcnt vmcnt(0) lgkmcnt(0)
	s_setpc_b64 s[30:31]
.Lfunc_end4:
	.size	_ZN12_GLOBAL__N_17runRingI14__hip_fp8_e4m37FuncSumIS1_E11ProtoSimpleILi2ELi2ELi0ELi2ELi0ELi0EELi0ELi0ELi2ELi0EEEviiP15ncclDevWorkColl, .Lfunc_end4-_ZN12_GLOBAL__N_17runRingI14__hip_fp8_e4m37FuncSumIS1_E11ProtoSimpleILi2ELi2ELi0ELi2ELi0ELi0EELi0ELi0ELi2ELi0EEEviiP15ncclDevWorkColl
                                        ; -- End function
	.section	.AMDGPU.csdata,"",@progbits
; Function info:
; codeLenInByte = 178112
; NumSgprs: 104
; NumVgprs: 64
; NumAgprs: 57
; TotalNumVgprs: 121
; ScratchSize: 256
; MemoryBound: 1
	.text
	.p2align	2                               ; -- Begin function _Z50ncclDevFunc_AllReduce_RING_SIMPLE_Sum_f8e4m3_0_0_2v
	.type	_Z50ncclDevFunc_AllReduce_RING_SIMPLE_Sum_f8e4m3_0_0_2v,@function
_Z50ncclDevFunc_AllReduce_RING_SIMPLE_Sum_f8e4m3_0_0_2v: ; @_Z50ncclDevFunc_AllReduce_RING_SIMPLE_Sum_f8e4m3_0_0_2v
; %bb.0:
	s_waitcnt vmcnt(0) expcnt(0) lgkmcnt(0)
	s_mov_b32 s4, s33
	s_mov_b32 s33, s32
	s_or_saveexec_b64 s[6:7], -1
	buffer_store_dword a32, off, s[0:3], s33 offset:20 ; 4-byte Folded Spill
	buffer_store_dword v63, off, s[0:3], s33 offset:24 ; 4-byte Folded Spill
	;; [unrolled: 1-line block ×5, first 2 shown]
	s_mov_b64 exec, s[6:7]
	v_writelane_b32 v45, s4, 6
	v_writelane_b32 v45, s100, 4
	;; [unrolled: 1-line block ×3, first 2 shown]
	s_addk_i32 s32, 0xc00
	buffer_store_dword v40, off, s[0:3], s33 offset:16 ; 4-byte Folded Spill
	buffer_store_dword v41, off, s[0:3], s33 offset:12 ; 4-byte Folded Spill
	;; [unrolled: 1-line block ×4, first 2 shown]
	buffer_store_dword v62, off, s[0:3], s33 ; 4-byte Folded Spill
	v_writelane_b32 v44, s34, 0
	v_writelane_b32 v44, s35, 1
	;; [unrolled: 1-line block ×68, first 2 shown]
	s_trap 2
	ds_read_b32 v0, v0
                                        ; implicit-def: $vgpr43 : SGPR spill to VGPR lane
	v_mov_b32_e32 v40, v31
	v_writelane_b32 v43, s12, 0
	v_writelane_b32 v43, s8, 1
	v_writelane_b32 v43, s9, 2
	s_waitcnt lgkmcnt(0)
	v_cmp_gt_i32_e32 vcc, 1, v0
	s_cbranch_vccnz .LBB5_8
; %bb.1:
	s_mov_b32 s6, 0
	v_and_b32_e32 v41, 0x3ff, v40
	v_mov_b32_e32 v42, 6
	s_branch .LBB5_3
.LBB5_2:                                ;   in Loop: Header=BB5_3 Depth=1
	s_or_b64 exec, exec, s[8:9]
	s_trap 2
	ds_read_b32 v0, v0
	s_add_i32 s6, s6, 1
	s_waitcnt lgkmcnt(0)
	v_cmp_lt_i32_e32 vcc, s6, v0
	s_cbranch_vccz .LBB5_8
.LBB5_3:                                ; =>This Inner Loop Header: Depth=1
	s_trap 2
	ds_read_b32 v0, v0
	s_cmp_eq_u32 s6, 0
	s_cbranch_scc1 .LBB5_6
; %bb.4:                                ;   in Loop: Header=BB5_3 Depth=1
	s_trap 2
	s_waitcnt lgkmcnt(0)
	ds_read_b32 v1, v0
	s_waitcnt lgkmcnt(0)
	v_xor_b32_e32 v1, v1, v0
	v_and_b32_e32 v1, 0xff0000, v1
	v_cmp_eq_u32_e32 vcc, 0, v1
	s_cbranch_vccnz .LBB5_6
; %bb.5:                                ;   in Loop: Header=BB5_3 Depth=1
	s_barrier
	ds_read_b32 v0, v0
.LBB5_6:                                ;   in Loop: Header=BB5_3 Depth=1
	s_waitcnt lgkmcnt(0)
	v_lshlrev_b32_sdwa v1, v42, v0 dst_sel:DWORD dst_unused:UNUSED_PAD src0_sel:DWORD src1_sel:BYTE_2
	v_cmp_lt_u32_e32 vcc, v41, v1
	s_and_saveexec_b64 s[8:9], vcc
	s_cbranch_execz .LBB5_2
; %bb.7:                                ;   in Loop: Header=BB5_3 Depth=1
	v_writelane_b32 v43, s8, 3
	v_writelane_b32 v43, s9, 4
	v_readlane_b32 s8, v43, 1
	v_readlane_b32 s9, v43, 2
	s_mov_b64 s[10:11], src_shared_base
	s_getpc_b64 s[4:5]
	s_add_u32 s4, s4, _ZN12_GLOBAL__N_17runRingI14__hip_fp8_e4m37FuncSumIS1_E11ProtoSimpleILi2ELi2ELi0ELi2ELi0ELi0EELi0ELi0ELi2ELi0EEEviiP15ncclDevWorkColl@rel32@lo+4
	s_addc_u32 s5, s5, _ZN12_GLOBAL__N_17runRingI14__hip_fp8_e4m37FuncSumIS1_E11ProtoSimpleILi2ELi2ELi0ELi2ELi0ELi0EELi0ELi0ELi2ELi0EEEviiP15ncclDevWorkColl@rel32@hi+12
	v_readlane_b32 s12, v43, 0
	v_mov_b32_e32 v31, v40
	v_mov_b32_e32 v0, v41
	;; [unrolled: 1-line block ×3, first 2 shown]
	v_writelane_b32 v43, s6, 5
	s_or_saveexec_b64 s[100:101], -1
	v_accvgpr_write_b32 a32, v43
	s_mov_b64 exec, s[100:101]
	s_swappc_b64 s[30:31], s[4:5]
	s_or_saveexec_b64 s[100:101], -1
	v_accvgpr_read_b32 v43, a32
	s_mov_b64 exec, s[100:101]
	v_readlane_b32 s8, v43, 3
	v_readlane_b32 s9, v43, 4
	v_readlane_b32 s6, v43, 5
	s_branch .LBB5_2
.LBB5_8:
	buffer_load_dword v62, off, s[0:3], s33 ; 4-byte Folded Reload
	buffer_load_dword v61, off, s[0:3], s33 offset:4 ; 4-byte Folded Reload
	buffer_load_dword v42, off, s[0:3], s33 offset:8 ; 4-byte Folded Reload
	;; [unrolled: 1-line block ×4, first 2 shown]
	v_readlane_b32 s30, v45, 2
	v_readlane_b32 s31, v45, 3
	v_readlane_b32 s99, v45, 1
	v_readlane_b32 s98, v45, 0
	v_readlane_b32 s97, v44, 63
	v_readlane_b32 s96, v44, 62
	v_readlane_b32 s95, v44, 61
	v_readlane_b32 s94, v44, 60
	v_readlane_b32 s93, v44, 59
	v_readlane_b32 s92, v44, 58
	v_readlane_b32 s91, v44, 57
	v_readlane_b32 s90, v44, 56
	v_readlane_b32 s89, v44, 55
	v_readlane_b32 s88, v44, 54
	v_readlane_b32 s87, v44, 53
	v_readlane_b32 s86, v44, 52
	v_readlane_b32 s85, v44, 51
	v_readlane_b32 s84, v44, 50
	v_readlane_b32 s83, v44, 49
	v_readlane_b32 s82, v44, 48
	v_readlane_b32 s81, v44, 47
	v_readlane_b32 s80, v44, 46
	v_readlane_b32 s79, v44, 45
	v_readlane_b32 s78, v44, 44
	v_readlane_b32 s77, v44, 43
	v_readlane_b32 s76, v44, 42
	v_readlane_b32 s75, v44, 41
	v_readlane_b32 s74, v44, 40
	v_readlane_b32 s73, v44, 39
	v_readlane_b32 s72, v44, 38
	v_readlane_b32 s71, v44, 37
	v_readlane_b32 s70, v44, 36
	v_readlane_b32 s69, v44, 35
	v_readlane_b32 s68, v44, 34
	v_readlane_b32 s67, v44, 33
	v_readlane_b32 s66, v44, 32
	v_readlane_b32 s65, v44, 31
	v_readlane_b32 s64, v44, 30
	v_readlane_b32 s63, v44, 29
	v_readlane_b32 s62, v44, 28
	v_readlane_b32 s61, v44, 27
	v_readlane_b32 s60, v44, 26
	v_readlane_b32 s59, v44, 25
	v_readlane_b32 s58, v44, 24
	v_readlane_b32 s57, v44, 23
	v_readlane_b32 s56, v44, 22
	v_readlane_b32 s55, v44, 21
	v_readlane_b32 s54, v44, 20
	v_readlane_b32 s53, v44, 19
	v_readlane_b32 s52, v44, 18
	v_readlane_b32 s51, v44, 17
	v_readlane_b32 s50, v44, 16
	v_readlane_b32 s49, v44, 15
	v_readlane_b32 s48, v44, 14
	v_readlane_b32 s47, v44, 13
	v_readlane_b32 s46, v44, 12
	v_readlane_b32 s45, v44, 11
	v_readlane_b32 s44, v44, 10
	v_readlane_b32 s43, v44, 9
	v_readlane_b32 s42, v44, 8
	v_readlane_b32 s41, v44, 7
	v_readlane_b32 s40, v44, 6
	v_readlane_b32 s39, v44, 5
	v_readlane_b32 s38, v44, 4
	v_readlane_b32 s37, v44, 3
	v_readlane_b32 s36, v44, 2
	v_readlane_b32 s35, v44, 1
	v_readlane_b32 s34, v44, 0
	v_readlane_b32 s4, v45, 6
	v_readlane_b32 s100, v45, 4
	v_readlane_b32 s101, v45, 5
	s_or_saveexec_b64 s[6:7], -1
	buffer_load_dword a32, off, s[0:3], s33 offset:20 ; 4-byte Folded Reload
	buffer_load_dword v63, off, s[0:3], s33 offset:24 ; 4-byte Folded Reload
	;; [unrolled: 1-line block ×5, first 2 shown]
	s_mov_b64 exec, s[6:7]
	s_addk_i32 s32, 0xf400
	s_mov_b32 s33, s4
	s_waitcnt vmcnt(0)
	s_setpc_b64 s[30:31]
.Lfunc_end5:
	.size	_Z50ncclDevFunc_AllReduce_RING_SIMPLE_Sum_f8e4m3_0_0_2v, .Lfunc_end5-_Z50ncclDevFunc_AllReduce_RING_SIMPLE_Sum_f8e4m3_0_0_2v
                                        ; -- End function
	.section	.AMDGPU.csdata,"",@progbits
; Function info:
; codeLenInByte = 1692
; NumSgprs: 106
; NumVgprs: 64
; NumAgprs: 57
; TotalNumVgprs: 121
; ScratchSize: 304
; MemoryBound: 0
	.text
	.p2align	2                               ; -- Begin function _ZN12_GLOBAL__N_17runRingI14__hip_fp8_e4m37FuncSumIS1_E11ProtoSimpleILi2ELi2ELi0ELi4ELi0ELi0EELi0ELi0ELi4ELi0EEEviiP15ncclDevWorkColl
	.type	_ZN12_GLOBAL__N_17runRingI14__hip_fp8_e4m37FuncSumIS1_E11ProtoSimpleILi2ELi2ELi0ELi4ELi0ELi0EELi0ELi0ELi4ELi0EEEviiP15ncclDevWorkColl,@function
_ZN12_GLOBAL__N_17runRingI14__hip_fp8_e4m37FuncSumIS1_E11ProtoSimpleILi2ELi2ELi0ELi4ELi0ELi0EELi0ELi0ELi4ELi0EEEviiP15ncclDevWorkColl: ; @_ZN12_GLOBAL__N_17runRingI14__hip_fp8_e4m37FuncSumIS1_E11ProtoSimpleILi2ELi2ELi0ELi4ELi0ELi0EELi0ELi0ELi4ELi0EEEviiP15ncclDevWorkColl
; %bb.0:
	s_waitcnt vmcnt(0) expcnt(0) lgkmcnt(0)
	s_mov_b32 s4, s33
	s_mov_b32 s33, s32
	s_or_saveexec_b64 s[6:7], -1
	buffer_store_dword v63, off, s[0:3], s33 offset:184 ; 4-byte Folded Spill
	buffer_store_dword v62, off, s[0:3], s33 offset:188 ; 4-byte Folded Spill
	buffer_store_dword v61, off, s[0:3], s33 offset:192 ; 4-byte Folded Spill
	s_mov_b64 exec, s[6:7]
	v_writelane_b32 v62, s4, 2
	v_accvgpr_write_b32 a9, v40             ;  Reload Reuse
	s_addk_i32 s32, 0x3400
	buffer_store_dword v41, off, s[0:3], s33 offset:172 ; 4-byte Folded Spill
	buffer_store_dword v42, off, s[0:3], s33 offset:168 ; 4-byte Folded Spill
	;; [unrolled: 1-line block ×43, first 2 shown]
	buffer_store_dword a63, off, s[0:3], s33 ; 4-byte Folded Spill
	v_writelane_b32 v63, s34, 0
	v_writelane_b32 v63, s35, 1
	;; [unrolled: 1-line block ×66, first 2 shown]
	v_mov_b32_e32 v18, v1
	s_trap 2
	flat_load_dword v1, v[2:3]
	ds_read_b32 v6, v0
	v_mov_b32_e32 v57, v0
	s_mov_b64 s[28:29], s[8:9]
                                        ; implicit-def: $vgpr4_vgpr5
                                        ; implicit-def: $agpr4_agpr5
                                        ; implicit-def: $agpr6_agpr7
	s_waitcnt lgkmcnt(0)
	v_readfirstlane_b32 s76, v6
	s_waitcnt vmcnt(0)
	v_cmp_ne_u32_sdwa s[4:5], v1, v6 src0_sel:BYTE_0 src1_sel:DWORD
	s_and_saveexec_b64 s[6:7], s[4:5]
	s_xor_b64 s[4:5], exec, s[6:7]
	s_cbranch_execz .LBB6_6
; %bb.1:
	v_not_b32_sdwa v0, v1 dst_sel:DWORD dst_unused:UNUSED_PAD src0_sel:BYTE_0
	v_cmp_ne_u32_sdwa s[6:7], v1, v6 src0_sel:BYTE_1 src1_sel:DWORD
                                        ; implicit-def: $vgpr4_vgpr5
                                        ; implicit-def: $agpr4_agpr5
                                        ; implicit-def: $agpr6_agpr7
	s_and_saveexec_b64 s[8:9], s[6:7]
	s_xor_b64 s[6:7], exec, s[8:9]
	s_cbranch_execz .LBB6_3
; %bb.2:
	flat_load_dwordx4 v[8:11], v[2:3] offset:72
	flat_load_dwordx2 v[4:5], v[2:3] offset:96
	v_add_u32_e32 v0, v6, v0
	v_ashrrev_i32_e32 v1, 31, v0
	s_waitcnt vmcnt(0) lgkmcnt(0)
	v_mul_lo_u32 v1, v10, v1
	v_mad_u64_u32 v[6:7], s[8:9], v10, v0, v[8:9]
	v_mul_lo_u32 v0, v11, v0
	v_add3_u32 v7, v0, v7, v1
	v_accvgpr_write_b32 a4, v6
	v_accvgpr_write_b32 a6, v10
	v_lshrrev_b64 v[4:5], 12, v[4:5]
	v_accvgpr_write_b32 a5, v7
	v_accvgpr_write_b32 a7, v11
                                        ; implicit-def: $vgpr1
                                        ; implicit-def: $vgpr0
.LBB6_3:
	s_andn2_saveexec_b64 s[6:7], s[6:7]
	s_cbranch_execz .LBB6_5
; %bb.4:
	flat_load_dwordx4 v[4:7], v[2:3] offset:72
	flat_load_dwordx4 v[8:11], v[2:3] offset:88
	v_add_u32_sdwa v0, v1, v0 dst_sel:DWORD dst_unused:UNUSED_PAD src0_sel:BYTE_1 src1_sel:DWORD
	v_ashrrev_i32_e32 v1, 31, v0
	s_waitcnt vmcnt(0) lgkmcnt(0)
	v_mul_lo_u32 v1, v6, v1
	v_mad_u64_u32 v[4:5], s[8:9], v6, v0, v[4:5]
	v_mul_lo_u32 v0, v7, v0
	v_add3_u32 v5, v0, v5, v1
	v_accvgpr_write_b32 a4, v4
	v_accvgpr_write_b32 a6, v8
	;; [unrolled: 1-line block ×4, first 2 shown]
	v_lshrrev_b32_e32 v4, 1, v11
.LBB6_5:
	s_or_b64 exec, exec, s[6:7]
.LBB6_6:
	s_andn2_saveexec_b64 s[4:5], s[4:5]
	s_cbranch_execz .LBB6_8
; %bb.7:
	flat_load_dwordx2 v[0:1], v[2:3] offset:96
	flat_load_dwordx2 a[6:7], v[2:3] offset:72
	s_waitcnt vmcnt(0) lgkmcnt(0)
	v_lshlrev_b64 v[4:5], 9, v[0:1]
	v_pk_mov_b32 v[0:1], 0, 0
	v_accvgpr_write_b32 a5, v1
	v_accvgpr_write_b32 a4, v0
.LBB6_8:
	s_or_b64 exec, exec, s[4:5]
	s_trap 2
	ds_read_b64 v[0:1], v0
	s_waitcnt lgkmcnt(0)
	v_cmp_ne_u32_e32 vcc, -1, v0
	v_cndmask_b32_e64 v0, 0, 1, vcc
	v_cmp_ne_u32_e32 vcc, -1, v1
	v_addc_co_u32_e64 v1, s[4:5], 0, v0, vcc
	v_lshlrev_b32_e32 v5, 1, v1
	v_cmp_le_i32_e64 s[4:5], v5, v18
	s_and_saveexec_b64 s[6:7], s[4:5]
	s_xor_b64 s[26:27], exec, s[6:7]
	s_cbranch_execnz .LBB6_9
; %bb.6131:
	s_getpc_b64 s[98:99]
.Lpost_getpc10:
	s_add_u32 s98, s98, (.LBB6_6128-.Lpost_getpc10)&4294967295
	s_addc_u32 s99, s99, (.LBB6_6128-.Lpost_getpc10)>>32
	s_setpc_b64 s[98:99]
.LBB6_9:
	flat_load_dwordx2 v[14:15], v[2:3] offset:104
	flat_load_dwordx4 v[10:13], v[2:3] offset:16
	flat_load_ushort v7, v[2:3] offset:8
	flat_load_dword v6, v[2:3] offset:4
	s_trap 2
	s_load_dword s4, s[28:29], 0x0
	v_mov_b32_e32 v5, 0
	v_mov_b32_e32 v60, 4
	s_waitcnt lgkmcnt(0)
	s_cmp_lt_u32 s12, s4
	s_cselect_b32 s4, 12, 18
	s_add_u32 s4, s28, s4
	s_addc_u32 s5, s29, 0
	global_load_ushort a2, v5, s[4:5]
	ds_read_b32 v5, v0
	v_cmp_ge_i32_e64 s[4:5], v57, v0
	s_waitcnt lgkmcnt(0)
	v_readfirstlane_b32 s8, v5
	s_and_saveexec_b64 s[6:7], s[4:5]
	s_cbranch_execz .LBB6_19
; %bb.10:
	v_cmp_le_u32_e64 s[4:5], v1, v57
                                        ; implicit-def: $vgpr60
	s_and_saveexec_b64 s[10:11], s[4:5]
	s_xor_b64 s[4:5], exec, s[10:11]
	s_cbranch_execz .LBB6_16
; %bb.11:
	v_cndmask_b32_e64 v5, 0, 1, vcc
	v_sub_u32_e32 v5, v18, v5
	v_cmp_ge_u32_e32 vcc, v57, v5
                                        ; implicit-def: $sgpr9
	s_and_saveexec_b64 s[10:11], vcc
	s_xor_b64 s[10:11], exec, s[10:11]
; %bb.12:
	s_mov_b32 s9, 16
                                        ; implicit-def: $vgpr1
; %bb.13:
	s_or_saveexec_b64 s[10:11], s[10:11]
	v_mov_b32_e32 v60, s9
	s_xor_b64 exec, exec, s[10:11]
; %bb.14:
	v_sub_u32_e32 v1, v18, v1
	v_cmp_ge_i32_e32 vcc, v57, v1
	v_cndmask_b32_e64 v1, 0, 1, vcc
	v_lshlrev_b32_e32 v60, 5, v1
; %bb.15:
	s_or_b64 exec, exec, s[10:11]
.LBB6_16:
	s_andn2_saveexec_b64 s[4:5], s[4:5]
; %bb.17:
	v_mov_b32_e32 v60, 8
; %bb.18:
	s_or_b64 exec, exec, s[4:5]
.LBB6_19:
	s_or_b64 exec, exec, s[6:7]
	v_and_b32_e32 v1, 36, v60
	v_cmp_ne_u32_e32 vcc, 0, v1
	v_mov_b32_e32 v8, -1
	s_and_saveexec_b64 s[4:5], vcc
	s_cbranch_execz .LBB6_21
; %bb.20:
	s_trap 2
	ds_read_b32 v8, v0
.LBB6_21:
	s_or_b64 exec, exec, s[4:5]
	v_and_b32_e32 v1, 24, v60
	v_cmp_ne_u32_e64 s[4:5], 0, v1
	s_and_saveexec_b64 s[6:7], s[4:5]
	s_cbranch_execz .LBB6_23
; %bb.22:
	s_trap 2
	s_waitcnt lgkmcnt(0)
	ds_read_b32 v8, v0
.LBB6_23:
	s_or_b64 exec, exec, s[6:7]
	s_waitcnt vmcnt(0)
	v_lshrrev_b64 v[6:7], 31, v[6:7]
	v_and_b32_e32 v1, 3, v6
	v_pk_mov_b32 v[6:7], 0, 0
	v_accvgpr_write_b32 a11, v7
	v_accvgpr_write_b32 a15, v7
	;; [unrolled: 1-line block ×4, first 2 shown]
                                        ; implicit-def: $vgpr16_vgpr17
                                        ; kill: killed $vgpr16_vgpr17
                                        ; implicit-def: $agpr20
                                        ; implicit-def: $agpr12_agpr13
                                        ; implicit-def: $agpr22_agpr23
                                        ; implicit-def: $vgpr48_vgpr49
                                        ; implicit-def: $agpr18_agpr19
	s_and_saveexec_b64 s[4:5], vcc
	s_cbranch_execz .LBB6_33
; %bb.24:
	s_trap 2
	ds_read_b64 v[6:7], v0
	s_waitcnt lgkmcnt(1)
	v_ashrrev_i32_e32 v9, 31, v8
	v_lshlrev_b64 v[16:17], 3, v[8:9]
	v_and_b32_e32 v5, 0xffff, v1
	s_movk_i32 s6, 0xa8
	s_waitcnt lgkmcnt(0)
	v_add_co_u32_e32 v6, vcc, v6, v16
	v_addc_co_u32_e32 v7, vcc, v7, v17, vcc
	flat_load_dwordx2 v[6:7], v[6:7]
	s_waitcnt vmcnt(0) lgkmcnt(0)
	v_mad_u64_u32 v[6:7], s[6:7], v5, s6, v[6:7]
	flat_load_dword v5, v[6:7] offset:640
	v_add_co_u32_e32 v20, vcc, 0x1f8, v6
	v_addc_co_u32_e32 v21, vcc, 0, v7, vcc
                                        ; implicit-def: $vgpr6_vgpr7
                                        ; kill: killed $vgpr6_vgpr7
	s_waitcnt vmcnt(0) lgkmcnt(0)
	v_cmp_eq_u32_e32 vcc, 1, v5
	s_and_saveexec_b64 s[6:7], vcc
	s_cbranch_execz .LBB6_26
; %bb.25:
	flat_load_dwordx2 v[16:17], v[20:21] offset:144
	v_or_b32_e32 v60, 0x2000, v60
	s_waitcnt vmcnt(0) lgkmcnt(0)
	flat_load_dwordx2 v[6:7], v[16:17]
	s_trap 2
	s_waitcnt vmcnt(0) lgkmcnt(0)
	ds_write_b64 v0, v[6:7]
	flat_load_dwordx2 v[6:7], v[16:17] offset:8
	s_waitcnt vmcnt(0) lgkmcnt(0)
	ds_write_b64 v0, v[6:7]
	buffer_store_dword v16, off, s[0:3], s33 offset:176 ; 4-byte Folded Spill
	s_nop 0
	buffer_store_dword v17, off, s[0:3], s33 offset:180 ; 4-byte Folded Spill
	flat_load_dwordx2 v[6:7], v[16:17] offset:16
	s_waitcnt vmcnt(0) lgkmcnt(0)
	ds_write_b64 v0, v[6:7]
.LBB6_26:
	s_or_b64 exec, exec, s[6:7]
	flat_load_dwordx2 v[6:7], v[20:21] offset:104
	v_accvgpr_write_b32 a10, v20
	v_and_b32_e32 v5, 32, v60
	v_accvgpr_write_b32 a11, v21
                                        ; implicit-def: $agpr18_agpr19
	s_waitcnt vmcnt(0) lgkmcnt(0)
	v_add_co_u32_e32 v6, vcc, 3, v6
	v_addc_co_u32_e32 v7, vcc, 0, v7, vcc
	v_and_b32_e32 v6, -4, v6
	v_accvgpr_write_b32 a13, v7
	v_accvgpr_write_b32 a12, v6
	v_cmp_ne_u32_e32 vcc, 0, v5
	s_and_saveexec_b64 s[6:7], vcc
	s_cbranch_execz .LBB6_28
; %bb.27:
	v_accvgpr_read_b32 v6, a10
	v_accvgpr_read_b32 v7, a11
	flat_load_dwordx2 v[16:17], v[6:7] offset:56
	s_waitcnt vmcnt(0) lgkmcnt(0)
	v_accvgpr_write_b32 a19, v17
	v_accvgpr_write_b32 a18, v16
	flat_store_dwordx2 v[16:17], a[12:13]
.LBB6_28:
	s_or_b64 exec, exec, s[6:7]
	v_pk_mov_b32 v[6:7], 0, 0
	v_and_b32_e32 v5, 4, v60
	v_accvgpr_write_b32 a15, v7
	v_cmp_ne_u32_e32 vcc, 0, v5
	v_accvgpr_write_b32 a14, v6
                                        ; implicit-def: $agpr20
                                        ; implicit-def: $agpr22_agpr23
                                        ; implicit-def: $vgpr48_vgpr49
	s_and_saveexec_b64 s[6:7], vcc
	s_cbranch_execz .LBB6_32
; %bb.29:
	v_and_b32_e32 v5, 0x800, v60
	v_cmp_eq_u32_e32 vcc, 0, v5
	s_and_saveexec_b64 s[10:11], vcc
	s_cbranch_execz .LBB6_31
; %bb.30:
	s_trap 2
	ds_write_b64 v0, a[10:11]
.LBB6_31:
	s_or_b64 exec, exec, s[10:11]
	v_accvgpr_read_b32 v6, a10
	v_accvgpr_read_b32 v7, a11
	flat_load_dwordx2 v[16:17], v[6:7] offset:48
	v_or_b32_e32 v5, 0x100, v60
	s_waitcnt vmcnt(0) lgkmcnt(0)
	v_accvgpr_write_b32 a19, v17
	v_accvgpr_write_b32 a18, v16
	flat_load_dwordx2 v[48:49], v[16:17] glc
	s_nop 0
	flat_load_dwordx2 v[16:17], v[6:7] offset:96
	flat_load_dword a20, v[6:7] offset:72
	flat_load_dwordx2 a[22:23], v[6:7] offset:16
	s_waitcnt vmcnt(0) lgkmcnt(0)
	v_accvgpr_write_b32 a14, v16
	v_cmp_eq_u64_e32 vcc, 0, v[16:17]
	v_accvgpr_write_b32 a15, v17
	v_cndmask_b32_e32 v60, v5, v60, vcc
.LBB6_32:
	s_or_b64 exec, exec, s[6:7]
.LBB6_33:
	s_or_b64 exec, exec, s[4:5]
	v_and_b32_e32 v5, 24, v60
	v_cmp_ne_u32_e32 vcc, 0, v5
                                        ; implicit-def: $agpr24_agpr25
	s_and_saveexec_b64 s[4:5], vcc
	s_cbranch_execz .LBB6_41
; %bb.34:
	s_trap 2
	ds_read_b64 v[6:7], v0
	s_waitcnt lgkmcnt(0)
	v_ashrrev_i32_e32 v9, 31, v8
	v_lshlrev_b64 v[8:9], 3, v[8:9]
	v_and_b32_e32 v1, 0xffff, v1
	s_movk_i32 s6, 0xa8
	v_add_co_u32_e32 v6, vcc, v6, v8
	v_addc_co_u32_e32 v7, vcc, v7, v9, vcc
	flat_load_dwordx2 v[6:7], v[6:7]
                                        ; implicit-def: $agpr24_agpr25
	s_waitcnt vmcnt(0) lgkmcnt(0)
	v_mad_u64_u32 v[6:7], s[6:7], v1, s6, v[6:7]
	v_accvgpr_write_b32 a11, v7
	v_accvgpr_write_b32 a10, v6
	flat_load_dwordx4 v[6:9], v[6:7] offset:96
	v_or_b32_e32 v1, 0x100, v60
	s_waitcnt vmcnt(0) lgkmcnt(0)
	v_cmp_eq_u64_e32 vcc, 0, v[6:7]
	v_cndmask_b32_e32 v60, v1, v60, vcc
	v_accvgpr_write_b32 a17, v9
	v_and_b32_e32 v1, 16, v60
	v_accvgpr_write_b32 a16, v8
	v_accvgpr_write_b32 a15, v7
	v_accvgpr_write_b32 a14, v6
	v_cmp_ne_u32_e32 vcc, 0, v1
	s_and_saveexec_b64 s[6:7], vcc
	s_cbranch_execz .LBB6_36
; %bb.35:
	v_accvgpr_read_b32 v6, a10
	v_accvgpr_read_b32 v7, a11
	flat_load_dwordx2 a[24:25], v[6:7] offset:120
	flat_load_dwordx2 a[18:19], v[6:7] offset:48
	;; [unrolled: 1-line block ×3, first 2 shown]
.LBB6_36:
	s_or_b64 exec, exec, s[6:7]
	v_accvgpr_read_b32 v6, a14
	v_accvgpr_read_b32 v8, a16
	;; [unrolled: 1-line block ×4, first 2 shown]
	v_add_co_u32_e32 v1, vcc, 3, v8
	v_addc_co_u32_e32 v7, vcc, 0, v9, vcc
	v_and_b32_e32 v6, -4, v1
	v_accvgpr_write_b32 a13, v7
	v_and_b32_e32 v1, 8, v60
	v_accvgpr_write_b32 a12, v6
	v_cmp_ne_u32_e32 vcc, 0, v1
	s_and_saveexec_b64 s[6:7], vcc
	s_cbranch_execz .LBB6_40
; %bb.37:
	v_and_b32_e32 v1, 0x800, v60
	v_cmp_eq_u32_e32 vcc, 0, v1
	s_and_saveexec_b64 s[10:11], vcc
	s_cbranch_execz .LBB6_39
; %bb.38:
	s_trap 2
	ds_write_b64 v0, a[10:11]
.LBB6_39:
	s_or_b64 exec, exec, s[10:11]
	v_accvgpr_read_b32 v6, a10
	v_accvgpr_read_b32 v7, a11
	flat_load_dwordx2 v[8:9], v[6:7] offset:56
	s_waitcnt vmcnt(0) lgkmcnt(0)
	flat_load_dwordx2 v[48:49], v[8:9] glc
	flat_load_dword a20, v[6:7] offset:72
	flat_load_dwordx2 a[22:23], v[6:7] offset:16
	v_accvgpr_write_b32 a19, v9
	v_accvgpr_write_b32 a18, v8
.LBB6_40:
	s_or_b64 exec, exec, s[6:7]
.LBB6_41:
	s_or_b64 exec, exec, s[4:5]
	v_cmp_eq_u32_e64 s[4:5], 0, v57
	s_and_saveexec_b64 s[6:7], s[4:5]
	s_cbranch_execz .LBB6_43
; %bb.42:
	flat_load_dwordx2 v[6:7], v[2:3] offset:32
	s_waitcnt lgkmcnt(0)
	v_mov_b32_e32 v8, v12
	v_mov_b32_e32 v9, v13
	ds_write2_b64 v0, v[8:9], v[10:11] offset1:1
	s_trap 2
	s_waitcnt vmcnt(0)
	ds_write_b64 v0, v[6:7]
	ds_write_b64 v0, v[14:15]
.LBB6_43:
	s_or_b64 exec, exec, s[6:7]
	v_accvgpr_read_b32 v6, a6
	v_accvgpr_read_b32 v7, a7
	v_cmp_lt_i64_e32 vcc, 0, v[6:7]
	v_pk_mov_b32 v[6:7], 0, 0
	v_accvgpr_write_b32 a17, v7
	s_mov_b64 s[40:41], 0
	v_accvgpr_write_b32 a16, v6
	s_mov_b64 s[6:7], exec
                                        ; implicit-def: $vgpr61 : SGPR spill to VGPR lane
	v_writelane_b32 v61, s6, 0
	v_writelane_b32 v61, s7, 1
	s_and_b64 s[6:7], s[6:7], vcc
	s_mov_b64 exec, s[6:7]
	s_cbranch_execnz .LBB6_44
; %bb.6133:
	s_getpc_b64 s[98:99]
.Lpost_getpc11:
	s_add_u32 s98, s98, (.LBB6_6092-.Lpost_getpc11)&4294967295
	s_addc_u32 s99, s99, (.LBB6_6092-.Lpost_getpc11)>>32
	s_setpc_b64 s[98:99]
.LBB6_44:
	flat_load_dword v1, v[2:3] offset:4
	v_writelane_b32 v61, s26, 2
	v_and_b32_e32 v26, 0x3ffffe00, v4
	s_waitcnt vmcnt(0) lgkmcnt(0)
	v_accvgpr_read_b32 v4, a20
	v_writelane_b32 v61, s27, 3
	v_ashrrev_i32_e32 v3, 31, v4
	v_writelane_b32 v61, s28, 4
	s_ashr_i32 s77, s76, 31
	v_accvgpr_write_b32 a21, v3
	v_accvgpr_read_b32 v3, a2
	v_mad_i64_i32 v[10:11], s[16:17], v26, s76, 0
	v_writelane_b32 v61, s29, 5
	v_and_b32_e32 v2, 63, v31
	v_cmp_ne_u32_sdwa s[44:45], v3, v18 src0_sel:WORD_0 src1_sel:DWORD
	v_lshrrev_b32_e32 v8, 6, v18
	v_ashrrev_i32_e32 v3, 31, v57
	v_mov_b32_e32 v4, 0xfffff000
	s_add_u32 s16, s76, -1
	s_movk_i32 s9, 0x1000
	v_mov_b32_e32 v5, 0xfffff800
	v_accvgpr_read_b32 v6, a24
	v_writelane_b32 v61, s16, 6
	v_cmp_eq_u32_e64 s[16:17], 0, v2
	v_lshrrev_b32_e32 v2, 26, v3
	v_lshl_add_u32 v3, v8, 12, v4
	s_addc_u32 s18, s77, -1
	v_accvgpr_read_b32 v7, a25
	v_lshl_add_u32 v4, v8, 11, v5
	v_writelane_b32 v61, s18, 7
	s_add_i32 s82, s76, s76
	s_not_b32 s22, s76
	v_ashrrev_i32_e32 v5, 31, v3
	v_add_co_u32_e64 v3, s[18:19], s9, v3
	s_movk_i32 s21, 0x800
	v_cmp_eq_u64_e64 s[12:13], 0, v[6:7]
	v_cmp_ne_u64_e64 s[14:15], 0, v[6:7]
	v_lshlrev_b32_e32 v6, 10, v8
	s_cmp_gt_i32 s76, 0
	v_accvgpr_write_b32 a35, v3
	v_addc_co_u32_e64 v3, s[18:19], 0, v5, s[18:19]
	v_and_b32_e32 v9, 0xffffffc0, v18
	v_accvgpr_write_b32 a30, v6
	v_add_u32_e32 v12, 0xfffffc00, v6
	v_ashrrev_i32_e32 v6, 31, v4
	v_add_co_u32_e64 v4, s[18:19], s21, v4
	s_cselect_b32 s9, s22, -1
	s_ashr_i32 s21, s8, 31
	v_accvgpr_write_b32 a26, v8
	v_subrev_u32_e32 v8, 64, v9
	v_accvgpr_write_b32 a38, v4
	v_addc_co_u32_e64 v4, s[18:19], 0, v6, s[18:19]
	s_add_i32 s24, s9, s82
	s_lshr_b32 s9, s21, 25
	v_add_u32_e32 v2, v57, v2
	v_ashrrev_i32_e32 v7, 31, v8
	v_accvgpr_write_b32 a39, v4
	v_add_co_u32_e64 v4, s[18:19], 64, v8
	s_add_i32 s8, s8, s9
	v_accvgpr_write_b32 a27, v9
	v_ashrrev_i32_e32 v9, 6, v2
	v_and_b32_e32 v2, 0xffffffc0, v2
	v_accvgpr_write_b32 a40, v4
	v_addc_co_u32_e64 v4, s[18:19], 0, v7, s[18:19]
	v_writelane_b32 v61, s24, 8
	s_ashr_i32 s24, s24, 31
	s_ashr_i32 s85, s8, 7
	s_movk_i32 s20, 0x400
	v_accvgpr_write_b32 a41, v4
	v_sub_u32_e32 v4, v57, v2
	s_cmp_gt_i32 s76, 2
	v_add_co_u32_e64 v55, s[18:19], s20, v12
	v_cmp_lt_i32_e64 s[20:21], v4, v0
	v_cmp_le_i32_e64 s[22:23], v4, v0
	v_writelane_b32 v61, s24, 9
	s_cselect_b64 s[8:9], -1, 0
	v_and_b32_e32 v0, 1, v1
	v_writelane_b32 v61, s8, 10
	v_cmp_eq_u32_e64 s[24:25], 1, v0
	v_writelane_b32 v61, s9, 11
	s_xor_b64 s[48:49], s[24:25], -1
	s_add_i32 s8, s76, 1
	v_accvgpr_write_b32 a36, v3
	v_ashrrev_i32_e32 v3, 31, v12
	v_lshlrev_b32_e32 v2, 12, v9
	s_cmp_le_i32 s76, s8
	v_accvgpr_write_b32 a37, v3
	v_addc_co_u32_e64 v41, s[18:19], 0, v3, s[18:19]
	v_lshlrev_b32_e32 v3, 11, v9
	v_lshl_add_u32 v2, v4, 4, v2
	s_cselect_b32 s9, s76, 0
	v_mov_b32_e32 v27, 0
	v_accvgpr_write_b32 a31, v7
	v_ashrrev_i32_e32 v5, 31, v2
	v_accvgpr_write_b32 a46, v2
	v_sub_u32_e32 v2, v2, v3
	s_sub_i32 s8, s8, s9
	v_pk_mov_b32 v[6:7], 0, 0
	s_mov_b32 s42, -1
	v_cmp_ge_i32_e32 vcc, v57, v18
	v_accvgpr_write_b32 a48, v2
	v_ashrrev_i32_e32 v1, 31, v2
	v_writelane_b32 v61, s8, 12
	s_ashr_i32 s8, s8, 31
	v_accvgpr_write_b32 a53, v27
	v_accvgpr_write_b32 a17, v7
	v_accvgpr_read_b32 v2, a6
	s_mov_b32 s43, 0xffffff
	v_accvgpr_write_b32 a1, v31
	v_cmp_eq_u32_e64 s[6:7], 64, v18
	v_cmp_ne_u32_e64 s[10:11], 64, v18
	s_movk_i32 s78, 0xffc0
	s_movk_i32 s79, 0xfc00
	v_accvgpr_write_b32 a0, v18
	v_accvgpr_write_b32 a32, v8
	;; [unrolled: 1-line block ×4, first 2 shown]
	v_cmp_gt_i32_e64 s[18:19], 1, v4
	v_accvgpr_write_b32 a42, v4
	v_accvgpr_write_b32 a45, v5
	;; [unrolled: 1-line block ×3, first 2 shown]
	v_writelane_b32 v61, s8, 13
	s_add_i32 s88, s76, -2
	s_xor_b64 s[50:51], vcc, -1
	s_movk_i32 s89, 0x270e
	s_movk_i32 s90, 0x108
	;; [unrolled: 1-line block ×4, first 2 shown]
	s_mov_b64 s[52:53], 0x7f800000
	s_mov_b64 s[54:55], 0x43e00001
	s_movk_i32 s93, 0x7a
	s_mov_b64 s[56:57], 0xffffff
	s_mov_b32 s94, 0xc0c0500
	s_movk_i32 s95, 0xfc40
	s_movk_i32 s96, 0xfc80
	s_movk_i32 s97, 0xfcc0
	s_movk_i32 s38, 0xfd00
	s_movk_i32 s39, 0xfd40
	s_movk_i32 s36, 0xfd80
	s_movk_i32 s37, 0xfdc0
	s_movk_i32 s80, 0xfe00
	s_movk_i32 s9, 0xfe40
	s_movk_i32 s8, 0xfe80
	s_movk_i32 s81, 0xfec0
	s_movk_i32 s84, 0xff00
	s_movk_i32 s87, 0xff40
	s_movk_i32 s46, 0xff80
	v_bfrev_b32_e32 v31, 60
	v_accvgpr_write_b32 a52, v26
	v_accvgpr_write_b32 a16, v6
	;; [unrolled: 1-line block ×3, first 2 shown]
	v_accvgpr_read_b32 v3, a7
	v_accvgpr_write_b32 a43, v55
	v_accvgpr_write_b32 a44, v41
	s_trap 2
	s_branch .LBB6_47
.LBB6_45:                               ;   in Loop: Header=BB6_47 Depth=1
	s_or_b64 exec, exec, s[30:31]
.LBB6_46:                               ;   in Loop: Header=BB6_47 Depth=1
	s_or_b64 exec, exec, s[28:29]
	v_accvgpr_read_b32 v10, a28
	v_accvgpr_read_b32 v6, a50
	;; [unrolled: 1-line block ×4, first 2 shown]
	v_add_co_u32_e32 v6, vcc, v6, v10
	v_accvgpr_read_b32 v2, a6
	v_addc_co_u32_e32 v7, vcc, v7, v11, vcc
	v_accvgpr_read_b32 v3, a7
	v_cmp_ge_i64_e32 vcc, v[6:7], v[2:3]
	s_or_b64 s[40:41], vcc, s[40:41]
	s_andn2_b64 exec, exec, s[40:41]
	s_cbranch_execnz .LBB6_47
; %bb.6135:
	s_getpc_b64 s[98:99]
.Lpost_getpc12:
	s_add_u32 s98, s98, (.LBB6_6091-.Lpost_getpc12)&4294967295
	s_addc_u32 s99, s99, (.LBB6_6091-.Lpost_getpc12)>>32
	s_setpc_b64 s[98:99]
.LBB6_47:                               ; =>This Loop Header: Depth=1
                                        ;     Child Loop BB6_57 Depth 2
                                        ;       Child Loop BB6_65 Depth 3
                                        ;       Child Loop BB6_89 Depth 3
	;; [unrolled: 1-line block ×9, first 2 shown]
                                        ;     Child Loop BB6_199 Depth 2
                                        ;       Child Loop BB6_205 Depth 3
                                        ;       Child Loop BB6_234 Depth 3
	;; [unrolled: 1-line block ×3, first 2 shown]
                                        ;     Child Loop BB6_271 Depth 2
                                        ;       Child Loop BB6_274 Depth 3
                                        ;         Child Loop BB6_282 Depth 4
                                        ;         Child Loop BB6_308 Depth 4
                                        ;         Child Loop BB6_327 Depth 4
                                        ;         Child Loop BB6_804 Depth 4
                                        ;         Child Loop BB6_1611 Depth 4
                                        ;         Child Loop BB6_348 Depth 4
                                        ;         Child Loop BB6_1577 Depth 4
                                        ;         Child Loop BB6_2008 Depth 4
                                        ;         Child Loop BB6_2027 Depth 4
                                        ;       Child Loop BB6_2046 Depth 3
                                        ;         Child Loop BB6_2052 Depth 4
                                        ;         Child Loop BB6_2090 Depth 4
	;; [unrolled: 1-line block ×3, first 2 shown]
                                        ;     Child Loop BB6_2119 Depth 2
                                        ;       Child Loop BB6_2127 Depth 3
                                        ;       Child Loop BB6_2153 Depth 3
	;; [unrolled: 1-line block ×9, first 2 shown]
                                        ;         Child Loop BB6_3399 Depth 4
                                        ;       Child Loop BB6_3409 Depth 3
                                        ;       Child Loop BB6_3861 Depth 3
                                        ;         Child Loop BB6_3890 Depth 4
                                        ;       Child Loop BB6_2200 Depth 3
                                        ;       Child Loop BB6_2995 Depth 3
                                        ;     Child Loop BB6_5553 Depth 2
                                        ;       Child Loop BB6_5559 Depth 3
                                        ;       Child Loop BB6_5589 Depth 3
	;; [unrolled: 1-line block ×3, first 2 shown]
                                        ;     Child Loop BB6_5627 Depth 2
                                        ;       Child Loop BB6_5630 Depth 3
                                        ;         Child Loop BB6_5638 Depth 4
                                        ;         Child Loop BB6_5664 Depth 4
	;; [unrolled: 1-line block ×9, first 2 shown]
                                        ;           Child Loop BB6_5724 Depth 5
                                        ;         Child Loop BB6_5733 Depth 4
                                        ;         Child Loop BB6_5738 Depth 4
                                        ;           Child Loop BB6_5739 Depth 5
                                        ;         Child Loop BB6_5711 Depth 4
                                        ;         Child Loop BB6_5790 Depth 4
                                        ;       Child Loop BB6_5808 Depth 3
                                        ;         Child Loop BB6_5814 Depth 4
                                        ;         Child Loop BB6_5844 Depth 4
	;; [unrolled: 1-line block ×3, first 2 shown]
                                        ;     Child Loop BB6_5885 Depth 2
                                        ;       Child Loop BB6_5893 Depth 3
                                        ;       Child Loop BB6_5917 Depth 3
	;; [unrolled: 1-line block ×9, first 2 shown]
                                        ;     Child Loop BB6_6025 Depth 2
                                        ;       Child Loop BB6_6031 Depth 3
                                        ;       Child Loop BB6_6055 Depth 3
	;; [unrolled: 1-line block ×3, first 2 shown]
	v_sub_co_u32_e32 v0, vcc, v2, v6
	v_subb_co_u32_e32 v1, vcc, v3, v7, vcc
	v_accvgpr_write_b32 a29, v11
	v_accvgpr_write_b32 a55, v1
	;; [unrolled: 1-line block ×4, first 2 shown]
	v_cmp_lt_i64_e32 vcc, v[0:1], v[10:11]
	s_and_saveexec_b64 s[28:29], vcc
	s_cbranch_execz .LBB6_53
; %bb.48:                               ;   in Loop: Header=BB6_47 Depth=1
	v_readlane_b32 s26, v61, 7
	v_mov_b32_e32 v2, s26
	v_readlane_b32 s26, v61, 6
	v_accvgpr_read_b32 v4, a54
	v_accvgpr_read_b32 v5, a55
	v_add_co_u32_e32 v1, vcc, s26, v4
	v_addc_co_u32_e32 v4, vcc, v2, v5, vcc
	v_or_b32_e32 v3, s77, v4
	v_mov_b32_e32 v2, v27
	v_cmp_ne_u64_e32 vcc, 0, v[2:3]
                                        ; implicit-def: $vgpr2_vgpr3
	s_and_saveexec_b64 s[26:27], vcc
	s_xor_b64 s[30:31], exec, s[26:27]
	s_cbranch_execz .LBB6_50
; %bb.49:                               ;   in Loop: Header=BB6_47 Depth=1
	s_add_u32 s26, s76, s77
	s_mov_b32 s34, s77
	s_mov_b32 s35, s77
	s_addc_u32 s27, s77, s77
	s_xor_b64 s[58:59], s[26:27], s[34:35]
	v_cvt_f32_u32_e32 v2, s58
	v_cvt_f32_u32_e32 v3, s59
	s_sub_u32 s26, 0, s58
	s_subb_u32 s27, 0, s59
	v_pk_mov_b32 v[12:13], v[6:7], v[6:7] op_sel:[0,1]
	v_mac_f32_e32 v2, 0x4f800000, v3
	v_rcp_f32_e32 v2, v2
	v_mul_f32_e32 v2, 0x5f7ffffc, v2
	v_mul_f32_e32 v3, 0x2f800000, v2
	v_trunc_f32_e32 v3, v3
	v_mac_f32_e32 v2, 0xcf800000, v3
	v_cvt_u32_f32_e32 v3, v3
	v_cvt_u32_f32_e32 v2, v2
	v_mul_lo_u32 v5, s26, v3
	v_mul_hi_u32 v7, s26, v2
	v_mul_lo_u32 v6, s27, v2
	v_add_u32_e32 v5, v7, v5
	v_mul_lo_u32 v8, s26, v2
	v_add_u32_e32 v5, v5, v6
	v_mul_lo_u32 v7, v2, v5
	v_mul_hi_u32 v9, v2, v8
	v_mul_hi_u32 v6, v2, v5
	v_add_co_u32_e32 v7, vcc, v9, v7
	v_addc_co_u32_e32 v6, vcc, 0, v6, vcc
	v_mul_hi_u32 v10, v3, v8
	v_mul_lo_u32 v8, v3, v8
	v_add_co_u32_e32 v7, vcc, v7, v8
	v_mul_hi_u32 v9, v3, v5
	v_addc_co_u32_e32 v6, vcc, v6, v10, vcc
	v_addc_co_u32_e32 v7, vcc, 0, v9, vcc
	v_mul_lo_u32 v5, v3, v5
	v_add_co_u32_e32 v5, vcc, v6, v5
	v_addc_co_u32_e32 v6, vcc, 0, v7, vcc
	v_add_co_u32_e32 v2, vcc, v2, v5
	v_addc_co_u32_e32 v3, vcc, v3, v6, vcc
	v_mul_lo_u32 v5, s26, v3
	v_mul_hi_u32 v6, s26, v2
	v_add_u32_e32 v5, v6, v5
	v_mul_lo_u32 v6, s27, v2
	v_add_u32_e32 v5, v5, v6
	v_mul_lo_u32 v7, s26, v2
	v_mul_hi_u32 v8, v3, v7
	v_mul_lo_u32 v9, v3, v7
	v_mul_lo_u32 v11, v2, v5
	v_mul_hi_u32 v7, v2, v7
	v_mul_hi_u32 v10, v2, v5
	v_add_co_u32_e32 v7, vcc, v7, v11
	v_addc_co_u32_e32 v10, vcc, 0, v10, vcc
	v_add_co_u32_e32 v7, vcc, v7, v9
	v_mul_hi_u32 v6, v3, v5
	v_addc_co_u32_e32 v7, vcc, v10, v8, vcc
	v_addc_co_u32_e32 v6, vcc, 0, v6, vcc
	v_mul_lo_u32 v5, v3, v5
	v_add_co_u32_e32 v5, vcc, v7, v5
	v_addc_co_u32_e32 v6, vcc, 0, v6, vcc
	v_add_co_u32_e32 v5, vcc, v2, v5
	v_addc_co_u32_e32 v6, vcc, v3, v6, vcc
	v_ashrrev_i32_e32 v7, 31, v4
	v_add_co_u32_e32 v1, vcc, v1, v7
	v_addc_co_u32_e32 v2, vcc, v4, v7, vcc
	v_xor_b32_e32 v1, v1, v7
	v_xor_b32_e32 v8, v2, v7
	v_mad_u64_u32 v[2:3], s[26:27], v1, v6, 0
	v_mul_hi_u32 v4, v1, v5
	v_add_co_u32_e32 v9, vcc, v4, v2
	v_addc_co_u32_e32 v10, vcc, 0, v3, vcc
	v_mad_u64_u32 v[4:5], s[26:27], v8, v5, 0
	v_add_co_u32_e32 v4, vcc, v9, v4
	v_mad_u64_u32 v[2:3], s[26:27], v8, v6, 0
	v_addc_co_u32_e32 v4, vcc, v10, v5, vcc
	v_addc_co_u32_e32 v3, vcc, 0, v3, vcc
	v_add_co_u32_e32 v4, vcc, v4, v2
	v_addc_co_u32_e32 v5, vcc, 0, v3, vcc
	v_mul_lo_u32 v6, s59, v4
	v_mul_lo_u32 v9, s58, v5
	v_mad_u64_u32 v[2:3], s[26:27], s58, v4, 0
	v_add3_u32 v3, v3, v9, v6
	v_sub_u32_e32 v6, v8, v3
	v_mov_b32_e32 v9, s59
	v_sub_co_u32_e32 v1, vcc, v1, v2
	v_subb_co_u32_e64 v2, s[26:27], v6, v9, vcc
	v_subrev_co_u32_e64 v6, s[26:27], s58, v1
	v_subbrev_co_u32_e64 v2, s[26:27], 0, v2, s[26:27]
	v_cmp_le_u32_e64 s[26:27], s59, v2
	v_cndmask_b32_e64 v9, 0, -1, s[26:27]
	v_cmp_le_u32_e64 s[26:27], s58, v6
	v_cndmask_b32_e64 v6, 0, -1, s[26:27]
	v_cmp_eq_u32_e64 s[26:27], s59, v2
	v_cndmask_b32_e64 v2, v9, v6, s[26:27]
	v_add_co_u32_e64 v6, s[26:27], 2, v4
	v_subb_co_u32_e32 v3, vcc, v8, v3, vcc
	v_addc_co_u32_e64 v9, s[26:27], 0, v5, s[26:27]
	v_cmp_le_u32_e32 vcc, s59, v3
	v_add_co_u32_e64 v10, s[26:27], 1, v4
	v_cndmask_b32_e64 v8, 0, -1, vcc
	v_cmp_le_u32_e32 vcc, s58, v1
	v_addc_co_u32_e64 v11, s[26:27], 0, v5, s[26:27]
	v_cndmask_b32_e64 v1, 0, -1, vcc
	v_cmp_eq_u32_e32 vcc, s59, v3
	v_cmp_ne_u32_e64 s[26:27], 0, v2
	v_cndmask_b32_e32 v1, v8, v1, vcc
	v_cndmask_b32_e64 v2, v11, v9, s[26:27]
	v_cmp_ne_u32_e32 vcc, 0, v1
	v_cndmask_b32_e32 v1, v5, v2, vcc
	v_cndmask_b32_e64 v2, v10, v6, s[26:27]
	v_cndmask_b32_e32 v2, v4, v2, vcc
	v_xor_b32_e32 v4, s34, v7
	v_xor_b32_e32 v3, s35, v7
	v_xor_b32_e32 v2, v2, v4
	v_xor_b32_e32 v1, v1, v3
	v_sub_co_u32_e32 v2, vcc, v2, v4
	v_pk_mov_b32 v[6:7], v[12:13], v[12:13] op_sel:[0,1]
	v_subb_co_u32_e32 v3, vcc, v1, v3, vcc
                                        ; implicit-def: $vgpr1
.LBB6_50:                               ;   in Loop: Header=BB6_47 Depth=1
	s_andn2_saveexec_b64 s[26:27], s[30:31]
	s_cbranch_execz .LBB6_52
; %bb.51:                               ;   in Loop: Header=BB6_47 Depth=1
	v_cvt_f32_u32_e32 v2, s76
	s_sub_i32 vcc_lo, 0, s76
	v_rcp_iflag_f32_e32 v2, v2
	v_mul_f32_e32 v2, 0x4f7ffffe, v2
	v_cvt_u32_f32_e32 v2, v2
	v_mul_lo_u32 v3, vcc_lo, v2
	v_mul_hi_u32 v3, v2, v3
	v_add_u32_e32 v2, v2, v3
	v_mul_hi_u32 v2, v1, v2
	v_mul_lo_u32 v3, v2, s76
	v_sub_u32_e32 v1, v1, v3
	v_add_u32_e32 v4, 1, v2
	v_subrev_u32_e32 v3, s76, v1
	v_cmp_le_u32_e32 vcc, s76, v1
	v_cndmask_b32_e32 v1, v1, v3, vcc
	v_cndmask_b32_e32 v2, v2, v4, vcc
	v_add_u32_e32 v3, 1, v2
	v_cmp_le_u32_e32 vcc, s76, v1
	v_cndmask_b32_e32 v26, v2, v3, vcc
	v_pk_mov_b32 v[2:3], v[26:27], v[26:27] op_sel:[0,1]
.LBB6_52:                               ;   in Loop: Header=BB6_47 Depth=1
	s_or_b64 exec, exec, s[26:27]
	v_add_co_u32_e32 v1, vcc, 15, v2
	v_addc_co_u32_e32 v3, vcc, 0, v3, vcc
	v_and_b32_e32 v2, -16, v1
	v_accvgpr_write_b32 a53, v3
	v_accvgpr_write_b32 a52, v2
.LBB6_53:                               ;   in Loop: Header=BB6_47 Depth=1
	s_or_b64 exec, exec, s[28:29]
	v_accvgpr_read_b32 v8, a52
	v_readlane_b32 s26, v61, 8
	v_accvgpr_read_b32 v9, a53
	v_readlane_b32 s27, v61, 9
	v_mul_lo_u32 v1, v9, s26
	v_mul_lo_u32 v2, v8, s27
	v_mad_u64_u32 v[4:5], s[26:27], v8, s26, 0
	v_add3_u32 v5, v5, v2, v1
	v_accvgpr_read_b32 v2, a4
	v_accvgpr_read_b32 v3, a5
	v_add_co_u32_e32 v0, vcc, v6, v2
	v_accvgpr_write_b32 a49, v0
	v_addc_co_u32_e32 v0, vcc, v7, v3, vcc
	v_accvgpr_write_b32 a56, v0
	v_accvgpr_read_b32 v0, a54
	v_accvgpr_read_b32 v1, a55
	v_sub_co_u32_e32 v2, vcc, v0, v4
	v_subb_co_u32_e32 v3, vcc, v1, v5, vcc
	v_cmp_lt_i64_e32 vcc, v[8:9], v[2:3]
	v_cndmask_b32_e32 v3, v2, v8, vcc
	v_max_i32_e32 v1, 0, v3
	v_add_u32_e32 v2, 31, v1
	v_lshrrev_b32_e32 v2, 1, v2
	v_accvgpr_write_b32 a51, v7
	v_and_b32_e32 v2, 0x3ffffff0, v2
	v_cmp_lt_i32_e32 vcc, 0, v3
	v_accvgpr_write_b32 a50, v6
	v_max_i32_e32 v2, s85, v2
	s_and_b64 s[26:27], s[50:51], vcc
	v_mov_b32_e32 v3, 0
	v_mov_b32_e32 v6, 0
	s_and_saveexec_b64 s[30:31], s[26:27]
	s_cbranch_execz .LBB6_195
; %bb.54:                               ;   in Loop: Header=BB6_47 Depth=1
	s_mov_b32 s47, 1
	s_mov_b64 s[58:59], -1
	s_mov_b64 s[34:35], 0
	v_mov_b32_e32 v6, 0
	s_branch .LBB6_57
.LBB6_55:                               ;   in Loop: Header=BB6_57 Depth=2
	s_or_b64 exec, exec, s[28:29]
	v_accvgpr_read_b32 v8, a12
	v_accvgpr_read_b32 v9, a13
	v_add_co_u32_e32 v8, vcc, 2, v8
	v_addc_co_u32_e32 v9, vcc, 0, v9, vcc
	v_accvgpr_write_b32 a13, v9
	v_accvgpr_read_b32 v10, a18
	v_accvgpr_write_b32 a12, v8
	v_accvgpr_read_b32 v11, a19
	flat_store_dwordx2 v[10:11], v[8:9]
.LBB6_56:                               ;   in Loop: Header=BB6_57 Depth=2
	s_or_b64 exec, exec, s[26:27]
	v_add_u32_e32 v6, v2, v6
	v_cmp_ge_i32_e32 vcc, v6, v1
	s_xor_b64 s[26:27], s[58:59], -1
	s_or_b64 s[26:27], s[26:27], vcc
	s_and_b64 s[26:27], exec, s[26:27]
	s_or_b64 s[34:35], s[26:27], s[34:35]
	s_mov_b64 s[58:59], 0
	v_mov_b32_e32 v3, s47
	s_mov_b32 s47, 2
	s_andn2_b64 exec, exec, s[34:35]
	s_cbranch_execz .LBB6_194
.LBB6_57:                               ;   Parent Loop BB6_47 Depth=1
                                        ; =>  This Loop Header: Depth=2
                                        ;       Child Loop BB6_65 Depth 3
                                        ;       Child Loop BB6_89 Depth 3
	;; [unrolled: 1-line block ×9, first 2 shown]
	s_and_saveexec_b64 s[26:27], s[4:5]
	s_cbranch_execz .LBB6_59
; %bb.58:                               ;   in Loop: Header=BB6_57 Depth=2
	s_trap 2
	ds_read_b64 v[8:9], v0
	v_accvgpr_read_b32 v0, a49
	v_mov_b32_e32 v26, v27
	s_waitcnt lgkmcnt(0)
	v_add_co_u32_e32 v3, vcc, v8, v0
	v_accvgpr_read_b32 v0, a56
	v_addc_co_u32_e32 v7, vcc, v9, v0, vcc
	v_add_co_u32_e32 v3, vcc, v3, v4
	v_addc_co_u32_e32 v7, vcc, v7, v5, vcc
	v_ashrrev_i32_e32 v9, 31, v6
	v_add_co_u32_e32 v8, vcc, v3, v6
	v_addc_co_u32_e32 v9, vcc, v7, v9, vcc
	ds_write_b64 v0, v[8:9]
	ds_write_b64 v0, v[26:27]
.LBB6_59:                               ;   in Loop: Header=BB6_57 Depth=2
	s_or_b64 exec, exec, s[26:27]
	v_and_b32_e32 v3, 8, v60
	v_cmp_ne_u32_e32 vcc, 0, v3
	s_mov_b64 s[28:29], -1
	s_and_saveexec_b64 s[26:27], vcc
	s_cbranch_execz .LBB6_71
; %bb.60:                               ;   in Loop: Header=BB6_57 Depth=2
	v_add_co_u32_e32 v10, vcc, 8, v48
	v_addc_co_u32_e32 v11, vcc, 0, v49, vcc
	v_accvgpr_read_b32 v8, a12
	v_accvgpr_read_b32 v9, a13
	v_add_co_u32_e32 v8, vcc, 2, v8
	v_addc_co_u32_e32 v9, vcc, 0, v9, vcc
	v_cmp_lt_u64_e32 vcc, v[10:11], v[8:9]
	v_mov_b32_e32 v3, 1
	s_and_saveexec_b64 s[28:29], vcc
	s_cbranch_execz .LBB6_70
; %bb.61:                               ;   in Loop: Header=BB6_57 Depth=2
	s_mov_b64 s[60:61], 0
	v_mov_b32_e32 v3, 0
                                        ; implicit-def: $sgpr62_sgpr63
	s_branch .LBB6_65
.LBB6_62:                               ;   in Loop: Header=BB6_65 Depth=3
	s_or_b64 exec, exec, s[70:71]
	v_mov_b32_e32 v7, 0
	s_orn2_b64 s[68:69], s[68:69], exec
.LBB6_63:                               ;   in Loop: Header=BB6_65 Depth=3
	s_or_b64 exec, exec, s[66:67]
	s_andn2_b64 vcc, s[62:63], exec
	s_and_b64 s[62:63], s[68:69], exec
	s_or_b64 s[62:63], vcc, s[62:63]
	v_mov_b32_e32 v3, v7
.LBB6_64:                               ;   in Loop: Header=BB6_65 Depth=3
	s_or_b64 exec, exec, s[64:65]
	s_waitcnt vmcnt(0) lgkmcnt(0)
	v_add_co_u32_e32 v10, vcc, 8, v48
	v_addc_co_u32_e32 v11, vcc, 0, v49, vcc
	v_cmp_ge_u64_e32 vcc, v[10:11], v[8:9]
	s_xor_b64 s[64:65], s[62:63], -1
	s_or_b64 vcc, s[64:65], vcc
	s_and_b64 vcc, exec, vcc
	s_or_b64 s[60:61], vcc, s[60:61]
	s_andn2_b64 exec, exec, s[60:61]
	s_cbranch_execz .LBB6_69
.LBB6_65:                               ;   Parent Loop BB6_47 Depth=1
                                        ;     Parent Loop BB6_57 Depth=2
                                        ; =>    This Inner Loop Header: Depth=3
	v_accvgpr_read_b32 v10, a18
	v_accvgpr_read_b32 v11, a19
	s_sleep 1
	flat_load_dwordx2 v[48:49], v[10:11] glc
	v_and_b32_e32 v7, 64, v60
	v_cmp_eq_u32_e32 vcc, 0, v7
	s_andn2_b64 s[62:63], s[62:63], exec
	s_and_saveexec_b64 s[64:65], vcc
	s_cbranch_execz .LBB6_64
; %bb.66:                               ;   in Loop: Header=BB6_65 Depth=3
	v_add_u32_e32 v7, 1, v3
	v_cmp_lt_i32_e32 vcc, s89, v3
	s_mov_b64 s[68:69], -1
	s_and_saveexec_b64 s[66:67], vcc
	s_cbranch_execz .LBB6_63
; %bb.67:                               ;   in Loop: Header=BB6_65 Depth=3
	s_trap 2
	ds_read_b64 v[10:11], v0
	s_waitcnt vmcnt(0) lgkmcnt(0)
	flat_load_dword v3, v[10:11] glc
	s_waitcnt vmcnt(0) lgkmcnt(0)
	buffer_invl2
	buffer_wbinvl1_vol
	v_cmp_ne_u32_e32 vcc, 0, v3
	s_and_saveexec_b64 s[70:71], vcc
	s_cbranch_execz .LBB6_62
; %bb.68:                               ;   in Loop: Header=BB6_65 Depth=3
	v_or_b32_e32 v60, 64, v60
	s_xor_b64 s[68:69], exec, -1
	ds_write_b32 v0, v3
	s_trap 2
	s_branch .LBB6_62
.LBB6_69:                               ;   in Loop: Header=BB6_57 Depth=2
	s_or_b64 exec, exec, s[60:61]
	v_and_b32_e32 v3, 8, v60
.LBB6_70:                               ;   in Loop: Header=BB6_57 Depth=2
	s_or_b64 exec, exec, s[28:29]
	v_cmp_eq_u32_e32 vcc, 0, v3
	s_orn2_b64 s[28:29], vcc, exec
	;;#ASMSTART
	s_wakeup
	;;#ASMEND
.LBB6_71:                               ;   in Loop: Header=BB6_57 Depth=2
	s_or_b64 exec, exec, s[26:27]
	v_sub_u32_e32 v3, v1, v6
	s_xor_b64 s[26:27], s[28:29], -1
	v_min_i32_e32 v2, v2, v3
	s_and_saveexec_b64 s[28:29], s[26:27]
	s_cbranch_execz .LBB6_81
; %bb.72:                               ;   in Loop: Header=BB6_57 Depth=2
	v_and_b32_e32 v3, 0x100, v60
	v_accvgpr_read_b32 v8, a12
	v_cmp_ne_u32_e32 vcc, 0, v3
	v_accvgpr_read_b32 v9, a13
	v_and_b32_e32 v7, 7, v8
	s_mov_b64 s[26:27], -1
                                        ; implicit-def: $vgpr8_vgpr9
	s_and_saveexec_b64 s[60:61], vcc
	s_cbranch_execz .LBB6_76
; %bb.73:                               ;   in Loop: Header=BB6_57 Depth=2
	v_accvgpr_read_b32 v8, a14
	v_accvgpr_read_b32 v9, a15
	v_mad_u64_u32 v[10:11], s[26:27], v7, 24, v[8:9]
	flat_load_dword v8, v[10:11]
	v_ashrrev_i32_e32 v3, 31, v2
	flat_store_dwordx2 v[10:11], v[2:3] offset:8
	s_waitcnt vmcnt(0) lgkmcnt(0)
	v_cmp_ne_u32_e32 vcc, 1, v8
	v_cmp_eq_u32_e64 s[26:27], 1, v8
                                        ; implicit-def: $vgpr8_vgpr9
	s_and_saveexec_b64 s[62:63], s[26:27]
	s_cbranch_execz .LBB6_75
; %bb.74:                               ;   in Loop: Header=BB6_57 Depth=2
	flat_load_dword v8, v[10:11] offset:4 glc
	s_waitcnt vmcnt(0) lgkmcnt(0)
	v_ashrrev_i32_e32 v9, 31, v8
.LBB6_75:                               ;   in Loop: Header=BB6_57 Depth=2
	s_or_b64 exec, exec, s[62:63]
	s_orn2_b64 s[26:27], vcc, exec
.LBB6_76:                               ;   in Loop: Header=BB6_57 Depth=2
	s_or_b64 exec, exec, s[60:61]
	s_and_saveexec_b64 vcc, s[26:27]
; %bb.77:                               ;   in Loop: Header=BB6_57 Depth=2
	v_accvgpr_read_b32 v8, a20
	v_mad_i64_i32 v[8:9], s[26:27], v7, v8, 0
; %bb.78:                               ;   in Loop: Header=BB6_57 Depth=2
	s_or_b64 exec, exec, vcc
	v_accvgpr_read_b32 v10, a22
	v_accvgpr_read_b32 v11, a23
	v_add_co_u32_e32 v8, vcc, v10, v8
	v_addc_co_u32_e32 v9, vcc, v11, v9, vcc
	v_and_b32_e32 v3, 0x2000, v60
	v_cmp_ne_u32_e32 vcc, 0, v3
	ds_write_b64 v0, v[8:9] offset:784
	s_and_saveexec_b64 s[26:27], vcc
	s_cbranch_execz .LBB6_80
; %bb.79:                               ;   in Loop: Header=BB6_57 Depth=2
	ds_read_b64 v[8:9], v0 offset:584
	s_waitcnt lgkmcnt(0)
	v_add_co_u32_e32 v8, vcc, 1, v8
	v_addc_co_u32_e32 v9, vcc, 0, v9, vcc
	ds_write_b64 v0, v[8:9] offset:584
.LBB6_80:                               ;   in Loop: Header=BB6_57 Depth=2
	s_or_b64 exec, exec, s[26:27]
	v_accvgpr_read_b32 v8, a12
	v_accvgpr_read_b32 v9, a13
	v_add_co_u32_e32 v8, vcc, 2, v8
	v_addc_co_u32_e32 v9, vcc, 0, v9, vcc
	v_accvgpr_write_b32 a13, v9
	v_accvgpr_write_b32 a12, v8
.LBB6_81:                               ;   in Loop: Header=BB6_57 Depth=2
	s_or_b64 exec, exec, s[28:29]
	s_and_saveexec_b64 s[26:27], s[10:11]
	s_cbranch_execz .LBB6_100
; %bb.82:                               ;   in Loop: Header=BB6_57 Depth=2
	s_and_saveexec_b64 s[28:29], s[44:45]
	s_xor_b64 s[28:29], exec, s[28:29]
	s_cbranch_execz .LBB6_97
; %bb.83:                               ;   in Loop: Header=BB6_57 Depth=2
	s_and_saveexec_b64 s[60:61], s[16:17]
	s_cbranch_execz .LBB6_96
; %bb.84:                               ;   in Loop: Header=BB6_57 Depth=2
	s_mov_b64 s[64:65], exec
	v_mbcnt_lo_u32_b32 v3, s64, 0
	v_mbcnt_hi_u32_b32 v3, s65, v3
	v_cmp_eq_u32_e32 vcc, 0, v3
	s_waitcnt vmcnt(0) lgkmcnt(0)
	buffer_wbinvl1_vol
	s_and_saveexec_b64 s[62:63], vcc
	s_cbranch_execz .LBB6_86
; %bb.85:                               ;   in Loop: Header=BB6_57 Depth=2
	s_bcnt1_i32_b64 vcc_lo, s[64:65]
	v_mov_b32_e32 v26, vcc_lo
	ds_add_u64 v0, v[26:27]
	s_trap 2
.LBB6_86:                               ;   in Loop: Header=BB6_57 Depth=2
	s_or_b64 exec, exec, s[62:63]
	s_trap 2
	ds_read_b64 v[8:9], v0
	v_accvgpr_read_b32 v10, a16
	v_accvgpr_read_b32 v0, a26
	;; [unrolled: 1-line block ×3, first 2 shown]
	v_add_co_u32_e32 v10, vcc, v10, v0
	v_addc_co_u32_e32 v11, vcc, 0, v11, vcc
	v_accvgpr_write_b32 a17, v11
	v_accvgpr_write_b32 a16, v10
	s_waitcnt lgkmcnt(0)
	v_cmp_lt_u64_e32 vcc, v[8:9], v[10:11]
	s_and_saveexec_b64 s[62:63], vcc
	s_cbranch_execz .LBB6_95
; %bb.87:                               ;   in Loop: Header=BB6_57 Depth=2
	s_mov_b32 s74, 0
	s_mov_b64 s[64:65], 0
                                        ; implicit-def: $sgpr66_sgpr67
                                        ; implicit-def: $sgpr68_sgpr69
	s_branch .LBB6_89
.LBB6_88:                               ;   in Loop: Header=BB6_89 Depth=3
	s_or_b64 exec, exec, s[72:73]
	s_and_b64 vcc, exec, vcc
	s_or_b64 s[64:65], vcc, s[64:65]
	s_andn2_b64 vcc, s[66:67], exec
	s_and_b64 s[66:67], s[68:69], exec
	s_or_b64 s[66:67], vcc, s[66:67]
	s_andn2_b64 exec, exec, s[64:65]
	s_cbranch_execz .LBB6_93
.LBB6_89:                               ;   Parent Loop BB6_47 Depth=1
                                        ;     Parent Loop BB6_57 Depth=2
                                        ; =>    This Inner Loop Header: Depth=3
	s_add_i32 s74, s74, 1
	s_cmpk_lg_i32 s74, 0x2710
	s_cselect_b64 s[70:71], -1, 0
	s_and_b64 vcc, exec, s[70:71]
                                        ; implicit-def: $sgpr72_sgpr73
	s_cbranch_vccnz .LBB6_91
; %bb.90:                               ;   in Loop: Header=BB6_89 Depth=3
	s_trap 2
	ds_read_b64 v[8:9], v0
	s_andn2_b64 s[70:71], s[70:71], exec
	s_mov_b32 s74, 0
	s_mov_b64 s[72:73], -1
	s_waitcnt lgkmcnt(0)
	flat_load_dword v3, v[8:9] glc
	s_waitcnt vmcnt(0) lgkmcnt(0)
	buffer_invl2
	buffer_wbinvl1_vol
	v_cmp_eq_u32_e32 vcc, 0, v3
	s_and_b64 vcc, vcc, exec
	s_or_b64 s[70:71], s[70:71], vcc
.LBB6_91:                               ;   in Loop: Header=BB6_89 Depth=3
	s_andn2_b64 s[68:69], s[68:69], exec
	s_and_b64 s[72:73], s[72:73], exec
	s_mov_b64 vcc, -1
	s_or_b64 s[68:69], s[68:69], s[72:73]
	s_and_saveexec_b64 s[72:73], s[70:71]
	s_cbranch_execz .LBB6_88
; %bb.92:                               ;   in Loop: Header=BB6_89 Depth=3
	s_sleep 1
	s_trap 2
	ds_read_b64 v[8:9], v0
	v_accvgpr_read_b32 v10, a16
	v_accvgpr_read_b32 v11, a17
	s_andn2_b64 s[68:69], s[68:69], exec
	s_waitcnt lgkmcnt(0)
	v_cmp_ge_u64_e32 vcc, v[8:9], v[10:11]
	s_orn2_b64 vcc, vcc, exec
	s_branch .LBB6_88
.LBB6_93:                               ;   in Loop: Header=BB6_57 Depth=2
	s_or_b64 exec, exec, s[64:65]
	s_and_saveexec_b64 vcc, s[66:67]
	s_xor_b64 vcc, exec, vcc
	s_cbranch_execz .LBB6_95
; %bb.94:                               ;   in Loop: Header=BB6_57 Depth=2
	v_mov_b32_e32 v0, 1
	ds_write_b32 v0, v0
	s_trap 2
.LBB6_95:                               ;   in Loop: Header=BB6_57 Depth=2
	s_or_b64 exec, exec, s[62:63]
	;;#ASMSTART
	s_wakeup
	;;#ASMEND
.LBB6_96:                               ;   in Loop: Header=BB6_57 Depth=2
	s_or_b64 exec, exec, s[60:61]
.LBB6_97:                               ;   in Loop: Header=BB6_57 Depth=2
	s_andn2_saveexec_b64 s[28:29], s[28:29]
	s_cbranch_execz .LBB6_99
; %bb.98:                               ;   in Loop: Header=BB6_57 Depth=2
	s_waitcnt vmcnt(0) lgkmcnt(0)
	buffer_wbinvl1_vol
	s_barrier
.LBB6_99:                               ;   in Loop: Header=BB6_57 Depth=2
	s_or_b64 exec, exec, s[28:29]
.LBB6_100:                              ;   in Loop: Header=BB6_57 Depth=2
	s_or_b64 exec, exec, s[26:27]
	s_trap 2
	ds_read_b32 v3, v0
	v_and_b32_e32 v7, 0x4000, v60
	v_cmp_ne_u32_e32 vcc, 0, v7
	s_xor_b64 s[26:27], s[6:7], -1
	s_and_b64 s[28:29], s[26:27], vcc
	s_and_saveexec_b64 s[26:27], s[28:29]
	s_cbranch_execz .LBB6_119
; %bb.101:                              ;   in Loop: Header=BB6_57 Depth=2
	s_and_saveexec_b64 s[28:29], s[44:45]
	s_xor_b64 s[28:29], exec, s[28:29]
	s_cbranch_execz .LBB6_116
; %bb.102:                              ;   in Loop: Header=BB6_57 Depth=2
	s_and_saveexec_b64 s[60:61], s[16:17]
	s_cbranch_execz .LBB6_115
; %bb.103:                              ;   in Loop: Header=BB6_57 Depth=2
	s_mov_b64 s[64:65], exec
	v_mbcnt_lo_u32_b32 v7, s64, 0
	v_mbcnt_hi_u32_b32 v7, s65, v7
	v_cmp_eq_u32_e32 vcc, 0, v7
	s_waitcnt vmcnt(0) lgkmcnt(0)
	buffer_wbinvl1_vol
	s_and_saveexec_b64 s[62:63], vcc
	s_cbranch_execz .LBB6_105
; %bb.104:                              ;   in Loop: Header=BB6_57 Depth=2
	s_bcnt1_i32_b64 vcc_lo, s[64:65]
	v_mov_b32_e32 v26, vcc_lo
	ds_add_u64 v0, v[26:27]
	s_trap 2
.LBB6_105:                              ;   in Loop: Header=BB6_57 Depth=2
	s_or_b64 exec, exec, s[62:63]
	s_trap 2
	ds_read_b64 v[8:9], v0
	v_accvgpr_read_b32 v10, a16
	v_accvgpr_read_b32 v0, a26
	;; [unrolled: 1-line block ×3, first 2 shown]
	v_add_co_u32_e32 v10, vcc, v10, v0
	v_addc_co_u32_e32 v11, vcc, 0, v11, vcc
	v_accvgpr_write_b32 a17, v11
	v_accvgpr_write_b32 a16, v10
	s_waitcnt lgkmcnt(0)
	v_cmp_lt_u64_e32 vcc, v[8:9], v[10:11]
	s_and_saveexec_b64 s[62:63], vcc
	s_cbranch_execz .LBB6_114
; %bb.106:                              ;   in Loop: Header=BB6_57 Depth=2
	s_mov_b32 s74, 0
	s_mov_b64 s[64:65], 0
                                        ; implicit-def: $sgpr66_sgpr67
                                        ; implicit-def: $sgpr68_sgpr69
	s_branch .LBB6_108
.LBB6_107:                              ;   in Loop: Header=BB6_108 Depth=3
	s_or_b64 exec, exec, s[72:73]
	s_and_b64 vcc, exec, vcc
	s_or_b64 s[64:65], vcc, s[64:65]
	s_andn2_b64 vcc, s[66:67], exec
	s_and_b64 s[66:67], s[68:69], exec
	s_or_b64 s[66:67], vcc, s[66:67]
	s_andn2_b64 exec, exec, s[64:65]
	s_cbranch_execz .LBB6_112
.LBB6_108:                              ;   Parent Loop BB6_47 Depth=1
                                        ;     Parent Loop BB6_57 Depth=2
                                        ; =>    This Inner Loop Header: Depth=3
	s_add_i32 s74, s74, 1
	s_cmpk_lg_i32 s74, 0x2710
	s_cselect_b64 s[70:71], -1, 0
	s_and_b64 vcc, exec, s[70:71]
                                        ; implicit-def: $sgpr72_sgpr73
	s_cbranch_vccnz .LBB6_110
; %bb.109:                              ;   in Loop: Header=BB6_108 Depth=3
	s_trap 2
	ds_read_b64 v[8:9], v0
	s_andn2_b64 s[70:71], s[70:71], exec
	s_mov_b32 s74, 0
	s_mov_b64 s[72:73], -1
	s_waitcnt lgkmcnt(0)
	flat_load_dword v7, v[8:9] glc
	s_waitcnt vmcnt(0) lgkmcnt(0)
	buffer_invl2
	buffer_wbinvl1_vol
	v_cmp_eq_u32_e32 vcc, 0, v7
	s_and_b64 vcc, vcc, exec
	s_or_b64 s[70:71], s[70:71], vcc
.LBB6_110:                              ;   in Loop: Header=BB6_108 Depth=3
	s_andn2_b64 s[68:69], s[68:69], exec
	s_and_b64 s[72:73], s[72:73], exec
	s_mov_b64 vcc, -1
	s_or_b64 s[68:69], s[68:69], s[72:73]
	s_and_saveexec_b64 s[72:73], s[70:71]
	s_cbranch_execz .LBB6_107
; %bb.111:                              ;   in Loop: Header=BB6_108 Depth=3
	s_sleep 1
	s_trap 2
	ds_read_b64 v[8:9], v0
	v_accvgpr_read_b32 v10, a16
	v_accvgpr_read_b32 v11, a17
	s_andn2_b64 s[68:69], s[68:69], exec
	s_waitcnt lgkmcnt(0)
	v_cmp_ge_u64_e32 vcc, v[8:9], v[10:11]
	s_orn2_b64 vcc, vcc, exec
	s_branch .LBB6_107
.LBB6_112:                              ;   in Loop: Header=BB6_57 Depth=2
	s_or_b64 exec, exec, s[64:65]
	s_and_saveexec_b64 vcc, s[66:67]
	s_xor_b64 vcc, exec, vcc
	s_cbranch_execz .LBB6_114
; %bb.113:                              ;   in Loop: Header=BB6_57 Depth=2
	v_mov_b32_e32 v0, 1
	ds_write_b32 v0, v0
	s_trap 2
.LBB6_114:                              ;   in Loop: Header=BB6_57 Depth=2
	s_or_b64 exec, exec, s[62:63]
	;;#ASMSTART
	s_wakeup
	;;#ASMEND
.LBB6_115:                              ;   in Loop: Header=BB6_57 Depth=2
	s_or_b64 exec, exec, s[60:61]
.LBB6_116:                              ;   in Loop: Header=BB6_57 Depth=2
	s_andn2_saveexec_b64 s[28:29], s[28:29]
	s_cbranch_execz .LBB6_118
; %bb.117:                              ;   in Loop: Header=BB6_57 Depth=2
	s_waitcnt vmcnt(0) lgkmcnt(0)
	buffer_wbinvl1_vol
	s_barrier
.LBB6_118:                              ;   in Loop: Header=BB6_57 Depth=2
	s_or_b64 exec, exec, s[28:29]
.LBB6_119:                              ;   in Loop: Header=BB6_57 Depth=2
	s_or_b64 exec, exec, s[26:27]
	s_trap 2
	ds_read_b64 v[8:9], v0
	v_mov_b32_e32 v7, 0
	s_waitcnt lgkmcnt(0)
	v_readfirstlane_b32 s26, v8
	v_readfirstlane_b32 s27, v9
	s_cmp_eq_u64 s[26:27], 0
	s_cselect_b64 s[26:27], -1, 0
	s_or_b64 s[26:27], s[26:27], s[26:27]
	s_and_b64 vcc, exec, s[26:27]
	s_cbranch_vccnz .LBB6_140
; %bb.120:                              ;   in Loop: Header=BB6_57 Depth=2
	s_mov_b64 s[28:29], -1
	s_and_saveexec_b64 s[26:27], s[18:19]
	s_cbranch_execz .LBB6_122
; %bb.121:                              ;   in Loop: Header=BB6_57 Depth=2
	ds_read_b32 v7, v0 offset:720
	s_waitcnt lgkmcnt(0)
	v_and_b32_e32 v7, 15, v7
	v_cmp_eq_u32_e32 vcc, 0, v7
	s_orn2_b64 s[28:29], vcc, exec
.LBB6_122:                              ;   in Loop: Header=BB6_57 Depth=2
	s_or_b64 exec, exec, s[26:27]
	s_and_saveexec_b64 s[26:27], s[20:21]
	s_cbranch_execz .LBB6_124
; %bb.123:                              ;   in Loop: Header=BB6_57 Depth=2
	ds_read_b32 v7, v0 offset:784
	s_waitcnt lgkmcnt(0)
	v_and_b32_e32 v7, 15, v7
	v_cmp_eq_u32_e32 vcc, 0, v7
	s_and_b64 vcc, s[28:29], vcc
	s_andn2_b64 s[28:29], s[28:29], exec
	s_and_b64 vcc, vcc, exec
	s_or_b64 s[28:29], s[28:29], vcc
.LBB6_124:                              ;   in Loop: Header=BB6_57 Depth=2
	s_or_b64 exec, exec, s[26:27]
	s_xor_b64 s[28:29], s[28:29], -1
	v_cmp_eq_u32_e32 vcc, 0, v3
	v_cndmask_b32_e64 v3, 0, 1, s[28:29]
	v_cndmask_b32_e32 v7, 0, v2, vcc
	;;#ASMSTART
	;;#ASMEND
	v_mov_b32_e32 v11, 0
	s_mov_b64 s[26:27], -1
	v_cmp_ne_u32_e32 vcc, 0, v3
	v_mov_b32_e32 v16, v7
	v_mov_b32_e32 v17, v57
	v_accvgpr_read_b32 v3, a33
	s_cbranch_vccz .LBB6_141
; %bb.125:                              ;   in Loop: Header=BB6_57 Depth=2
	s_and_saveexec_b64 s[60:61], s[26:27]
	s_cbranch_execz .LBB6_154
.LBB6_126:                              ;   in Loop: Header=BB6_57 Depth=2
	v_ashrrev_i32_e32 v8, 31, v16
	v_lshrrev_b32_e32 v8, 21, v8
	v_add_u32_e32 v8, v16, v8
	v_ashrrev_i32_e32 v20, 11, v8
	v_sub_u32_e32 v18, v20, v3
	v_ashrrev_i32_e32 v8, 31, v17
	v_cmp_lt_i32_e32 vcc, 0, v18
	v_lshrrev_b32_e32 v19, 26, v8
	s_and_saveexec_b64 s[62:63], vcc
	s_cbranch_execz .LBB6_130
; %bb.127:                              ;   in Loop: Header=BB6_57 Depth=2
	s_trap 2
	ds_read_b64 v[8:9], v0
	v_add_u32_e32 v10, v17, v19
	v_and_b32_e32 v10, 0xffffffc0, v10
	v_sub_u32_e32 v10, v17, v10
	v_lshlrev_b32_e32 v3, 11, v3
	v_add3_u32 v10, v11, v10, v3
	v_ashrrev_i32_e32 v3, 31, v10
	s_mov_b64 s[64:65], 0
	s_waitcnt lgkmcnt(0)
	v_pk_mov_b32 v[12:13], v[8:9], v[8:9] op_sel:[0,1]
	v_accvgpr_read_b32 v0, a26
	v_accvgpr_read_b32 v58, a38
	;; [unrolled: 1-line block ×3, first 2 shown]
.LBB6_128:                              ;   Parent Loop BB6_47 Depth=1
                                        ;     Parent Loop BB6_57 Depth=2
                                        ; =>    This Inner Loop Header: Depth=3
	v_add_co_u32_e32 v14, vcc, v10, v12
	v_addc_co_u32_e32 v15, vcc, v3, v13, vcc
	flat_load_ubyte v21, v[14:15] glc slc
	flat_load_ubyte v22, v[14:15] offset:64 glc slc
	flat_load_ubyte v23, v[14:15] offset:128 glc slc
	;; [unrolled: 1-line block ×31, first 2 shown]
	v_add_co_u32_e32 v14, vcc, v10, v8
	v_add_co_u32_e64 v12, s[26:27], v12, v58
	v_add_co_u32_e64 v8, s[28:29], v8, v58
	v_sub_u32_e32 v18, v18, v0
	v_addc_co_u32_e32 v15, vcc, v3, v9, vcc
	v_addc_co_u32_e64 v13, vcc, v13, v59, s[26:27]
	v_addc_co_u32_e64 v9, vcc, v9, v59, s[28:29]
	v_cmp_gt_i32_e32 vcc, 1, v18
	s_or_b64 s[64:65], vcc, s[64:65]
	s_waitcnt vmcnt(0) lgkmcnt(0)
	flat_store_byte v[14:15], v21 glc slc
	flat_store_byte v[14:15], v22 offset:64 glc slc
	flat_store_byte v[14:15], v23 offset:128 glc slc
	;; [unrolled: 1-line block ×31, first 2 shown]
	s_andn2_b64 exec, exec, s[64:65]
	s_cbranch_execnz .LBB6_128
; %bb.129:                              ;   in Loop: Header=BB6_57 Depth=2
	s_or_b64 exec, exec, s[64:65]
	v_accvgpr_read_b32 v55, a43
	v_accvgpr_read_b32 v41, a44
.LBB6_130:                              ;   in Loop: Header=BB6_57 Depth=2
	s_or_b64 exec, exec, s[62:63]
	v_lshlrev_b32_e32 v3, 11, v20
	v_cmp_ne_u32_e32 vcc, v16, v3
	s_mov_b64 s[26:27], exec
	s_and_b64 s[28:29], s[26:27], vcc
	v_accvgpr_read_b32 v0, a27
	v_accvgpr_read_b32 v13, a40
	;; [unrolled: 1-line block ×3, first 2 shown]
	s_mov_b64 exec, s[28:29]
	s_cbranch_execz .LBB6_134
; %bb.131:                              ;   in Loop: Header=BB6_57 Depth=2
	v_add_u32_e32 v8, v17, v19
	v_and_b32_e32 v8, 0xffffffc0, v8
	v_sub_u32_e32 v8, v17, v8
	v_lshlrev_b32_e32 v9, 6, v18
	v_sub_u32_e32 v8, v8, v9
	v_add_u32_e32 v3, v3, v8
	v_sub_u32_e32 v12, v16, v3
	v_cmp_lt_i32_e32 vcc, 0, v12
	s_and_b64 exec, exec, vcc
	s_cbranch_execz .LBB6_134
; %bb.132:                              ;   in Loop: Header=BB6_57 Depth=2
	s_trap 2
	ds_read_b64 v[8:9], v0
	v_add_u32_e32 v10, v3, v11
	v_ashrrev_i32_e32 v3, 31, v10
	s_mov_b64 s[28:29], 0
.LBB6_133:                              ;   Parent Loop BB6_47 Depth=1
                                        ;     Parent Loop BB6_57 Depth=2
                                        ; =>    This Inner Loop Header: Depth=3
	s_waitcnt lgkmcnt(0)
	v_add_co_u32_e32 v14, vcc, v8, v10
	v_addc_co_u32_e32 v15, vcc, v9, v3, vcc
	flat_load_ubyte v11, v[14:15] glc slc
	v_add_co_u32_e32 v10, vcc, v10, v13
	v_sub_u32_e32 v12, v12, v0
	v_addc_co_u32_e32 v3, vcc, v3, v20, vcc
	v_cmp_gt_i32_e32 vcc, 1, v12
	s_or_b64 s[28:29], vcc, s[28:29]
	s_waitcnt vmcnt(0) lgkmcnt(0)
	flat_store_byte v[14:15], v11 glc slc
	s_andn2_b64 exec, exec, s[28:29]
	s_cbranch_execnz .LBB6_133
.LBB6_134:                              ;   in Loop: Header=BB6_57 Depth=2
	s_or_b64 exec, exec, s[26:27]
	s_or_b64 exec, exec, s[60:61]
	s_and_saveexec_b64 s[26:27], s[10:11]
	s_cbranch_execnz .LBB6_155
.LBB6_135:                              ;   in Loop: Header=BB6_57 Depth=2
	s_or_b64 exec, exec, s[26:27]
                                        ; implicit-def: $vgpr3
	s_and_saveexec_b64 s[26:27], s[24:25]
	s_xor_b64 s[28:29], exec, s[26:27]
	s_cbranch_execz .LBB6_173
.LBB6_136:                              ;   in Loop: Header=BB6_57 Depth=2
	v_cmp_lt_i32_e32 vcc, 0, v7
	v_and_b32_e32 v7, 16, v60
	v_cmp_ne_u32_e64 s[26:27], 0, v7
	v_and_b32_e32 v3, 16, v60
	s_and_b64 vcc, s[26:27], vcc
	s_and_saveexec_b64 s[26:27], vcc
	s_cbranch_execz .LBB6_138
; %bb.137:                              ;   in Loop: Header=BB6_57 Depth=2
	v_mov_b32_e32 v3, 1
	s_waitcnt vmcnt(0) lgkmcnt(0)
	buffer_wbinvl1_vol
.LBB6_138:                              ;   in Loop: Header=BB6_57 Depth=2
	s_or_b64 exec, exec, s[26:27]
	s_andn2_saveexec_b64 s[26:27], s[28:29]
	s_cbranch_execnz .LBB6_174
.LBB6_139:                              ;   in Loop: Header=BB6_57 Depth=2
	s_or_b64 exec, exec, s[26:27]
	v_cmp_ne_u32_e32 vcc, 0, v3
	s_and_saveexec_b64 s[26:27], vcc
	s_cbranch_execz .LBB6_56
	s_branch .LBB6_192
.LBB6_140:                              ;   in Loop: Header=BB6_57 Depth=2
	s_and_saveexec_b64 s[26:27], s[10:11]
	s_cbranch_execnz .LBB6_155
	s_branch .LBB6_135
.LBB6_141:                              ;   in Loop: Header=BB6_57 Depth=2
	v_ashrrev_i32_e32 v3, 31, v7
	v_lshrrev_b32_e32 v3, 20, v3
	v_add_u32_e32 v3, v7, v3
	v_ashrrev_i32_e32 v3, 12, v3
	v_accvgpr_read_b32 v0, a33
	v_sub_u32_e32 v13, v3, v0
	v_cmp_lt_i32_e32 vcc, 0, v13
	s_and_saveexec_b64 s[26:27], vcc
	s_cbranch_execz .LBB6_145
; %bb.142:                              ;   in Loop: Header=BB6_57 Depth=2
	s_trap 2
	ds_read_b64 v[8:9], v0
	s_mov_b64 s[28:29], 0
	v_accvgpr_read_b32 v0, a26
	v_accvgpr_read_b32 v12, a35
	;; [unrolled: 1-line block ×3, first 2 shown]
	s_waitcnt lgkmcnt(0)
	v_pk_mov_b32 v[10:11], v[8:9], v[8:9] op_sel:[0,1]
	v_accvgpr_read_b32 v30, a46
	v_accvgpr_read_b32 v33, a45
.LBB6_143:                              ;   Parent Loop BB6_47 Depth=1
                                        ;     Parent Loop BB6_57 Depth=2
                                        ; =>    This Inner Loop Header: Depth=3
	v_add_co_u32_e32 v28, vcc, v30, v10
	v_addc_co_u32_e32 v29, vcc, v33, v11, vcc
	global_load_dwordx4 v[14:17], v[28:29], off glc slc
	global_load_dwordx4 v[18:21], v[28:29], off offset:1024 glc slc
	global_load_dwordx4 v[22:25], v[28:29], off offset:2048 glc slc
	;; [unrolled: 1-line block ×3, first 2 shown]
	v_add_co_u32_e32 v28, vcc, v30, v8
	v_addc_co_u32_e32 v29, vcc, v33, v9, vcc
	v_add_co_u32_e32 v10, vcc, v10, v12
	v_addc_co_u32_e32 v11, vcc, v11, v26, vcc
	v_add_co_u32_e32 v8, vcc, v8, v12
	v_sub_u32_e32 v13, v13, v0
	v_addc_co_u32_e32 v9, vcc, v9, v26, vcc
	v_cmp_gt_i32_e32 vcc, 1, v13
	s_or_b64 s[28:29], vcc, s[28:29]
	s_waitcnt vmcnt(0)
	global_store_dwordx4 v[28:29], v[14:17], off glc slc
	s_waitcnt vmcnt(3)
	global_store_dwordx4 v[28:29], v[18:21], off offset:1024 glc slc
	s_waitcnt vmcnt(3)
	global_store_dwordx4 v[28:29], v[22:25], off offset:2048 glc slc
	;; [unrolled: 2-line block ×3, first 2 shown]
	s_andn2_b64 exec, exec, s[28:29]
	s_cbranch_execnz .LBB6_143
; %bb.144:                              ;   in Loop: Header=BB6_57 Depth=2
	s_or_b64 exec, exec, s[28:29]
.LBB6_145:                              ;   in Loop: Header=BB6_57 Depth=2
	s_or_b64 exec, exec, s[26:27]
	v_lshlrev_b32_e32 v12, 12, v3
	v_cmp_ne_u32_e32 vcc, v7, v12
	s_mov_b64 s[26:27], 0
	v_mov_b32_e32 v11, 0
                                        ; implicit-def: $vgpr16
                                        ; implicit-def: $vgpr17
                                        ; implicit-def: $vgpr3
	s_and_saveexec_b64 s[28:29], vcc
	s_cbranch_execz .LBB6_153
; %bb.146:                              ;   in Loop: Header=BB6_57 Depth=2
	v_lshlrev_b32_e32 v3, 6, v13
	v_accvgpr_read_b32 v0, a42
	v_sub_u32_e32 v3, v0, v3
	v_ashrrev_i32_e32 v9, 31, v3
	v_lshrrev_b32_e32 v9, 26, v9
	v_add_u32_e32 v9, v3, v9
	v_sub_u32_e32 v8, v7, v12
	v_ashrrev_i32_e32 v10, 6, v9
	v_and_b32_e32 v9, 0xffffffc0, v9
	v_sub_u32_e32 v13, v3, v9
	v_ashrrev_i32_e32 v9, 31, v8
	v_lshrrev_b32_e32 v9, 22, v9
	v_add_u32_e32 v9, v8, v9
	v_and_b32_e32 v14, 0xfffffc00, v9
	v_lshlrev_b32_e32 v3, 4, v13
	v_sub_u32_e32 v18, v8, v14
	v_lshl_add_u32 v3, v10, 10, v3
	v_ashrrev_i32_e32 v15, 10, v9
	v_cmp_lt_i32_e32 vcc, 15, v18
	v_sub_u32_e32 v11, v8, v3
	v_addc_co_u32_e64 v8, s[26:27], 0, v15, vcc
	v_sub_u32_e32 v15, v8, v10
	v_cmp_lt_i32_e64 s[26:27], 15, v11
	s_and_saveexec_b64 s[60:61], s[26:27]
	s_cbranch_execz .LBB6_150
; %bb.147:                              ;   in Loop: Header=BB6_57 Depth=2
	s_trap 2
	ds_read_b64 v[8:9], v0
	v_add_u32_e32 v10, v3, v12
	v_ashrrev_i32_e32 v3, 31, v10
	s_mov_b64 s[62:63], 0
	v_accvgpr_read_b32 v0, a26
	v_accvgpr_read_b32 v19, a30
.LBB6_148:                              ;   Parent Loop BB6_47 Depth=1
                                        ;     Parent Loop BB6_57 Depth=2
                                        ; =>    This Inner Loop Header: Depth=3
	s_waitcnt lgkmcnt(0)
	v_add_co_u32_e64 v16, s[26:27], v8, v10
	v_addc_co_u32_e64 v17, s[26:27], v9, v3, s[26:27]
	global_load_dwordx4 v[20:23], v[16:17], off glc slc
	v_add_co_u32_e64 v10, s[26:27], v10, v55
	v_sub_u32_e32 v11, v11, v19
	v_addc_co_u32_e64 v3, s[26:27], v3, v41, s[26:27]
	v_cmp_gt_i32_e64 s[26:27], 16, v11
	v_sub_u32_e32 v15, v15, v0
	s_or_b64 s[62:63], s[26:27], s[62:63]
	s_waitcnt vmcnt(0)
	global_store_dwordx4 v[16:17], v[20:23], off glc slc
	s_andn2_b64 exec, exec, s[62:63]
	s_cbranch_execnz .LBB6_148
; %bb.149:                              ;   in Loop: Header=BB6_57 Depth=2
	s_or_b64 exec, exec, s[62:63]
.LBB6_150:                              ;   in Loop: Header=BB6_57 Depth=2
	s_or_b64 exec, exec, s[60:61]
	v_and_b32_e32 v8, 15, v7
	v_cndmask_b32_e32 v16, v18, v8, vcc
	v_cmp_ne_u32_e64 s[26:27], 0, v16
	s_mov_b64 s[60:61], 0
	v_mov_b32_e32 v11, 0
                                        ; implicit-def: $vgpr17
                                        ; implicit-def: $vgpr3
	s_and_saveexec_b64 s[62:63], s[26:27]
	s_cbranch_execz .LBB6_152
; %bb.151:                              ;   in Loop: Header=BB6_57 Depth=2
	v_sub_u32_e32 v3, v18, v8
	v_cndmask_b32_e32 v3, 0, v3, vcc
	v_cmp_lt_i32_e32 vcc, 0, v15
	v_accvgpr_read_b32 v0, a26
	v_add3_u32 v11, v14, v12, v3
	v_cndmask_b32_e32 v3, 0, v0, vcc
	v_sub_u32_e32 v3, v3, v15
	v_lshl_add_u32 v17, v3, 6, v13
	v_ashrrev_i32_e32 v3, 31, v17
	v_lshrrev_b32_e32 v3, 26, v3
	v_add_u32_e32 v3, v17, v3
	s_mov_b64 s[60:61], exec
	v_ashrrev_i32_e32 v3, 6, v3
.LBB6_152:                              ;   in Loop: Header=BB6_57 Depth=2
	s_or_b64 exec, exec, s[62:63]
	s_and_b64 s[26:27], s[60:61], exec
.LBB6_153:                              ;   in Loop: Header=BB6_57 Depth=2
	s_or_b64 exec, exec, s[28:29]
	s_and_saveexec_b64 s[60:61], s[26:27]
	s_cbranch_execnz .LBB6_126
.LBB6_154:                              ;   in Loop: Header=BB6_57 Depth=2
	s_or_b64 exec, exec, s[60:61]
	s_and_saveexec_b64 s[26:27], s[10:11]
	s_cbranch_execz .LBB6_135
.LBB6_155:                              ;   in Loop: Header=BB6_57 Depth=2
	s_and_saveexec_b64 s[28:29], s[44:45]
	s_xor_b64 s[28:29], exec, s[28:29]
	s_cbranch_execz .LBB6_170
; %bb.156:                              ;   in Loop: Header=BB6_57 Depth=2
	s_and_saveexec_b64 s[60:61], s[16:17]
	s_cbranch_execz .LBB6_169
; %bb.157:                              ;   in Loop: Header=BB6_57 Depth=2
	s_mov_b64 s[64:65], exec
	v_mbcnt_lo_u32_b32 v3, s64, 0
	v_mbcnt_hi_u32_b32 v3, s65, v3
	v_cmp_eq_u32_e32 vcc, 0, v3
	s_waitcnt vmcnt(0) lgkmcnt(0)
	buffer_wbinvl1_vol
	s_and_saveexec_b64 s[62:63], vcc
	s_cbranch_execz .LBB6_159
; %bb.158:                              ;   in Loop: Header=BB6_57 Depth=2
	s_bcnt1_i32_b64 vcc_lo, s[64:65]
	v_mov_b32_e32 v26, vcc_lo
	ds_add_u64 v0, v[26:27]
	s_trap 2
.LBB6_159:                              ;   in Loop: Header=BB6_57 Depth=2
	s_or_b64 exec, exec, s[62:63]
	s_trap 2
	ds_read_b64 v[8:9], v0
	v_accvgpr_read_b32 v10, a16
	v_accvgpr_read_b32 v0, a26
	;; [unrolled: 1-line block ×3, first 2 shown]
	v_add_co_u32_e32 v10, vcc, v10, v0
	v_addc_co_u32_e32 v11, vcc, 0, v11, vcc
	v_accvgpr_write_b32 a17, v11
	v_accvgpr_write_b32 a16, v10
	s_waitcnt lgkmcnt(0)
	v_cmp_lt_u64_e32 vcc, v[8:9], v[10:11]
	s_and_saveexec_b64 s[62:63], vcc
	s_cbranch_execz .LBB6_168
; %bb.160:                              ;   in Loop: Header=BB6_57 Depth=2
	s_mov_b32 s74, 0
	s_mov_b64 s[64:65], 0
                                        ; implicit-def: $sgpr66_sgpr67
                                        ; implicit-def: $sgpr68_sgpr69
	s_branch .LBB6_162
.LBB6_161:                              ;   in Loop: Header=BB6_162 Depth=3
	s_or_b64 exec, exec, s[72:73]
	s_and_b64 vcc, exec, vcc
	s_or_b64 s[64:65], vcc, s[64:65]
	s_andn2_b64 vcc, s[66:67], exec
	s_and_b64 s[66:67], s[68:69], exec
	s_or_b64 s[66:67], vcc, s[66:67]
	s_andn2_b64 exec, exec, s[64:65]
	s_cbranch_execz .LBB6_166
.LBB6_162:                              ;   Parent Loop BB6_47 Depth=1
                                        ;     Parent Loop BB6_57 Depth=2
                                        ; =>    This Inner Loop Header: Depth=3
	s_add_i32 s74, s74, 1
	s_cmpk_lg_i32 s74, 0x2710
	s_cselect_b64 s[70:71], -1, 0
	s_and_b64 vcc, exec, s[70:71]
                                        ; implicit-def: $sgpr72_sgpr73
	s_cbranch_vccnz .LBB6_164
; %bb.163:                              ;   in Loop: Header=BB6_162 Depth=3
	s_trap 2
	ds_read_b64 v[8:9], v0
	s_andn2_b64 s[70:71], s[70:71], exec
	s_mov_b32 s74, 0
	s_mov_b64 s[72:73], -1
	s_waitcnt lgkmcnt(0)
	flat_load_dword v3, v[8:9] glc
	s_waitcnt vmcnt(0) lgkmcnt(0)
	buffer_invl2
	buffer_wbinvl1_vol
	v_cmp_eq_u32_e32 vcc, 0, v3
	s_and_b64 vcc, vcc, exec
	s_or_b64 s[70:71], s[70:71], vcc
.LBB6_164:                              ;   in Loop: Header=BB6_162 Depth=3
	s_andn2_b64 s[68:69], s[68:69], exec
	s_and_b64 s[72:73], s[72:73], exec
	s_mov_b64 vcc, -1
	s_or_b64 s[68:69], s[68:69], s[72:73]
	s_and_saveexec_b64 s[72:73], s[70:71]
	s_cbranch_execz .LBB6_161
; %bb.165:                              ;   in Loop: Header=BB6_162 Depth=3
	s_sleep 1
	s_trap 2
	ds_read_b64 v[8:9], v0
	v_accvgpr_read_b32 v10, a16
	v_accvgpr_read_b32 v11, a17
	s_andn2_b64 s[68:69], s[68:69], exec
	s_waitcnt lgkmcnt(0)
	v_cmp_ge_u64_e32 vcc, v[8:9], v[10:11]
	s_orn2_b64 vcc, vcc, exec
	s_branch .LBB6_161
.LBB6_166:                              ;   in Loop: Header=BB6_57 Depth=2
	s_or_b64 exec, exec, s[64:65]
	s_and_saveexec_b64 vcc, s[66:67]
	s_xor_b64 vcc, exec, vcc
	s_cbranch_execz .LBB6_168
; %bb.167:                              ;   in Loop: Header=BB6_57 Depth=2
	v_mov_b32_e32 v0, 1
	ds_write_b32 v0, v0
	s_trap 2
.LBB6_168:                              ;   in Loop: Header=BB6_57 Depth=2
	s_or_b64 exec, exec, s[62:63]
	;;#ASMSTART
	s_wakeup
	;;#ASMEND
.LBB6_169:                              ;   in Loop: Header=BB6_57 Depth=2
	s_or_b64 exec, exec, s[60:61]
.LBB6_170:                              ;   in Loop: Header=BB6_57 Depth=2
	s_andn2_saveexec_b64 s[28:29], s[28:29]
	s_cbranch_execz .LBB6_172
; %bb.171:                              ;   in Loop: Header=BB6_57 Depth=2
	s_waitcnt vmcnt(0) lgkmcnt(0)
	buffer_wbinvl1_vol
	s_barrier
.LBB6_172:                              ;   in Loop: Header=BB6_57 Depth=2
	s_or_b64 exec, exec, s[28:29]
	s_or_b64 exec, exec, s[26:27]
                                        ; implicit-def: $vgpr3
	s_and_saveexec_b64 s[26:27], s[24:25]
	s_xor_b64 s[28:29], exec, s[26:27]
	s_cbranch_execnz .LBB6_136
.LBB6_173:                              ;   in Loop: Header=BB6_57 Depth=2
	s_andn2_saveexec_b64 s[26:27], s[28:29]
	s_cbranch_execz .LBB6_139
.LBB6_174:                              ;   in Loop: Header=BB6_57 Depth=2
	s_and_saveexec_b64 s[28:29], s[44:45]
	s_xor_b64 s[28:29], exec, s[28:29]
	s_cbranch_execz .LBB6_189
; %bb.175:                              ;   in Loop: Header=BB6_57 Depth=2
	s_and_saveexec_b64 s[60:61], s[16:17]
	s_cbranch_execz .LBB6_188
; %bb.176:                              ;   in Loop: Header=BB6_57 Depth=2
	s_mov_b64 s[64:65], exec
	v_mbcnt_lo_u32_b32 v3, s64, 0
	v_mbcnt_hi_u32_b32 v3, s65, v3
	v_cmp_eq_u32_e32 vcc, 0, v3
	;;#ASMSTART
	s_waitcnt lgkmcnt(0) vmcnt(0)
	;;#ASMEND
	s_and_saveexec_b64 s[62:63], vcc
	s_cbranch_execz .LBB6_178
; %bb.177:                              ;   in Loop: Header=BB6_57 Depth=2
	s_bcnt1_i32_b64 vcc_lo, s[64:65]
	v_mov_b32_e32 v26, vcc_lo
	ds_add_u64 v0, v[26:27]
	s_trap 2
.LBB6_178:                              ;   in Loop: Header=BB6_57 Depth=2
	s_or_b64 exec, exec, s[62:63]
	s_trap 2
	ds_read_b64 v[8:9], v0
	v_accvgpr_read_b32 v10, a16
	v_accvgpr_read_b32 v0, a26
	;; [unrolled: 1-line block ×3, first 2 shown]
	v_add_co_u32_e32 v10, vcc, v10, v0
	v_addc_co_u32_e32 v11, vcc, 0, v11, vcc
	v_accvgpr_write_b32 a17, v11
	v_accvgpr_write_b32 a16, v10
	s_waitcnt lgkmcnt(0)
	v_cmp_lt_u64_e32 vcc, v[8:9], v[10:11]
	s_and_saveexec_b64 s[62:63], vcc
	s_cbranch_execz .LBB6_187
; %bb.179:                              ;   in Loop: Header=BB6_57 Depth=2
	s_mov_b32 s74, 0
	s_mov_b64 s[64:65], 0
                                        ; implicit-def: $sgpr66_sgpr67
                                        ; implicit-def: $sgpr68_sgpr69
	s_branch .LBB6_181
.LBB6_180:                              ;   in Loop: Header=BB6_181 Depth=3
	s_or_b64 exec, exec, s[72:73]
	s_and_b64 vcc, exec, vcc
	s_or_b64 s[64:65], vcc, s[64:65]
	s_andn2_b64 vcc, s[66:67], exec
	s_and_b64 s[66:67], s[68:69], exec
	s_or_b64 s[66:67], vcc, s[66:67]
	s_andn2_b64 exec, exec, s[64:65]
	s_cbranch_execz .LBB6_185
.LBB6_181:                              ;   Parent Loop BB6_47 Depth=1
                                        ;     Parent Loop BB6_57 Depth=2
                                        ; =>    This Inner Loop Header: Depth=3
	s_add_i32 s74, s74, 1
	s_cmpk_lg_i32 s74, 0x2710
	s_cselect_b64 s[70:71], -1, 0
	s_and_b64 vcc, exec, s[70:71]
                                        ; implicit-def: $sgpr72_sgpr73
	s_cbranch_vccnz .LBB6_183
; %bb.182:                              ;   in Loop: Header=BB6_181 Depth=3
	s_trap 2
	ds_read_b64 v[8:9], v0
	s_andn2_b64 s[70:71], s[70:71], exec
	s_mov_b32 s74, 0
	s_mov_b64 s[72:73], -1
	s_waitcnt vmcnt(0) lgkmcnt(0)
	flat_load_dword v3, v[8:9] glc
	s_waitcnt vmcnt(0) lgkmcnt(0)
	buffer_invl2
	buffer_wbinvl1_vol
	v_cmp_eq_u32_e32 vcc, 0, v3
	s_and_b64 vcc, vcc, exec
	s_or_b64 s[70:71], s[70:71], vcc
.LBB6_183:                              ;   in Loop: Header=BB6_181 Depth=3
	s_andn2_b64 s[68:69], s[68:69], exec
	s_and_b64 s[72:73], s[72:73], exec
	s_mov_b64 vcc, -1
	s_or_b64 s[68:69], s[68:69], s[72:73]
	s_and_saveexec_b64 s[72:73], s[70:71]
	s_cbranch_execz .LBB6_180
; %bb.184:                              ;   in Loop: Header=BB6_181 Depth=3
	s_sleep 1
	s_trap 2
	ds_read_b64 v[8:9], v0
	v_accvgpr_read_b32 v10, a16
	v_accvgpr_read_b32 v11, a17
	s_andn2_b64 s[68:69], s[68:69], exec
	s_waitcnt lgkmcnt(0)
	v_cmp_ge_u64_e32 vcc, v[8:9], v[10:11]
	s_orn2_b64 vcc, vcc, exec
	s_branch .LBB6_180
.LBB6_185:                              ;   in Loop: Header=BB6_57 Depth=2
	s_or_b64 exec, exec, s[64:65]
	s_and_saveexec_b64 vcc, s[66:67]
	s_xor_b64 vcc, exec, vcc
	s_cbranch_execz .LBB6_187
; %bb.186:                              ;   in Loop: Header=BB6_57 Depth=2
	v_mov_b32_e32 v0, 1
	ds_write_b32 v0, v0
	s_trap 2
.LBB6_187:                              ;   in Loop: Header=BB6_57 Depth=2
	s_or_b64 exec, exec, s[62:63]
	;;#ASMSTART
	s_wakeup
	;;#ASMEND
.LBB6_188:                              ;   in Loop: Header=BB6_57 Depth=2
	s_or_b64 exec, exec, s[60:61]
.LBB6_189:                              ;   in Loop: Header=BB6_57 Depth=2
	s_andn2_saveexec_b64 s[28:29], s[28:29]
	s_cbranch_execz .LBB6_191
; %bb.190:                              ;   in Loop: Header=BB6_57 Depth=2
	;;#ASMSTART
	s_waitcnt lgkmcnt(0) vmcnt(0)
	;;#ASMEND
	s_barrier
.LBB6_191:                              ;   in Loop: Header=BB6_57 Depth=2
	s_or_b64 exec, exec, s[28:29]
	v_and_b32_e32 v3, 16, v60
	s_or_b64 exec, exec, s[26:27]
	v_cmp_ne_u32_e32 vcc, 0, v3
	s_and_saveexec_b64 s[26:27], vcc
	s_cbranch_execz .LBB6_56
.LBB6_192:                              ;   in Loop: Header=BB6_57 Depth=2
	s_and_saveexec_b64 s[28:29], s[14:15]
	s_cbranch_execz .LBB6_55
; %bb.193:                              ;   in Loop: Header=BB6_57 Depth=2
	v_accvgpr_read_b32 v8, a24
	v_accvgpr_read_b32 v9, a25
	v_mov_b32_e32 v0, 1
	flat_store_dword v[8:9], v0
	s_branch .LBB6_55
.LBB6_194:                              ;   in Loop: Header=BB6_47 Depth=1
	s_or_b64 exec, exec, s[34:35]
.LBB6_195:                              ;   in Loop: Header=BB6_47 Depth=1
	s_or_b64 exec, exec, s[30:31]
	v_cmp_gt_i32_e32 vcc, 2, v3
	s_and_saveexec_b64 s[28:29], vcc
	s_cbranch_execz .LBB6_267
; %bb.196:                              ;   in Loop: Header=BB6_47 Depth=1
	v_cmp_eq_u32_e64 s[26:27], 0, v3
	s_mov_b64 s[30:31], 0
	s_branch .LBB6_199
.LBB6_197:                              ;   in Loop: Header=BB6_199 Depth=2
	s_or_b64 exec, exec, vcc
	v_accvgpr_read_b32 v4, a12
	v_accvgpr_read_b32 v5, a13
	v_add_co_u32_e32 v4, vcc, 2, v4
	v_addc_co_u32_e32 v5, vcc, 0, v5, vcc
	v_accvgpr_write_b32 a13, v5
	v_accvgpr_read_b32 v8, a18
	v_accvgpr_write_b32 a12, v4
	v_accvgpr_read_b32 v9, a19
	flat_store_dwordx2 v[8:9], v[4:5]
.LBB6_198:                              ;   in Loop: Header=BB6_199 Depth=2
	s_or_b64 exec, exec, s[26:27]
	v_add_u32_e32 v6, v2, v6
	s_mov_b64 s[26:27], 0
	s_andn2_b64 exec, exec, s[30:31]
	s_cbranch_execz .LBB6_266
.LBB6_199:                              ;   Parent Loop BB6_47 Depth=1
                                        ; =>  This Loop Header: Depth=2
                                        ;       Child Loop BB6_205 Depth 3
                                        ;       Child Loop BB6_234 Depth 3
	;; [unrolled: 1-line block ×3, first 2 shown]
	v_and_b32_e32 v3, 8, v60
	s_mov_b64 s[58:59], -1
	v_cmp_ne_u32_e32 vcc, 0, v3
	s_and_saveexec_b64 s[34:35], vcc
	s_cbranch_execz .LBB6_211
; %bb.200:                              ;   in Loop: Header=BB6_199 Depth=2
	v_add_co_u32_e32 v8, vcc, 8, v48
	v_addc_co_u32_e32 v9, vcc, 0, v49, vcc
	v_accvgpr_read_b32 v4, a12
	v_accvgpr_read_b32 v5, a13
	v_add_co_u32_e32 v4, vcc, 2, v4
	v_addc_co_u32_e32 v5, vcc, 0, v5, vcc
	v_cmp_lt_u64_e32 vcc, v[8:9], v[4:5]
	v_mov_b32_e32 v3, 1
	s_and_saveexec_b64 s[58:59], vcc
	s_cbranch_execz .LBB6_210
; %bb.201:                              ;   in Loop: Header=BB6_199 Depth=2
	s_mov_b64 s[60:61], 0
	v_mov_b32_e32 v3, 0
                                        ; implicit-def: $sgpr62_sgpr63
	s_branch .LBB6_205
.LBB6_202:                              ;   in Loop: Header=BB6_205 Depth=3
	s_or_b64 exec, exec, s[70:71]
	v_mov_b32_e32 v7, 0
	s_orn2_b64 s[68:69], s[68:69], exec
.LBB6_203:                              ;   in Loop: Header=BB6_205 Depth=3
	s_or_b64 exec, exec, s[66:67]
	s_andn2_b64 vcc, s[62:63], exec
	s_and_b64 s[62:63], s[68:69], exec
	s_or_b64 s[62:63], vcc, s[62:63]
	v_mov_b32_e32 v3, v7
.LBB6_204:                              ;   in Loop: Header=BB6_205 Depth=3
	s_or_b64 exec, exec, s[64:65]
	s_waitcnt vmcnt(0) lgkmcnt(0)
	v_add_co_u32_e32 v8, vcc, 8, v48
	v_addc_co_u32_e32 v9, vcc, 0, v49, vcc
	v_cmp_ge_u64_e32 vcc, v[8:9], v[4:5]
	s_xor_b64 s[64:65], s[62:63], -1
	s_or_b64 vcc, s[64:65], vcc
	s_and_b64 vcc, exec, vcc
	s_or_b64 s[60:61], vcc, s[60:61]
	s_andn2_b64 exec, exec, s[60:61]
	s_cbranch_execz .LBB6_209
.LBB6_205:                              ;   Parent Loop BB6_47 Depth=1
                                        ;     Parent Loop BB6_199 Depth=2
                                        ; =>    This Inner Loop Header: Depth=3
	v_accvgpr_read_b32 v8, a18
	v_accvgpr_read_b32 v9, a19
	s_sleep 1
	flat_load_dwordx2 v[48:49], v[8:9] glc
	v_and_b32_e32 v7, 64, v60
	v_cmp_eq_u32_e32 vcc, 0, v7
	s_andn2_b64 s[62:63], s[62:63], exec
	s_and_saveexec_b64 s[64:65], vcc
	s_cbranch_execz .LBB6_204
; %bb.206:                              ;   in Loop: Header=BB6_205 Depth=3
	v_add_u32_e32 v7, 1, v3
	v_cmp_lt_i32_e32 vcc, s89, v3
	s_mov_b64 s[68:69], -1
	s_and_saveexec_b64 s[66:67], vcc
	s_cbranch_execz .LBB6_203
; %bb.207:                              ;   in Loop: Header=BB6_205 Depth=3
	s_trap 2
	ds_read_b64 v[8:9], v0
	s_waitcnt vmcnt(0) lgkmcnt(0)
	flat_load_dword v3, v[8:9] glc
	s_waitcnt vmcnt(0) lgkmcnt(0)
	buffer_invl2
	buffer_wbinvl1_vol
	v_cmp_ne_u32_e32 vcc, 0, v3
	s_and_saveexec_b64 s[70:71], vcc
	s_cbranch_execz .LBB6_202
; %bb.208:                              ;   in Loop: Header=BB6_205 Depth=3
	v_or_b32_e32 v60, 64, v60
	s_xor_b64 s[68:69], exec, -1
	ds_write_b32 v0, v3
	s_trap 2
	s_branch .LBB6_202
.LBB6_209:                              ;   in Loop: Header=BB6_199 Depth=2
	s_or_b64 exec, exec, s[60:61]
	v_and_b32_e32 v3, 8, v60
.LBB6_210:                              ;   in Loop: Header=BB6_199 Depth=2
	s_or_b64 exec, exec, s[58:59]
	v_cmp_eq_u32_e32 vcc, 0, v3
	s_orn2_b64 s[58:59], vcc, exec
	;;#ASMSTART
	s_wakeup
	;;#ASMEND
.LBB6_211:                              ;   in Loop: Header=BB6_199 Depth=2
	s_or_b64 exec, exec, s[34:35]
	s_xor_b64 s[26:27], s[26:27], -1
	s_and_b64 s[26:27], exec, s[26:27]
	s_or_b64 s[30:31], s[26:27], s[30:31]
	v_sub_u32_e32 v3, v1, v6
	s_xor_b64 s[26:27], s[58:59], -1
	v_min_i32_e32 v2, v2, v3
	s_and_saveexec_b64 s[34:35], s[26:27]
	s_cbranch_execz .LBB6_226
; %bb.212:                              ;   in Loop: Header=BB6_199 Depth=2
	v_and_b32_e32 v3, 0x100, v60
	v_accvgpr_read_b32 v4, a12
	v_cmp_ne_u32_e32 vcc, 0, v3
	v_accvgpr_read_b32 v5, a13
	v_and_b32_e32 v7, 7, v4
	s_mov_b64 s[26:27], -1
                                        ; implicit-def: $vgpr4_vgpr5
	s_and_saveexec_b64 s[58:59], vcc
	s_cbranch_execz .LBB6_216
; %bb.213:                              ;   in Loop: Header=BB6_199 Depth=2
	v_accvgpr_read_b32 v4, a14
	v_accvgpr_read_b32 v5, a15
	v_mad_u64_u32 v[8:9], s[26:27], v7, 24, v[4:5]
	flat_load_dword v4, v[8:9]
	v_ashrrev_i32_e32 v3, 31, v2
	flat_store_dwordx2 v[8:9], v[2:3] offset:8
	s_waitcnt vmcnt(0) lgkmcnt(0)
	v_cmp_ne_u32_e32 vcc, 1, v4
	v_cmp_eq_u32_e64 s[26:27], 1, v4
                                        ; implicit-def: $vgpr4_vgpr5
	s_and_saveexec_b64 s[60:61], s[26:27]
	s_cbranch_execz .LBB6_215
; %bb.214:                              ;   in Loop: Header=BB6_199 Depth=2
	flat_load_dword v4, v[8:9] offset:4 glc
	s_waitcnt vmcnt(0) lgkmcnt(0)
	v_ashrrev_i32_e32 v5, 31, v4
.LBB6_215:                              ;   in Loop: Header=BB6_199 Depth=2
	s_or_b64 exec, exec, s[60:61]
	s_orn2_b64 s[26:27], vcc, exec
.LBB6_216:                              ;   in Loop: Header=BB6_199 Depth=2
	s_or_b64 exec, exec, s[58:59]
	s_and_saveexec_b64 vcc, s[26:27]
; %bb.217:                              ;   in Loop: Header=BB6_199 Depth=2
	v_accvgpr_read_b32 v4, a20
	v_mad_i64_i32 v[4:5], s[26:27], v7, v4, 0
; %bb.218:                              ;   in Loop: Header=BB6_199 Depth=2
	s_or_b64 exec, exec, vcc
	v_accvgpr_read_b32 v8, a22
	v_accvgpr_read_b32 v9, a23
	v_add_co_u32_e32 v4, vcc, v8, v4
	v_addc_co_u32_e32 v5, vcc, v9, v5, vcc
	v_and_b32_e32 v3, 0x2000, v60
	v_cmp_ne_u32_e32 vcc, 0, v3
	ds_write_b64 v0, v[4:5] offset:784
	s_and_saveexec_b64 s[26:27], vcc
	s_cbranch_execz .LBB6_220
; %bb.219:                              ;   in Loop: Header=BB6_199 Depth=2
	ds_read_b64 v[4:5], v0 offset:584
	s_waitcnt lgkmcnt(0)
	v_add_co_u32_e32 v4, vcc, 1, v4
	v_addc_co_u32_e32 v5, vcc, 0, v5, vcc
	ds_write_b64 v0, v[4:5] offset:584
.LBB6_220:                              ;   in Loop: Header=BB6_199 Depth=2
	s_or_b64 exec, exec, s[26:27]
	v_accvgpr_read_b32 v4, a12
	v_accvgpr_read_b32 v5, a13
	v_add_co_u32_e32 v4, vcc, 2, v4
	v_addc_co_u32_e32 v5, vcc, 0, v5, vcc
	v_accvgpr_write_b32 a13, v5
	v_accvgpr_write_b32 a12, v4
	s_or_b64 exec, exec, s[34:35]
	s_and_saveexec_b64 s[26:27], s[10:11]
	s_cbranch_execnz .LBB6_227
.LBB6_221:                              ;   in Loop: Header=BB6_199 Depth=2
	s_or_b64 exec, exec, s[26:27]
                                        ; implicit-def: $vgpr3
	s_and_saveexec_b64 s[26:27], s[24:25]
	s_xor_b64 s[26:27], exec, s[26:27]
	s_cbranch_execz .LBB6_245
.LBB6_222:                              ;   in Loop: Header=BB6_199 Depth=2
	s_trap 2
	ds_read_b32 v4, v0
	v_cmp_lt_i32_e32 vcc, 0, v2
	v_and_b32_e32 v5, 16, v60
	v_and_b32_e32 v3, 16, v60
	s_waitcnt lgkmcnt(0)
	v_readfirstlane_b32 s34, v4
	s_cmp_eq_u32 s34, 0
	s_cselect_b64 s[34:35], -1, 0
	s_and_b64 s[34:35], vcc, s[34:35]
	v_cmp_ne_u32_e32 vcc, 0, v5
	s_and_b64 s[34:35], vcc, s[34:35]
	s_and_saveexec_b64 vcc, s[34:35]
	s_cbranch_execz .LBB6_224
; %bb.223:                              ;   in Loop: Header=BB6_199 Depth=2
	v_mov_b32_e32 v3, 1
	s_waitcnt vmcnt(0)
	buffer_wbinvl1_vol
.LBB6_224:                              ;   in Loop: Header=BB6_199 Depth=2
	s_or_b64 exec, exec, vcc
	s_andn2_saveexec_b64 s[26:27], s[26:27]
	s_cbranch_execnz .LBB6_246
.LBB6_225:                              ;   in Loop: Header=BB6_199 Depth=2
	s_or_b64 exec, exec, s[26:27]
	v_cmp_ne_u32_e32 vcc, 0, v3
	s_and_saveexec_b64 s[26:27], vcc
	s_cbranch_execz .LBB6_198
	s_branch .LBB6_264
.LBB6_226:                              ;   in Loop: Header=BB6_199 Depth=2
	s_or_b64 exec, exec, s[34:35]
	s_and_saveexec_b64 s[26:27], s[10:11]
	s_cbranch_execz .LBB6_221
.LBB6_227:                              ;   in Loop: Header=BB6_199 Depth=2
	s_and_saveexec_b64 vcc, s[44:45]
	s_xor_b64 s[34:35], exec, vcc
	s_cbranch_execz .LBB6_242
; %bb.228:                              ;   in Loop: Header=BB6_199 Depth=2
	s_and_saveexec_b64 s[58:59], s[16:17]
	s_cbranch_execz .LBB6_241
; %bb.229:                              ;   in Loop: Header=BB6_199 Depth=2
	s_mov_b64 s[62:63], exec
	v_mbcnt_lo_u32_b32 v3, s62, 0
	v_mbcnt_hi_u32_b32 v3, s63, v3
	v_cmp_eq_u32_e32 vcc, 0, v3
	s_waitcnt vmcnt(0) lgkmcnt(0)
	buffer_wbinvl1_vol
	s_and_saveexec_b64 s[60:61], vcc
	s_cbranch_execz .LBB6_231
; %bb.230:                              ;   in Loop: Header=BB6_199 Depth=2
	s_bcnt1_i32_b64 vcc_lo, s[62:63]
	v_mov_b32_e32 v26, vcc_lo
	ds_add_u64 v0, v[26:27]
	s_trap 2
.LBB6_231:                              ;   in Loop: Header=BB6_199 Depth=2
	s_or_b64 exec, exec, s[60:61]
	s_trap 2
	ds_read_b64 v[4:5], v0
	v_accvgpr_read_b32 v8, a16
	v_accvgpr_read_b32 v0, a26
	;; [unrolled: 1-line block ×3, first 2 shown]
	v_add_co_u32_e32 v8, vcc, v8, v0
	v_addc_co_u32_e32 v9, vcc, 0, v9, vcc
	v_accvgpr_write_b32 a17, v9
	v_accvgpr_write_b32 a16, v8
	s_waitcnt lgkmcnt(0)
	v_cmp_lt_u64_e32 vcc, v[4:5], v[8:9]
	s_and_saveexec_b64 s[60:61], vcc
	s_cbranch_execz .LBB6_240
; %bb.232:                              ;   in Loop: Header=BB6_199 Depth=2
	s_mov_b32 s47, 0
	s_mov_b64 s[62:63], 0
                                        ; implicit-def: $sgpr64_sgpr65
                                        ; implicit-def: $sgpr66_sgpr67
	s_branch .LBB6_234
.LBB6_233:                              ;   in Loop: Header=BB6_234 Depth=3
	s_or_b64 exec, exec, s[70:71]
	s_and_b64 vcc, exec, vcc
	s_or_b64 s[62:63], vcc, s[62:63]
	s_andn2_b64 vcc, s[64:65], exec
	s_and_b64 s[64:65], s[66:67], exec
	s_or_b64 s[64:65], vcc, s[64:65]
	s_andn2_b64 exec, exec, s[62:63]
	s_cbranch_execz .LBB6_238
.LBB6_234:                              ;   Parent Loop BB6_47 Depth=1
                                        ;     Parent Loop BB6_199 Depth=2
                                        ; =>    This Inner Loop Header: Depth=3
	s_add_i32 s47, s47, 1
	s_cmpk_lg_i32 s47, 0x2710
	s_cselect_b64 s[68:69], -1, 0
	s_and_b64 vcc, exec, s[68:69]
                                        ; implicit-def: $sgpr70_sgpr71
	s_cbranch_vccnz .LBB6_236
; %bb.235:                              ;   in Loop: Header=BB6_234 Depth=3
	s_trap 2
	ds_read_b64 v[4:5], v0
	s_andn2_b64 s[68:69], s[68:69], exec
	s_mov_b32 s47, 0
	s_mov_b64 s[70:71], -1
	s_waitcnt lgkmcnt(0)
	flat_load_dword v3, v[4:5] glc
	s_waitcnt vmcnt(0) lgkmcnt(0)
	buffer_invl2
	buffer_wbinvl1_vol
	v_cmp_eq_u32_e32 vcc, 0, v3
	s_and_b64 vcc, vcc, exec
	s_or_b64 s[68:69], s[68:69], vcc
.LBB6_236:                              ;   in Loop: Header=BB6_234 Depth=3
	s_andn2_b64 s[66:67], s[66:67], exec
	s_and_b64 s[70:71], s[70:71], exec
	s_mov_b64 vcc, -1
	s_or_b64 s[66:67], s[66:67], s[70:71]
	s_and_saveexec_b64 s[70:71], s[68:69]
	s_cbranch_execz .LBB6_233
; %bb.237:                              ;   in Loop: Header=BB6_234 Depth=3
	s_sleep 1
	s_trap 2
	ds_read_b64 v[4:5], v0
	v_accvgpr_read_b32 v8, a16
	v_accvgpr_read_b32 v9, a17
	s_andn2_b64 s[66:67], s[66:67], exec
	s_waitcnt lgkmcnt(0)
	v_cmp_ge_u64_e32 vcc, v[4:5], v[8:9]
	s_orn2_b64 vcc, vcc, exec
	s_branch .LBB6_233
.LBB6_238:                              ;   in Loop: Header=BB6_199 Depth=2
	s_or_b64 exec, exec, s[62:63]
	s_and_saveexec_b64 vcc, s[64:65]
	s_xor_b64 vcc, exec, vcc
	s_cbranch_execz .LBB6_240
; %bb.239:                              ;   in Loop: Header=BB6_199 Depth=2
	v_mov_b32_e32 v0, 1
	ds_write_b32 v0, v0
	s_trap 2
.LBB6_240:                              ;   in Loop: Header=BB6_199 Depth=2
	s_or_b64 exec, exec, s[60:61]
	;;#ASMSTART
	s_wakeup
	;;#ASMEND
.LBB6_241:                              ;   in Loop: Header=BB6_199 Depth=2
	s_or_b64 exec, exec, s[58:59]
.LBB6_242:                              ;   in Loop: Header=BB6_199 Depth=2
	s_andn2_saveexec_b64 vcc, s[34:35]
	s_cbranch_execz .LBB6_244
; %bb.243:                              ;   in Loop: Header=BB6_199 Depth=2
	s_waitcnt vmcnt(0) lgkmcnt(0)
	buffer_wbinvl1_vol
	s_barrier
.LBB6_244:                              ;   in Loop: Header=BB6_199 Depth=2
	s_or_b64 exec, exec, vcc
	s_or_b64 exec, exec, s[26:27]
                                        ; implicit-def: $vgpr3
	s_and_saveexec_b64 s[26:27], s[24:25]
	s_xor_b64 s[26:27], exec, s[26:27]
	s_cbranch_execnz .LBB6_222
.LBB6_245:                              ;   in Loop: Header=BB6_199 Depth=2
	s_andn2_saveexec_b64 s[26:27], s[26:27]
	s_cbranch_execz .LBB6_225
.LBB6_246:                              ;   in Loop: Header=BB6_199 Depth=2
	s_and_saveexec_b64 vcc, s[44:45]
	s_xor_b64 s[34:35], exec, vcc
	s_cbranch_execz .LBB6_261
; %bb.247:                              ;   in Loop: Header=BB6_199 Depth=2
	s_and_saveexec_b64 s[58:59], s[16:17]
	s_cbranch_execz .LBB6_260
; %bb.248:                              ;   in Loop: Header=BB6_199 Depth=2
	s_mov_b64 s[62:63], exec
	v_mbcnt_lo_u32_b32 v3, s62, 0
	v_mbcnt_hi_u32_b32 v3, s63, v3
	v_cmp_eq_u32_e32 vcc, 0, v3
	;;#ASMSTART
	s_waitcnt lgkmcnt(0) vmcnt(0)
	;;#ASMEND
	s_and_saveexec_b64 s[60:61], vcc
	s_cbranch_execz .LBB6_250
; %bb.249:                              ;   in Loop: Header=BB6_199 Depth=2
	s_bcnt1_i32_b64 vcc_lo, s[62:63]
	v_mov_b32_e32 v26, vcc_lo
	ds_add_u64 v0, v[26:27]
	s_trap 2
.LBB6_250:                              ;   in Loop: Header=BB6_199 Depth=2
	s_or_b64 exec, exec, s[60:61]
	s_trap 2
	ds_read_b64 v[4:5], v0
	v_accvgpr_read_b32 v8, a16
	v_accvgpr_read_b32 v0, a26
	;; [unrolled: 1-line block ×3, first 2 shown]
	v_add_co_u32_e32 v8, vcc, v8, v0
	v_addc_co_u32_e32 v9, vcc, 0, v9, vcc
	v_accvgpr_write_b32 a17, v9
	v_accvgpr_write_b32 a16, v8
	s_waitcnt lgkmcnt(0)
	v_cmp_lt_u64_e32 vcc, v[4:5], v[8:9]
	s_and_saveexec_b64 s[60:61], vcc
	s_cbranch_execz .LBB6_259
; %bb.251:                              ;   in Loop: Header=BB6_199 Depth=2
	s_mov_b32 s47, 0
	s_mov_b64 s[62:63], 0
                                        ; implicit-def: $sgpr64_sgpr65
                                        ; implicit-def: $sgpr66_sgpr67
	s_branch .LBB6_253
.LBB6_252:                              ;   in Loop: Header=BB6_253 Depth=3
	s_or_b64 exec, exec, s[70:71]
	s_and_b64 vcc, exec, vcc
	s_or_b64 s[62:63], vcc, s[62:63]
	s_andn2_b64 vcc, s[64:65], exec
	s_and_b64 s[64:65], s[66:67], exec
	s_or_b64 s[64:65], vcc, s[64:65]
	s_andn2_b64 exec, exec, s[62:63]
	s_cbranch_execz .LBB6_257
.LBB6_253:                              ;   Parent Loop BB6_47 Depth=1
                                        ;     Parent Loop BB6_199 Depth=2
                                        ; =>    This Inner Loop Header: Depth=3
	s_add_i32 s47, s47, 1
	s_cmpk_lg_i32 s47, 0x2710
	s_cselect_b64 s[68:69], -1, 0
	s_and_b64 vcc, exec, s[68:69]
                                        ; implicit-def: $sgpr70_sgpr71
	s_cbranch_vccnz .LBB6_255
; %bb.254:                              ;   in Loop: Header=BB6_253 Depth=3
	s_trap 2
	ds_read_b64 v[4:5], v0
	s_andn2_b64 s[68:69], s[68:69], exec
	s_mov_b32 s47, 0
	s_mov_b64 s[70:71], -1
	s_waitcnt vmcnt(0) lgkmcnt(0)
	flat_load_dword v3, v[4:5] glc
	s_waitcnt vmcnt(0) lgkmcnt(0)
	buffer_invl2
	buffer_wbinvl1_vol
	v_cmp_eq_u32_e32 vcc, 0, v3
	s_and_b64 vcc, vcc, exec
	s_or_b64 s[68:69], s[68:69], vcc
.LBB6_255:                              ;   in Loop: Header=BB6_253 Depth=3
	s_andn2_b64 s[66:67], s[66:67], exec
	s_and_b64 s[70:71], s[70:71], exec
	s_mov_b64 vcc, -1
	s_or_b64 s[66:67], s[66:67], s[70:71]
	s_and_saveexec_b64 s[70:71], s[68:69]
	s_cbranch_execz .LBB6_252
; %bb.256:                              ;   in Loop: Header=BB6_253 Depth=3
	s_sleep 1
	s_trap 2
	ds_read_b64 v[4:5], v0
	v_accvgpr_read_b32 v8, a16
	v_accvgpr_read_b32 v9, a17
	s_andn2_b64 s[66:67], s[66:67], exec
	s_waitcnt lgkmcnt(0)
	v_cmp_ge_u64_e32 vcc, v[4:5], v[8:9]
	s_orn2_b64 vcc, vcc, exec
	s_branch .LBB6_252
.LBB6_257:                              ;   in Loop: Header=BB6_199 Depth=2
	s_or_b64 exec, exec, s[62:63]
	s_and_saveexec_b64 vcc, s[64:65]
	s_xor_b64 vcc, exec, vcc
	s_cbranch_execz .LBB6_259
; %bb.258:                              ;   in Loop: Header=BB6_199 Depth=2
	v_mov_b32_e32 v0, 1
	ds_write_b32 v0, v0
	s_trap 2
.LBB6_259:                              ;   in Loop: Header=BB6_199 Depth=2
	s_or_b64 exec, exec, s[60:61]
	;;#ASMSTART
	s_wakeup
	;;#ASMEND
.LBB6_260:                              ;   in Loop: Header=BB6_199 Depth=2
	s_or_b64 exec, exec, s[58:59]
.LBB6_261:                              ;   in Loop: Header=BB6_199 Depth=2
	s_andn2_saveexec_b64 vcc, s[34:35]
	s_cbranch_execz .LBB6_263
; %bb.262:                              ;   in Loop: Header=BB6_199 Depth=2
	;;#ASMSTART
	s_waitcnt lgkmcnt(0) vmcnt(0)
	;;#ASMEND
	s_barrier
.LBB6_263:                              ;   in Loop: Header=BB6_199 Depth=2
	s_or_b64 exec, exec, vcc
	v_and_b32_e32 v3, 16, v60
	s_or_b64 exec, exec, s[26:27]
	v_cmp_ne_u32_e32 vcc, 0, v3
	s_and_saveexec_b64 s[26:27], vcc
	s_cbranch_execz .LBB6_198
.LBB6_264:                              ;   in Loop: Header=BB6_199 Depth=2
	s_and_saveexec_b64 vcc, s[14:15]
	s_cbranch_execz .LBB6_197
; %bb.265:                              ;   in Loop: Header=BB6_199 Depth=2
	v_accvgpr_read_b32 v4, a24
	v_accvgpr_read_b32 v5, a25
	v_mov_b32_e32 v0, 1
	flat_store_dword v[4:5], v0
	s_branch .LBB6_197
.LBB6_266:                              ;   in Loop: Header=BB6_47 Depth=1
	s_or_b64 exec, exec, s[30:31]
.LBB6_267:                              ;   in Loop: Header=BB6_47 Depth=1
	s_or_b64 exec, exec, s[28:29]
	v_readlane_b32 s28, v61, 10
	v_readlane_b32 s29, v61, 11
	v_cndmask_b32_e64 v1, 0, 1, s[28:29]
	v_cmp_ne_u32_e64 s[26:27], 1, v1
	s_andn2_b64 vcc, exec, s[28:29]
	s_cbranch_vccnz .LBB6_2116
; %bb.268:                              ;   in Loop: Header=BB6_47 Depth=1
	s_mov_b32 s47, 2
	s_branch .LBB6_271
.LBB6_269:                              ;   in Loop: Header=BB6_271 Depth=2
	s_or_b64 exec, exec, s[34:35]
.LBB6_270:                              ;   in Loop: Header=BB6_271 Depth=2
	s_or_b64 exec, exec, s[30:31]
	s_add_i32 s47, s47, 1
	s_cmp_eq_u32 s47, s76
	s_cbranch_scc1 .LBB6_2116
.LBB6_271:                              ;   Parent Loop BB6_47 Depth=1
                                        ; =>  This Loop Header: Depth=2
                                        ;       Child Loop BB6_274 Depth 3
                                        ;         Child Loop BB6_282 Depth 4
                                        ;         Child Loop BB6_308 Depth 4
	;; [unrolled: 1-line block ×9, first 2 shown]
                                        ;       Child Loop BB6_2046 Depth 3
                                        ;         Child Loop BB6_2052 Depth 4
                                        ;         Child Loop BB6_2090 Depth 4
	;; [unrolled: 1-line block ×3, first 2 shown]
	s_sub_i32 s28, s82, s47
	s_cmp_le_i32 s76, s28
	s_cselect_b32 s29, s76, 0
	s_sub_i32 s28, s28, s29
	v_accvgpr_read_b32 v4, a52
	s_ashr_i32 s29, s28, 31
	v_accvgpr_read_b32 v5, a53
	v_mul_lo_u32 v1, v4, s29
	v_mul_lo_u32 v2, v5, s28
	v_mad_u64_u32 v[42:43], s[28:29], v4, s28, 0
	v_add3_u32 v43, v43, v1, v2
	v_accvgpr_read_b32 v0, a54
	v_accvgpr_read_b32 v1, a55
	v_sub_co_u32_e32 v2, vcc, v0, v42
	v_subb_co_u32_e32 v3, vcc, v1, v43, vcc
	v_cmp_lt_i64_e32 vcc, v[4:5], v[2:3]
	v_cndmask_b32_e32 v1, v2, v4, vcc
	v_max_i32_e32 v40, 0, v1
	v_add_u32_e32 v2, 31, v40
	v_lshrrev_b32_e32 v2, 1, v2
	v_and_b32_e32 v2, 0x3ffffff0, v2
	v_cmp_lt_i32_e32 vcc, 0, v1
	v_max_i32_e32 v2, s85, v2
	s_and_b64 s[28:29], s[50:51], vcc
	v_mov_b32_e32 v1, 0
	v_mov_b32_e32 v47, 0
	s_and_saveexec_b64 s[34:35], s[28:29]
	s_cbranch_execz .LBB6_2042
; %bb.272:                              ;   in Loop: Header=BB6_271 Depth=2
	v_accvgpr_write_b32 a59, v43
	s_mov_b32 s83, 1
	s_mov_b64 s[60:61], -1
	s_mov_b64 s[58:59], 0
	v_mov_b32_e32 v47, 0
	v_accvgpr_write_b32 a57, v40
	v_accvgpr_write_b32 a58, v42
	s_branch .LBB6_274
.LBB6_273:                              ;   in Loop: Header=BB6_274 Depth=3
	s_or_b64 exec, exec, s[28:29]
	v_add_u32_e32 v47, v2, v47
	v_cmp_ge_i32_e32 vcc, v47, v40
	s_xor_b64 s[28:29], s[60:61], -1
	s_or_b64 s[28:29], s[28:29], vcc
	s_and_b64 s[28:29], exec, s[28:29]
	s_or_b64 s[58:59], s[28:29], s[58:59]
	s_mov_b64 s[60:61], 0
	v_mov_b32_e32 v1, s83
	s_mov_b32 s83, 2
	s_andn2_b64 exec, exec, s[58:59]
	s_cbranch_execz .LBB6_2043
.LBB6_274:                              ;   Parent Loop BB6_47 Depth=1
                                        ;     Parent Loop BB6_271 Depth=2
                                        ; =>    This Loop Header: Depth=3
                                        ;         Child Loop BB6_282 Depth 4
                                        ;         Child Loop BB6_308 Depth 4
	;; [unrolled: 1-line block ×9, first 2 shown]
	s_and_saveexec_b64 s[28:29], s[4:5]
	s_cbranch_execz .LBB6_276
; %bb.275:                              ;   in Loop: Header=BB6_274 Depth=3
	s_trap 2
	ds_read_b64 v[4:5], v0
	v_accvgpr_read_b32 v0, a49
	v_mov_b32_e32 v26, v27
	s_waitcnt lgkmcnt(0)
	v_add_co_u32_e32 v1, vcc, v4, v0
	v_accvgpr_read_b32 v0, a56
	v_addc_co_u32_e32 v3, vcc, v5, v0, vcc
	v_add_co_u32_e32 v1, vcc, v1, v42
	v_addc_co_u32_e32 v3, vcc, v3, v43, vcc
	v_ashrrev_i32_e32 v5, 31, v47
	v_add_co_u32_e32 v4, vcc, v1, v47
	v_addc_co_u32_e32 v5, vcc, v3, v5, vcc
	ds_write_b64 v0, v[4:5]
	ds_write_b64 v0, v[26:27]
.LBB6_276:                              ;   in Loop: Header=BB6_274 Depth=3
	s_or_b64 exec, exec, s[28:29]
	v_and_b32_e32 v1, 12, v60
	v_cmp_ne_u32_e32 vcc, 0, v1
	s_mov_b64 s[30:31], -1
	s_and_saveexec_b64 s[28:29], vcc
	s_cbranch_execz .LBB6_288
; %bb.277:                              ;   in Loop: Header=BB6_274 Depth=3
	v_and_b32_e32 v4, 8, v60
	v_add_co_u32_e32 v6, vcc, v48, v4
	v_addc_co_u32_e32 v7, vcc, 0, v49, vcc
	v_accvgpr_read_b32 v8, a12
	v_accvgpr_read_b32 v9, a13
	v_add_co_u32_e32 v8, vcc, 2, v8
	v_addc_co_u32_e32 v9, vcc, 0, v9, vcc
	v_cmp_lt_u64_e32 vcc, v[6:7], v[8:9]
	v_mov_b32_e32 v1, 1
	s_and_saveexec_b64 s[30:31], vcc
	s_cbranch_execz .LBB6_287
; %bb.278:                              ;   in Loop: Header=BB6_274 Depth=3
	s_mov_b64 s[62:63], 0
	v_mov_b32_e32 v1, 0
                                        ; implicit-def: $sgpr64_sgpr65
	s_branch .LBB6_282
.LBB6_279:                              ;   in Loop: Header=BB6_282 Depth=4
	s_or_b64 exec, exec, s[72:73]
	v_mov_b32_e32 v3, 0
	s_orn2_b64 s[70:71], s[70:71], exec
.LBB6_280:                              ;   in Loop: Header=BB6_282 Depth=4
	s_or_b64 exec, exec, s[68:69]
	s_andn2_b64 vcc, s[64:65], exec
	s_and_b64 s[64:65], s[70:71], exec
	s_or_b64 s[64:65], vcc, s[64:65]
	v_mov_b32_e32 v1, v3
.LBB6_281:                              ;   in Loop: Header=BB6_282 Depth=4
	s_or_b64 exec, exec, s[66:67]
	s_waitcnt vmcnt(0) lgkmcnt(0)
	v_add_co_u32_e32 v6, vcc, v48, v4
	v_addc_co_u32_e32 v7, vcc, 0, v49, vcc
	v_cmp_ge_u64_e32 vcc, v[6:7], v[8:9]
	s_xor_b64 s[66:67], s[64:65], -1
	s_or_b64 vcc, s[66:67], vcc
	s_and_b64 vcc, exec, vcc
	s_or_b64 s[62:63], vcc, s[62:63]
	s_andn2_b64 exec, exec, s[62:63]
	s_cbranch_execz .LBB6_286
.LBB6_282:                              ;   Parent Loop BB6_47 Depth=1
                                        ;     Parent Loop BB6_271 Depth=2
                                        ;       Parent Loop BB6_274 Depth=3
                                        ; =>      This Inner Loop Header: Depth=4
	v_accvgpr_read_b32 v6, a18
	v_accvgpr_read_b32 v7, a19
	s_sleep 1
	flat_load_dwordx2 v[48:49], v[6:7] glc
	v_and_b32_e32 v3, 64, v60
	v_cmp_eq_u32_e32 vcc, 0, v3
	s_andn2_b64 s[64:65], s[64:65], exec
	s_and_saveexec_b64 s[66:67], vcc
	s_cbranch_execz .LBB6_281
; %bb.283:                              ;   in Loop: Header=BB6_282 Depth=4
	v_add_u32_e32 v3, 1, v1
	v_cmp_lt_i32_e32 vcc, s89, v1
	s_mov_b64 s[70:71], -1
	s_and_saveexec_b64 s[68:69], vcc
	s_cbranch_execz .LBB6_280
; %bb.284:                              ;   in Loop: Header=BB6_282 Depth=4
	s_trap 2
	ds_read_b64 v[6:7], v0
	s_waitcnt vmcnt(0) lgkmcnt(0)
	flat_load_dword v1, v[6:7] glc
	s_waitcnt vmcnt(0) lgkmcnt(0)
	buffer_invl2
	buffer_wbinvl1_vol
	v_cmp_ne_u32_e32 vcc, 0, v1
	s_and_saveexec_b64 s[72:73], vcc
	s_cbranch_execz .LBB6_279
; %bb.285:                              ;   in Loop: Header=BB6_282 Depth=4
	v_or_b32_e32 v60, 64, v60
	s_xor_b64 s[70:71], exec, -1
	ds_write_b32 v0, v1
	s_trap 2
	s_branch .LBB6_279
.LBB6_286:                              ;   in Loop: Header=BB6_274 Depth=3
	s_or_b64 exec, exec, s[62:63]
	v_and_b32_e32 v1, 12, v60
.LBB6_287:                              ;   in Loop: Header=BB6_274 Depth=3
	s_or_b64 exec, exec, s[30:31]
	v_cmp_eq_u32_e32 vcc, 0, v1
	s_orn2_b64 s[30:31], vcc, exec
	;;#ASMSTART
	s_wakeup
	;;#ASMEND
.LBB6_288:                              ;   in Loop: Header=BB6_274 Depth=3
	s_or_b64 exec, exec, s[28:29]
	v_sub_u32_e32 v1, v40, v47
	s_xor_b64 s[28:29], s[30:31], -1
	v_min_i32_e32 v2, v2, v1
	s_and_saveexec_b64 s[30:31], s[28:29]
	s_cbranch_execz .LBB6_300
; %bb.289:                              ;   in Loop: Header=BB6_274 Depth=3
	v_and_b32_e32 v1, 0x108, v60
	v_accvgpr_read_b32 v4, a12
	v_cmp_ne_u32_e32 vcc, s90, v1
	v_and_b32_e32 v4, 7, v4
	v_accvgpr_read_b32 v5, a13
	s_and_saveexec_b64 s[28:29], vcc
	s_xor_b64 s[28:29], exec, s[28:29]
	s_andn2_saveexec_b64 s[28:29], s[28:29]
	s_cbranch_execz .LBB6_291
; %bb.290:                              ;   in Loop: Header=BB6_274 Depth=3
	v_accvgpr_read_b32 v6, a14
	v_accvgpr_read_b32 v7, a15
	v_mad_u64_u32 v[6:7], vcc, v4, 24, v[6:7]
	v_ashrrev_i32_e32 v3, 31, v2
	flat_store_dwordx2 v[6:7], v[2:3] offset:8
.LBB6_291:                              ;   in Loop: Header=BB6_274 Depth=3
	s_or_b64 exec, exec, s[28:29]
	v_and_b32_e32 v1, 0x100, v60
	v_cmp_ne_u32_e32 vcc, 0, v1
	s_mov_b64 s[28:29], -1
                                        ; implicit-def: $vgpr8_vgpr9
	s_and_saveexec_b64 s[62:63], vcc
	s_cbranch_execz .LBB6_295
; %bb.292:                              ;   in Loop: Header=BB6_274 Depth=3
	v_accvgpr_read_b32 v6, a14
	v_accvgpr_read_b32 v7, a15
	v_mad_u64_u32 v[10:11], s[28:29], v4, 24, v[6:7]
	v_mov_b32_e32 v6, v11
	v_mad_u64_u32 v[6:7], s[28:29], v27, 24, v[6:7]
	v_mov_b32_e32 v11, v6
	flat_load_dword v1, v[10:11]
                                        ; implicit-def: $vgpr8_vgpr9
	s_waitcnt vmcnt(0) lgkmcnt(0)
	v_cmp_ne_u32_e32 vcc, 1, v1
	v_cmp_eq_u32_e64 s[28:29], 1, v1
	s_and_saveexec_b64 s[64:65], s[28:29]
	s_cbranch_execz .LBB6_294
; %bb.293:                              ;   in Loop: Header=BB6_274 Depth=3
	flat_load_dword v8, v[10:11] offset:4 glc
	s_waitcnt vmcnt(0) lgkmcnt(0)
	v_ashrrev_i32_e32 v9, 31, v8
.LBB6_294:                              ;   in Loop: Header=BB6_274 Depth=3
	s_or_b64 exec, exec, s[64:65]
	s_orn2_b64 s[28:29], vcc, exec
.LBB6_295:                              ;   in Loop: Header=BB6_274 Depth=3
	s_or_b64 exec, exec, s[62:63]
	s_and_saveexec_b64 vcc, s[28:29]
; %bb.296:                              ;   in Loop: Header=BB6_274 Depth=3
	v_accvgpr_read_b32 v6, a20
	v_accvgpr_read_b32 v3, a21
	v_mul_lo_u32 v1, v27, v6
	v_mul_lo_u32 v3, v4, v3
	v_mad_u64_u32 v[8:9], s[28:29], v4, v6, 0
	v_add3_u32 v9, v9, v3, v1
; %bb.297:                              ;   in Loop: Header=BB6_274 Depth=3
	s_or_b64 exec, exec, vcc
	v_accvgpr_read_b32 v4, a22
	v_accvgpr_read_b32 v5, a23
	v_add_co_u32_e32 v4, vcc, v4, v8
	v_addc_co_u32_e32 v5, vcc, v5, v9, vcc
	v_and_b32_e32 v1, 0x2000, v60
	v_cmp_ne_u32_e32 vcc, 0, v1
	s_trap 2
	ds_write_b64 v0, v[4:5]
	s_and_saveexec_b64 s[28:29], vcc
	s_cbranch_execz .LBB6_299
; %bb.298:                              ;   in Loop: Header=BB6_274 Depth=3
	ds_read_b64 v[4:5], v0 offset:584
	s_waitcnt lgkmcnt(0)
	v_add_co_u32_e32 v4, vcc, 1, v4
	v_addc_co_u32_e32 v5, vcc, 0, v5, vcc
	ds_write_b64 v0, v[4:5] offset:584
.LBB6_299:                              ;   in Loop: Header=BB6_274 Depth=3
	s_or_b64 exec, exec, s[28:29]
	v_accvgpr_read_b32 v4, a12
	v_accvgpr_read_b32 v5, a13
	v_add_co_u32_e32 v4, vcc, 2, v4
	v_addc_co_u32_e32 v5, vcc, 0, v5, vcc
	v_accvgpr_write_b32 a13, v5
	v_accvgpr_write_b32 a12, v4
.LBB6_300:                              ;   in Loop: Header=BB6_274 Depth=3
	s_or_b64 exec, exec, s[30:31]
	s_and_saveexec_b64 s[28:29], s[10:11]
	s_cbranch_execz .LBB6_319
; %bb.301:                              ;   in Loop: Header=BB6_274 Depth=3
	s_and_saveexec_b64 vcc, s[44:45]
	s_xor_b64 s[30:31], exec, vcc
	s_cbranch_execz .LBB6_316
; %bb.302:                              ;   in Loop: Header=BB6_274 Depth=3
	s_and_saveexec_b64 s[62:63], s[16:17]
	s_cbranch_execz .LBB6_315
; %bb.303:                              ;   in Loop: Header=BB6_274 Depth=3
	s_mov_b64 s[66:67], exec
	v_mbcnt_lo_u32_b32 v1, s66, 0
	v_mbcnt_hi_u32_b32 v1, s67, v1
	v_cmp_eq_u32_e32 vcc, 0, v1
	s_waitcnt vmcnt(0) lgkmcnt(0)
	buffer_wbinvl1_vol
	s_and_saveexec_b64 s[64:65], vcc
	s_cbranch_execz .LBB6_305
; %bb.304:                              ;   in Loop: Header=BB6_274 Depth=3
	s_bcnt1_i32_b64 vcc_lo, s[66:67]
	v_mov_b32_e32 v26, vcc_lo
	ds_add_u64 v0, v[26:27]
	s_trap 2
.LBB6_305:                              ;   in Loop: Header=BB6_274 Depth=3
	s_or_b64 exec, exec, s[64:65]
	s_trap 2
	ds_read_b64 v[4:5], v0
	v_accvgpr_read_b32 v6, a16
	v_accvgpr_read_b32 v0, a26
	;; [unrolled: 1-line block ×3, first 2 shown]
	v_add_co_u32_e32 v6, vcc, v6, v0
	v_addc_co_u32_e32 v7, vcc, 0, v7, vcc
	v_accvgpr_write_b32 a17, v7
	v_accvgpr_write_b32 a16, v6
	s_waitcnt lgkmcnt(0)
	v_cmp_lt_u64_e32 vcc, v[4:5], v[6:7]
	s_and_saveexec_b64 s[64:65], vcc
	s_cbranch_execz .LBB6_314
; %bb.306:                              ;   in Loop: Header=BB6_274 Depth=3
	s_mov_b32 s86, 0
	s_mov_b64 s[66:67], 0
                                        ; implicit-def: $sgpr68_sgpr69
                                        ; implicit-def: $sgpr70_sgpr71
	s_branch .LBB6_308
.LBB6_307:                              ;   in Loop: Header=BB6_308 Depth=4
	s_or_b64 exec, exec, s[74:75]
	s_and_b64 vcc, exec, vcc
	s_or_b64 s[66:67], vcc, s[66:67]
	s_andn2_b64 vcc, s[68:69], exec
	s_and_b64 s[68:69], s[70:71], exec
	s_or_b64 s[68:69], vcc, s[68:69]
	s_andn2_b64 exec, exec, s[66:67]
	s_cbranch_execz .LBB6_312
.LBB6_308:                              ;   Parent Loop BB6_47 Depth=1
                                        ;     Parent Loop BB6_271 Depth=2
                                        ;       Parent Loop BB6_274 Depth=3
                                        ; =>      This Inner Loop Header: Depth=4
	s_add_i32 s86, s86, 1
	s_cmpk_lg_i32 s86, 0x2710
	s_cselect_b64 s[72:73], -1, 0
	s_and_b64 vcc, exec, s[72:73]
                                        ; implicit-def: $sgpr74_sgpr75
	s_cbranch_vccnz .LBB6_310
; %bb.309:                              ;   in Loop: Header=BB6_308 Depth=4
	s_trap 2
	ds_read_b64 v[4:5], v0
	s_andn2_b64 s[72:73], s[72:73], exec
	s_mov_b32 s86, 0
	s_mov_b64 s[74:75], -1
	s_waitcnt lgkmcnt(0)
	flat_load_dword v1, v[4:5] glc
	s_waitcnt vmcnt(0) lgkmcnt(0)
	buffer_invl2
	buffer_wbinvl1_vol
	v_cmp_eq_u32_e32 vcc, 0, v1
	s_and_b64 vcc, vcc, exec
	s_or_b64 s[72:73], s[72:73], vcc
.LBB6_310:                              ;   in Loop: Header=BB6_308 Depth=4
	s_andn2_b64 s[70:71], s[70:71], exec
	s_and_b64 s[74:75], s[74:75], exec
	s_mov_b64 vcc, -1
	s_or_b64 s[70:71], s[70:71], s[74:75]
	s_and_saveexec_b64 s[74:75], s[72:73]
	s_cbranch_execz .LBB6_307
; %bb.311:                              ;   in Loop: Header=BB6_308 Depth=4
	s_sleep 1
	s_trap 2
	ds_read_b64 v[4:5], v0
	v_accvgpr_read_b32 v6, a16
	v_accvgpr_read_b32 v7, a17
	s_andn2_b64 s[70:71], s[70:71], exec
	s_waitcnt lgkmcnt(0)
	v_cmp_ge_u64_e32 vcc, v[4:5], v[6:7]
	s_orn2_b64 vcc, vcc, exec
	s_branch .LBB6_307
.LBB6_312:                              ;   in Loop: Header=BB6_274 Depth=3
	s_or_b64 exec, exec, s[66:67]
	s_and_saveexec_b64 vcc, s[68:69]
	s_xor_b64 vcc, exec, vcc
	s_cbranch_execz .LBB6_314
; %bb.313:                              ;   in Loop: Header=BB6_274 Depth=3
	v_mov_b32_e32 v0, 1
	ds_write_b32 v0, v0
	s_trap 2
.LBB6_314:                              ;   in Loop: Header=BB6_274 Depth=3
	s_or_b64 exec, exec, s[64:65]
	;;#ASMSTART
	s_wakeup
	;;#ASMEND
.LBB6_315:                              ;   in Loop: Header=BB6_274 Depth=3
	s_or_b64 exec, exec, s[62:63]
.LBB6_316:                              ;   in Loop: Header=BB6_274 Depth=3
	s_andn2_saveexec_b64 vcc, s[30:31]
	s_cbranch_execz .LBB6_318
; %bb.317:                              ;   in Loop: Header=BB6_274 Depth=3
	s_waitcnt vmcnt(0) lgkmcnt(0)
	buffer_wbinvl1_vol
	s_barrier
.LBB6_318:                              ;   in Loop: Header=BB6_274 Depth=3
	s_or_b64 exec, exec, vcc
.LBB6_319:                              ;   in Loop: Header=BB6_274 Depth=3
	s_or_b64 exec, exec, s[28:29]
	s_trap 2
	ds_read_b32 v1, v0
	v_and_b32_e32 v3, 0x4000, v60
	v_cmp_ne_u32_e32 vcc, 0, v3
	s_xor_b64 s[28:29], s[6:7], -1
	s_and_b64 vcc, s[28:29], vcc
	s_and_saveexec_b64 s[28:29], vcc
	s_cbranch_execz .LBB6_338
; %bb.320:                              ;   in Loop: Header=BB6_274 Depth=3
	s_and_saveexec_b64 vcc, s[44:45]
	s_xor_b64 s[30:31], exec, vcc
	s_cbranch_execz .LBB6_335
; %bb.321:                              ;   in Loop: Header=BB6_274 Depth=3
	s_and_saveexec_b64 s[62:63], s[16:17]
	s_cbranch_execz .LBB6_334
; %bb.322:                              ;   in Loop: Header=BB6_274 Depth=3
	s_mov_b64 s[66:67], exec
	v_mbcnt_lo_u32_b32 v3, s66, 0
	v_mbcnt_hi_u32_b32 v3, s67, v3
	v_cmp_eq_u32_e32 vcc, 0, v3
	s_waitcnt vmcnt(0) lgkmcnt(0)
	buffer_wbinvl1_vol
	s_and_saveexec_b64 s[64:65], vcc
	s_cbranch_execz .LBB6_324
; %bb.323:                              ;   in Loop: Header=BB6_274 Depth=3
	s_bcnt1_i32_b64 vcc_lo, s[66:67]
	v_mov_b32_e32 v26, vcc_lo
	ds_add_u64 v0, v[26:27]
	s_trap 2
.LBB6_324:                              ;   in Loop: Header=BB6_274 Depth=3
	s_or_b64 exec, exec, s[64:65]
	s_trap 2
	ds_read_b64 v[4:5], v0
	v_accvgpr_read_b32 v6, a16
	v_accvgpr_read_b32 v0, a26
	;; [unrolled: 1-line block ×3, first 2 shown]
	v_add_co_u32_e32 v6, vcc, v6, v0
	v_addc_co_u32_e32 v7, vcc, 0, v7, vcc
	v_accvgpr_write_b32 a17, v7
	v_accvgpr_write_b32 a16, v6
	s_waitcnt lgkmcnt(0)
	v_cmp_lt_u64_e32 vcc, v[4:5], v[6:7]
	s_and_saveexec_b64 s[64:65], vcc
	s_cbranch_execz .LBB6_333
; %bb.325:                              ;   in Loop: Header=BB6_274 Depth=3
	s_mov_b32 s86, 0
	s_mov_b64 s[66:67], 0
                                        ; implicit-def: $sgpr68_sgpr69
                                        ; implicit-def: $sgpr70_sgpr71
	s_branch .LBB6_327
.LBB6_326:                              ;   in Loop: Header=BB6_327 Depth=4
	s_or_b64 exec, exec, s[74:75]
	s_and_b64 vcc, exec, vcc
	s_or_b64 s[66:67], vcc, s[66:67]
	s_andn2_b64 vcc, s[68:69], exec
	s_and_b64 s[68:69], s[70:71], exec
	s_or_b64 s[68:69], vcc, s[68:69]
	s_andn2_b64 exec, exec, s[66:67]
	s_cbranch_execz .LBB6_331
.LBB6_327:                              ;   Parent Loop BB6_47 Depth=1
                                        ;     Parent Loop BB6_271 Depth=2
                                        ;       Parent Loop BB6_274 Depth=3
                                        ; =>      This Inner Loop Header: Depth=4
	s_add_i32 s86, s86, 1
	s_cmpk_lg_i32 s86, 0x2710
	s_cselect_b64 s[72:73], -1, 0
	s_and_b64 vcc, exec, s[72:73]
                                        ; implicit-def: $sgpr74_sgpr75
	s_cbranch_vccnz .LBB6_329
; %bb.328:                              ;   in Loop: Header=BB6_327 Depth=4
	s_trap 2
	ds_read_b64 v[4:5], v0
	s_andn2_b64 s[72:73], s[72:73], exec
	s_mov_b32 s86, 0
	s_mov_b64 s[74:75], -1
	s_waitcnt lgkmcnt(0)
	flat_load_dword v3, v[4:5] glc
	s_waitcnt vmcnt(0) lgkmcnt(0)
	buffer_invl2
	buffer_wbinvl1_vol
	v_cmp_eq_u32_e32 vcc, 0, v3
	s_and_b64 vcc, vcc, exec
	s_or_b64 s[72:73], s[72:73], vcc
.LBB6_329:                              ;   in Loop: Header=BB6_327 Depth=4
	s_andn2_b64 s[70:71], s[70:71], exec
	s_and_b64 s[74:75], s[74:75], exec
	s_mov_b64 vcc, -1
	s_or_b64 s[70:71], s[70:71], s[74:75]
	s_and_saveexec_b64 s[74:75], s[72:73]
	s_cbranch_execz .LBB6_326
; %bb.330:                              ;   in Loop: Header=BB6_327 Depth=4
	s_sleep 1
	s_trap 2
	ds_read_b64 v[4:5], v0
	v_accvgpr_read_b32 v6, a16
	v_accvgpr_read_b32 v7, a17
	s_andn2_b64 s[70:71], s[70:71], exec
	s_waitcnt lgkmcnt(0)
	v_cmp_ge_u64_e32 vcc, v[4:5], v[6:7]
	s_orn2_b64 vcc, vcc, exec
	s_branch .LBB6_326
.LBB6_331:                              ;   in Loop: Header=BB6_274 Depth=3
	s_or_b64 exec, exec, s[66:67]
	s_and_saveexec_b64 vcc, s[68:69]
	s_xor_b64 vcc, exec, vcc
	s_cbranch_execz .LBB6_333
; %bb.332:                              ;   in Loop: Header=BB6_274 Depth=3
	v_mov_b32_e32 v0, 1
	ds_write_b32 v0, v0
	s_trap 2
.LBB6_333:                              ;   in Loop: Header=BB6_274 Depth=3
	s_or_b64 exec, exec, s[64:65]
	;;#ASMSTART
	s_wakeup
	;;#ASMEND
.LBB6_334:                              ;   in Loop: Header=BB6_274 Depth=3
	s_or_b64 exec, exec, s[62:63]
.LBB6_335:                              ;   in Loop: Header=BB6_274 Depth=3
	s_andn2_saveexec_b64 vcc, s[30:31]
	s_cbranch_execz .LBB6_337
; %bb.336:                              ;   in Loop: Header=BB6_274 Depth=3
	s_waitcnt vmcnt(0) lgkmcnt(0)
	buffer_wbinvl1_vol
	s_barrier
.LBB6_337:                              ;   in Loop: Header=BB6_274 Depth=3
	s_or_b64 exec, exec, vcc
.LBB6_338:                              ;   in Loop: Header=BB6_274 Depth=3
	s_or_b64 exec, exec, s[28:29]
	s_trap 2
	ds_read_b64 v[4:5], v0
	v_mov_b32_e32 v44, 0
	s_waitcnt lgkmcnt(0)
	v_readfirstlane_b32 s28, v4
	v_readfirstlane_b32 s29, v5
	s_cmp_eq_u64 s[28:29], 0
	s_cselect_b64 s[28:29], -1, 0
	s_or_b64 s[28:29], s[28:29], s[28:29]
	s_and_b64 vcc, exec, s[28:29]
	s_cbranch_vccnz .LBB6_796
; %bb.339:                              ;   in Loop: Header=BB6_274 Depth=3
	s_mov_b64 s[30:31], -1
	s_and_saveexec_b64 s[28:29], s[22:23]
	s_cbranch_execz .LBB6_341
; %bb.340:                              ;   in Loop: Header=BB6_274 Depth=3
	ds_read_b32 v3, v0 offset:720
	s_waitcnt lgkmcnt(0)
	v_and_b32_e32 v3, 15, v3
	v_cmp_eq_u32_e32 vcc, 0, v3
	s_orn2_b64 s[30:31], vcc, exec
.LBB6_341:                              ;   in Loop: Header=BB6_274 Depth=3
	s_or_b64 exec, exec, s[28:29]
	s_and_saveexec_b64 s[28:29], s[20:21]
	s_cbranch_execz .LBB6_343
; %bb.342:                              ;   in Loop: Header=BB6_274 Depth=3
	ds_read_b32 v3, v0 offset:784
	s_waitcnt lgkmcnt(0)
	v_and_b32_e32 v3, 15, v3
	v_cmp_eq_u32_e32 vcc, 0, v3
	s_and_b64 vcc, s[30:31], vcc
	s_andn2_b64 s[30:31], s[30:31], exec
	s_and_b64 vcc, vcc, exec
	s_or_b64 s[30:31], s[30:31], vcc
.LBB6_343:                              ;   in Loop: Header=BB6_274 Depth=3
	s_or_b64 exec, exec, s[28:29]
	v_cmp_eq_u32_e32 vcc, 0, v1
	v_cndmask_b32_e32 v44, 0, v2, vcc
	s_xor_b64 vcc, s[30:31], -1
	v_cndmask_b32_e64 v1, 0, 1, vcc
	;;#ASMSTART
	;;#ASMEND
	v_mov_b32_e32 v6, 0
	s_mov_b64 s[28:29], -1
	v_cmp_ne_u32_e32 vcc, 0, v1
	v_mov_b32_e32 v7, v44
	v_mov_b32_e32 v14, v57
	v_accvgpr_read_b32 v1, a33
	s_cbranch_vccz .LBB6_801
; %bb.344:                              ;   in Loop: Header=BB6_274 Depth=3
	s_and_saveexec_b64 s[30:31], s[28:29]
	s_cbranch_execz .LBB6_2000
.LBB6_345:                              ;   in Loop: Header=BB6_274 Depth=3
	v_ashrrev_i32_e32 v3, 31, v7
	v_lshrrev_b32_e32 v3, 22, v3
	v_add_u32_e32 v3, v7, v3
	v_ashrrev_i32_e32 v4, 10, v3
	v_sub_u32_e32 v15, v4, v1
	v_ashrrev_i32_e32 v3, 31, v14
	v_cmp_lt_i32_e32 vcc, 0, v15
	v_lshrrev_b32_e32 v0, 26, v3
	s_and_saveexec_b64 s[62:63], vcc
	s_cbranch_execz .LBB6_1573
; %bb.346:                              ;   in Loop: Header=BB6_274 Depth=3
	s_trap 2
	ds_read_b128 v[8:11], v0
	ds_read_b64 v[12:13], v0
	v_add_u32_e32 v3, v14, v0
	v_and_b32_e32 v3, 0xffffffc0, v3
	v_sub_u32_e32 v3, v14, v3
	v_lshlrev_b32_e32 v1, 10, v1
	v_add3_u32 v1, v6, v3, v1
	v_accvgpr_write_b32 a62, v4
	v_ashrrev_i32_e32 v3, 31, v1
	s_waitcnt lgkmcnt(0)
	v_add_co_u32_e32 v4, vcc, v8, v1
	v_addc_co_u32_e32 v5, vcc, v9, v3, vcc
	v_add_co_u32_e32 v8, vcc, v10, v1
	v_addc_co_u32_e32 v9, vcc, v11, v3, vcc
	;; [unrolled: 2-line block ×3, first 2 shown]
	v_add_co_u32_e32 v10, vcc, v10, v1
	v_accvgpr_write_b32 a60, v44
	v_accvgpr_write_b32 a61, v0
	v_addc_co_u32_e32 v11, vcc, v11, v3, vcc
	s_mov_b64 s[64:65], 0
	s_branch .LBB6_348
.LBB6_347:                              ;   in Loop: Header=BB6_348 Depth=4
	s_or_b64 exec, exec, s[28:29]
	v_add_co_u32_e32 v32, vcc, 0xfffffc40, v10
	v_addc_co_u32_e32 v33, vcc, -1, v11, vcc
	flat_store_byte v[32:33], v18 glc slc
	v_add_co_u32_e32 v18, vcc, 0xfffffc80, v10
	v_addc_co_u32_e32 v19, vcc, -1, v11, vcc
	flat_store_byte v[18:19], v1 glc slc
	v_add_co_u32_e32 v18, vcc, 0xfffffcc0, v10
	v_addc_co_u32_e32 v19, vcc, -1, v11, vcc
	flat_store_byte v[18:19], v23 glc slc
	v_add_co_u32_e32 v18, vcc, 0xfffffd00, v10
	v_addc_co_u32_e32 v19, vcc, -1, v11, vcc
	flat_store_byte v[18:19], v28 glc slc
	v_add_co_u32_e32 v18, vcc, 0xfffffd40, v10
	v_addc_co_u32_e32 v19, vcc, -1, v11, vcc
	flat_store_byte v[18:19], v37 glc slc
	v_add_co_u32_e32 v18, vcc, 0xfffffd80, v10
	v_addc_co_u32_e32 v19, vcc, -1, v11, vcc
	flat_store_byte v[18:19], v52 glc slc
	v_add_co_u32_e32 v18, vcc, 0xfffffdc0, v10
	v_addc_co_u32_e32 v19, vcc, -1, v11, vcc
	flat_store_byte v[18:19], v41 glc slc
	v_add_co_u32_e32 v18, vcc, 0xfffffe00, v10
	v_addc_co_u32_e32 v19, vcc, -1, v11, vcc
	flat_store_byte v[18:19], v56 glc slc
	v_add_co_u32_e32 v18, vcc, 0xfffffe40, v10
	v_addc_co_u32_e32 v19, vcc, -1, v11, vcc
	flat_store_byte v[18:19], v57 glc slc
	v_add_co_u32_e32 v18, vcc, 0xfffffe80, v10
	v_addc_co_u32_e32 v19, vcc, -1, v11, vcc
	flat_store_byte v[18:19], v44 glc slc
	v_add_co_u32_e32 v18, vcc, 0xfffffec0, v10
	v_addc_co_u32_e32 v19, vcc, -1, v11, vcc
	flat_store_byte v[18:19], v16 glc slc
	v_add_co_u32_e32 v16, vcc, 0xffffff00, v10
	v_addc_co_u32_e32 v17, vcc, -1, v11, vcc
	flat_store_byte v[16:17], v38 glc slc
	v_add_co_u32_e32 v16, vcc, 0xffffff40, v10
	v_addc_co_u32_e32 v17, vcc, -1, v11, vcc
	flat_store_byte v[16:17], v3 glc slc
	v_add_co_u32_e32 v16, vcc, 0xffffff80, v10
	v_addc_co_u32_e32 v17, vcc, -1, v11, vcc
	flat_store_byte v[16:17], v24 glc slc
	v_add_co_u32_e32 v16, vcc, s78, v10
	v_addc_co_u32_e32 v17, vcc, -1, v11, vcc
	v_accvgpr_read_b32 v55, a43
	v_add_co_u32_e32 v4, vcc, v4, v55
	v_accvgpr_read_b32 v41, a44
	v_addc_co_u32_e32 v5, vcc, v5, v41, vcc
	v_add_co_u32_e32 v8, vcc, v8, v55
	v_accvgpr_read_b32 v0, a26
	v_addc_co_u32_e32 v9, vcc, v9, v41, vcc
	v_sub_u32_e32 v15, v15, v0
	v_cmp_gt_i32_e32 vcc, 1, v15
	flat_store_byte v[16:17], v21 glc slc
	flat_store_byte v[10:11], v13 glc slc
	s_or_b64 s[64:65], vcc, s[64:65]
	v_add_co_u32_e32 v10, vcc, v10, v55
	v_addc_co_u32_e32 v11, vcc, v11, v41, vcc
	s_andn2_b64 exec, exec, s[64:65]
	s_cbranch_execz .LBB6_1572
.LBB6_348:                              ;   Parent Loop BB6_47 Depth=1
                                        ;     Parent Loop BB6_271 Depth=2
                                        ;       Parent Loop BB6_274 Depth=3
                                        ; =>      This Inner Loop Header: Depth=4
	flat_load_ubyte v50, v[4:5] glc slc
	flat_load_ubyte v17, v[4:5] offset:64 glc slc
	flat_load_ubyte v29, v[4:5] offset:128 glc slc
	;; [unrolled: 1-line block ×15, first 2 shown]
	flat_load_ubyte v13, v[8:9] glc slc
	flat_load_ubyte v1, v[8:9] offset:64 glc slc
	flat_load_ubyte v23, v[8:9] offset:128 glc slc
	;; [unrolled: 1-line block ×15, first 2 shown]
	v_mov_b32_e32 v18, 0
	v_mov_b32_e32 v26, 0
	s_waitcnt vmcnt(0) lgkmcnt(0)
	v_cmp_ne_u16_e32 vcc, 0, v50
	s_and_saveexec_b64 s[28:29], vcc
	s_cbranch_execz .LBB6_354
; %bb.349:                              ;   in Loop: Header=BB6_348 Depth=4
	v_cmp_ne_u16_e32 vcc, s91, v50
	v_bfrev_b32_e32 v26, 1
	s_and_saveexec_b64 s[66:67], vcc
	s_cbranch_execz .LBB6_353
; %bb.350:                              ;   in Loop: Header=BB6_348 Depth=4
	v_and_b32_e32 v12, 0xffff, v50
	v_and_b32_e32 v51, 0x7f, v12
	v_cmp_ne_u32_e32 vcc, s92, v51
	v_mov_b32_e32 v26, 0x7f800001
	s_and_saveexec_b64 s[68:69], vcc
	s_cbranch_execz .LBB6_352
; %bb.351:                              ;   in Loop: Header=BB6_348 Depth=4
	v_and_b32_e32 v26, 7, v12
	v_ffbh_u32_e32 v32, v26
	v_min_u32_e32 v35, 32, v32
	v_subrev_u32_e32 v32, 28, v35
	v_lshlrev_b64 v[32:33], v32, v[12:13]
	v_lshrrev_b32_e32 v34, 3, v51
	v_sub_u32_e32 v12, 29, v35
	v_and_b32_e32 v32, 7, v32
	v_cmp_gt_u32_e32 vcc, 8, v51
	v_cndmask_b32_e32 v12, v34, v12, vcc
	v_cndmask_b32_e32 v26, v26, v32, vcc
	v_lshlrev_b32_e32 v32, 24, v50
	v_lshlrev_b32_e32 v26, 20, v26
	v_and_b32_e32 v32, 0x80000000, v32
	v_lshl_add_u32 v12, v12, 23, v31
	v_or3_b32 v26, v32, v12, v26
.LBB6_352:                              ;   in Loop: Header=BB6_348 Depth=4
	s_or_b64 exec, exec, s[68:69]
.LBB6_353:                              ;   in Loop: Header=BB6_348 Depth=4
	s_or_b64 exec, exec, s[66:67]
.LBB6_354:                              ;   in Loop: Header=BB6_348 Depth=4
	s_or_b64 exec, exec, s[28:29]
	v_and_b32_e32 v12, 0xff, v13
	v_cmp_ne_u16_e32 vcc, 0, v12
	s_and_saveexec_b64 s[28:29], vcc
	s_cbranch_execz .LBB6_360
; %bb.355:                              ;   in Loop: Header=BB6_348 Depth=4
	v_cmp_ne_u16_e32 vcc, s91, v12
	v_bfrev_b32_e32 v18, 1
	s_and_saveexec_b64 s[66:67], vcc
	s_cbranch_execz .LBB6_359
; %bb.356:                              ;   in Loop: Header=BB6_348 Depth=4
	v_and_b32_e32 v50, 0x7f, v13
	v_cmp_ne_u32_e32 vcc, s92, v50
	v_mov_b32_e32 v18, 0x7f800001
	s_and_saveexec_b64 s[68:69], vcc
	s_cbranch_execz .LBB6_358
; %bb.357:                              ;   in Loop: Header=BB6_348 Depth=4
	v_and_b32_e32 v18, 7, v12
	v_ffbh_u32_e32 v32, v18
	v_min_u32_e32 v35, 32, v32
	v_subrev_u32_e32 v32, 28, v35
	v_lshlrev_b64 v[32:33], v32, v[12:13]
	v_lshrrev_b32_e32 v34, 3, v50
	v_sub_u32_e32 v12, 29, v35
	v_and_b32_e32 v32, 7, v32
	v_cmp_gt_u32_e32 vcc, 8, v50
	v_cndmask_b32_e32 v12, v34, v12, vcc
	v_cndmask_b32_e32 v18, v18, v32, vcc
	v_lshlrev_b32_e32 v13, 24, v13
	v_lshlrev_b32_e32 v18, 20, v18
	v_and_b32_e32 v13, 0x80000000, v13
	v_lshl_add_u32 v12, v12, 23, v31
	v_or3_b32 v18, v13, v12, v18
.LBB6_358:                              ;   in Loop: Header=BB6_348 Depth=4
	s_or_b64 exec, exec, s[68:69]
.LBB6_359:                              ;   in Loop: Header=BB6_348 Depth=4
	s_or_b64 exec, exec, s[66:67]
.LBB6_360:                              ;   in Loop: Header=BB6_348 Depth=4
	s_or_b64 exec, exec, s[28:29]
	v_add_f32_e32 v12, v26, v18
	v_and_b32_sdwa v45, v12, s91 dst_sel:DWORD dst_unused:UNUSED_PAD src0_sel:BYTE_3 src1_sel:DWORD
	v_and_b32_e32 v32, 0x7f800000, v12
	v_mov_b32_e32 v33, v27
	v_and_b32_e32 v26, 0x7fffff, v12
	v_or_b32_e32 v18, 0x7e, v45
	v_cmp_ne_u64_e32 vcc, s[52:53], v[32:33]
	s_and_saveexec_b64 s[28:29], vcc
	s_xor_b64 s[66:67], exec, s[28:29]
	s_cbranch_execz .LBB6_374
; %bb.361:                              ;   in Loop: Header=BB6_348 Depth=4
	v_and_b32_e32 v32, 0x7fffffff, v12
	v_mov_b32_e32 v33, v27
	v_cmp_gt_u64_e32 vcc, s[54:55], v[32:33]
	s_and_saveexec_b64 s[28:29], vcc
	s_xor_b64 s[68:69], exec, s[28:29]
	s_cbranch_execz .LBB6_373
; %bb.362:                              ;   in Loop: Header=BB6_348 Depth=4
	v_cmp_ne_u32_e32 vcc, 0, v12
	v_mov_b32_e32 v18, 0
	s_and_saveexec_b64 s[70:71], vcc
	s_cbranch_execz .LBB6_372
; %bb.363:                              ;   in Loop: Header=BB6_348 Depth=4
	v_bfe_u32 v12, v12, 23, 8
	v_cmp_eq_u32_e32 vcc, 0, v12
	v_add_u32_e32 v13, 0xffffff81, v12
	v_cmp_gt_u32_e64 s[28:29], s93, v12
	v_sub_u32_e32 v12, 0x79, v12
	v_mov_b32_e32 v0, 0xffffff82
	v_cndmask_b32_e64 v12, 0, v12, s[28:29]
	v_cndmask_b32_e32 v34, v13, v0, vcc
	v_mov_b32_e32 v0, 0x78
	v_cndmask_b32_e32 v35, v12, v0, vcc
	v_add_u32_e32 v12, 20, v35
	v_or_b32_e32 v18, 0x800000, v26
	v_lshlrev_b64 v[12:13], v12, -1
	v_cndmask_b32_e32 v26, v18, v26, vcc
	v_not_b32_e32 v13, v13
	v_not_b32_e32 v12, v12
	v_add_u32_e32 v18, 19, v35
	v_and_b32_e32 v13, 0, v13
	v_and_b32_e32 v12, v26, v12
	v_lshlrev_b64 v[32:33], v18, 1
	v_cmp_eq_u64_e32 vcc, v[12:13], v[32:33]
	v_lshrrev_b64 v[12:13], v35, v[26:27]
	v_bfe_u32 v26, v12, 20, 1
	v_add_u32_e32 v26, -1, v26
	v_cndmask_b32_e32 v26, 0, v26, vcc
	v_add_u32_e32 v26, v26, v12
	v_lshrrev_b32_e32 v18, 23, v12
	v_and_b32_e32 v26, 0xfffff, v26
	v_add3_u32 v50, v35, v34, v18
	v_add_co_u32_e32 v12, vcc, v26, v12
	v_add_u32_e32 v18, 6, v50
	v_addc_co_u32_e32 v13, vcc, 0, v13, vcc
	v_cmp_ne_u32_e32 vcc, 0, v18
                                        ; implicit-def: $vgpr26
	s_and_saveexec_b64 s[28:29], vcc
	s_xor_b64 s[28:29], exec, s[28:29]
; %bb.364:                              ;   in Loop: Header=BB6_348 Depth=4
	v_add_u32_e32 v26, 7, v50
	v_cmp_lt_u64_e32 vcc, s[56:57], v[12:13]
	v_cndmask_b32_e32 v26, v18, v26, vcc
	v_cndmask_b32_e64 v18, 0, 1, vcc
	v_lshrrev_b64 v[12:13], v18, v[12:13]
; %bb.365:                              ;   in Loop: Header=BB6_348 Depth=4
	s_andn2_saveexec_b64 s[28:29], s[28:29]
; %bb.366:                              ;   in Loop: Header=BB6_348 Depth=4
	v_bfe_u32 v26, v12, 23, 1
; %bb.367:                              ;   in Loop: Header=BB6_348 Depth=4
	s_or_b64 exec, exec, s[28:29]
	v_lshrrev_b64 v[12:13], 20, v[12:13]
	v_cmp_gt_i32_e32 vcc, 16, v26
	v_cndmask_b32_e32 v13, 0, v13, vcc
	v_cndmask_b32_e32 v12, 7, v12, vcc
	v_cmp_ne_u32_e32 vcc, 0, v26
	v_cmp_ne_u64_e64 s[28:29], 0, v[12:13]
	s_or_b64 s[28:29], vcc, s[28:29]
                                        ; implicit-def: $vgpr18
	s_and_saveexec_b64 vcc, s[28:29]
	s_xor_b64 s[28:29], exec, vcc
; %bb.368:                              ;   in Loop: Header=BB6_348 Depth=4
	v_min_i32_e32 v13, 15, v26
	v_lshl_or_b32 v13, v13, 3, v45
	v_and_or_b32 v18, v12, 7, v13
                                        ; implicit-def: $vgpr45
; %bb.369:                              ;   in Loop: Header=BB6_348 Depth=4
	s_andn2_saveexec_b64 s[28:29], s[28:29]
; %bb.370:                              ;   in Loop: Header=BB6_348 Depth=4
	v_mov_b32_e32 v18, v45
; %bb.371:                              ;   in Loop: Header=BB6_348 Depth=4
	s_or_b64 exec, exec, s[28:29]
.LBB6_372:                              ;   in Loop: Header=BB6_348 Depth=4
	s_or_b64 exec, exec, s[70:71]
.LBB6_373:                              ;   in Loop: Header=BB6_348 Depth=4
	s_andn2_saveexec_b64 s[28:29], s[68:69]
	s_or_b64 exec, exec, s[28:29]
                                        ; implicit-def: $vgpr12
.LBB6_374:                              ;   in Loop: Header=BB6_348 Depth=4
	s_andn2_saveexec_b64 s[28:29], s[66:67]
; %bb.375:                              ;   in Loop: Header=BB6_348 Depth=4
	v_or_b32_sdwa v12, v12, s92 dst_sel:DWORD dst_unused:UNUSED_PAD src0_sel:BYTE_3 src1_sel:DWORD
	v_cmp_eq_u64_e32 vcc, 0, v[26:27]
	v_cndmask_b32_e32 v18, v12, v18, vcc
; %bb.376:                              ;   in Loop: Header=BB6_348 Depth=4
	s_or_b64 exec, exec, s[28:29]
	v_and_b32_e32 v12, 0xff, v17
	v_cmp_ne_u16_e32 vcc, 0, v12
	v_mov_b32_e32 v13, 0
	v_mov_b32_e32 v26, 0
	s_and_saveexec_b64 s[28:29], vcc
	s_cbranch_execz .LBB6_382
; %bb.377:                              ;   in Loop: Header=BB6_348 Depth=4
	v_cmp_ne_u16_e32 vcc, s91, v12
	v_bfrev_b32_e32 v26, 1
	s_and_saveexec_b64 s[66:67], vcc
	s_cbranch_execz .LBB6_381
; %bb.378:                              ;   in Loop: Header=BB6_348 Depth=4
	v_and_b32_e32 v50, 0x7f, v17
	v_cmp_ne_u32_e32 vcc, s92, v50
	v_mov_b32_e32 v26, 0x7f800001
	s_and_saveexec_b64 s[68:69], vcc
	s_cbranch_execz .LBB6_380
; %bb.379:                              ;   in Loop: Header=BB6_348 Depth=4
	v_and_b32_e32 v26, 7, v12
	v_ffbh_u32_e32 v32, v26
	v_min_u32_e32 v35, 32, v32
	v_subrev_u32_e32 v32, 28, v35
	v_lshlrev_b64 v[32:33], v32, v[12:13]
	v_lshrrev_b32_e32 v34, 3, v50
	v_sub_u32_e32 v12, 29, v35
	v_and_b32_e32 v32, 7, v32
	v_cmp_gt_u32_e32 vcc, 8, v50
	v_cndmask_b32_e32 v12, v34, v12, vcc
	v_cndmask_b32_e32 v26, v26, v32, vcc
	v_lshlrev_b32_e32 v17, 24, v17
	v_lshlrev_b32_e32 v26, 20, v26
	v_and_b32_e32 v17, 0x80000000, v17
	v_lshl_add_u32 v12, v12, 23, v31
	v_or3_b32 v26, v17, v12, v26
.LBB6_380:                              ;   in Loop: Header=BB6_348 Depth=4
	s_or_b64 exec, exec, s[68:69]
.LBB6_381:                              ;   in Loop: Header=BB6_348 Depth=4
	s_or_b64 exec, exec, s[66:67]
.LBB6_382:                              ;   in Loop: Header=BB6_348 Depth=4
	s_or_b64 exec, exec, s[28:29]
	v_and_b32_e32 v12, 0xff, v1
	v_cmp_ne_u16_e32 vcc, 0, v12
	s_and_saveexec_b64 s[28:29], vcc
	s_cbranch_execz .LBB6_388
; %bb.383:                              ;   in Loop: Header=BB6_348 Depth=4
	v_cmp_ne_u16_e32 vcc, s91, v12
	v_bfrev_b32_e32 v13, 1
	s_and_saveexec_b64 s[66:67], vcc
	s_cbranch_execz .LBB6_387
; %bb.384:                              ;   in Loop: Header=BB6_348 Depth=4
	v_and_b32_e32 v17, 0x7f, v1
	v_cmp_ne_u32_e32 vcc, s92, v17
	v_mov_b32_e32 v13, 0x7f800001
	s_and_saveexec_b64 s[68:69], vcc
	s_cbranch_execz .LBB6_386
; %bb.385:                              ;   in Loop: Header=BB6_348 Depth=4
	v_and_b32_e32 v32, 7, v12
	v_ffbh_u32_e32 v13, v32
	v_min_u32_e32 v34, 32, v13
	v_subrev_u32_e32 v13, 28, v34
	v_lshlrev_b64 v[12:13], v13, v[12:13]
	v_lshrrev_b32_e32 v33, 3, v17
	v_sub_u32_e32 v13, 29, v34
	v_and_b32_e32 v12, 7, v12
	v_cmp_gt_u32_e32 vcc, 8, v17
	v_cndmask_b32_e32 v13, v33, v13, vcc
	v_cndmask_b32_e32 v12, v32, v12, vcc
	v_lshlrev_b32_e32 v1, 24, v1
	v_lshlrev_b32_e32 v12, 20, v12
	v_and_b32_e32 v1, 0x80000000, v1
	v_lshl_add_u32 v13, v13, 23, v31
	v_or3_b32 v13, v1, v13, v12
.LBB6_386:                              ;   in Loop: Header=BB6_348 Depth=4
	s_or_b64 exec, exec, s[68:69]
.LBB6_387:                              ;   in Loop: Header=BB6_348 Depth=4
	s_or_b64 exec, exec, s[66:67]
.LBB6_388:                              ;   in Loop: Header=BB6_348 Depth=4
	s_or_b64 exec, exec, s[28:29]
	v_add_f32_e32 v12, v26, v13
	v_and_b32_sdwa v17, v12, s91 dst_sel:DWORD dst_unused:UNUSED_PAD src0_sel:BYTE_3 src1_sel:DWORD
	v_and_b32_e32 v32, 0x7f800000, v12
	v_mov_b32_e32 v33, v27
	v_and_b32_e32 v26, 0x7fffff, v12
	v_or_b32_e32 v1, 0x7e, v17
	v_cmp_ne_u64_e32 vcc, s[52:53], v[32:33]
	s_and_saveexec_b64 s[28:29], vcc
	s_xor_b64 s[66:67], exec, s[28:29]
	s_cbranch_execz .LBB6_402
; %bb.389:                              ;   in Loop: Header=BB6_348 Depth=4
	v_and_b32_e32 v32, 0x7fffffff, v12
	v_mov_b32_e32 v33, v27
	v_cmp_gt_u64_e32 vcc, s[54:55], v[32:33]
	s_and_saveexec_b64 s[28:29], vcc
	s_xor_b64 s[68:69], exec, s[28:29]
	s_cbranch_execz .LBB6_401
; %bb.390:                              ;   in Loop: Header=BB6_348 Depth=4
	v_cmp_ne_u32_e32 vcc, 0, v12
	v_mov_b32_e32 v1, 0
	s_and_saveexec_b64 s[70:71], vcc
	s_cbranch_execz .LBB6_400
; %bb.391:                              ;   in Loop: Header=BB6_348 Depth=4
	v_bfe_u32 v1, v12, 23, 8
	v_cmp_eq_u32_e32 vcc, 0, v1
	v_add_u32_e32 v12, 0xffffff81, v1
	v_cmp_gt_u32_e64 s[28:29], s93, v1
	v_sub_u32_e32 v1, 0x79, v1
	v_mov_b32_e32 v0, 0xffffff82
	v_cndmask_b32_e64 v1, 0, v1, s[28:29]
	v_cndmask_b32_e32 v34, v12, v0, vcc
	v_mov_b32_e32 v0, 0x78
	v_cndmask_b32_e32 v1, v1, v0, vcc
	v_or_b32_e32 v13, 0x800000, v26
	v_add_u32_e32 v12, 20, v1
	v_cndmask_b32_e32 v26, v13, v26, vcc
	v_lshlrev_b64 v[12:13], v12, -1
	v_not_b32_e32 v13, v13
	v_not_b32_e32 v12, v12
	v_add_u32_e32 v32, 19, v1
	v_and_b32_e32 v13, 0, v13
	v_and_b32_e32 v12, v26, v12
	v_lshlrev_b64 v[32:33], v32, 1
	v_cmp_eq_u64_e32 vcc, v[12:13], v[32:33]
	v_lshrrev_b64 v[12:13], v1, v[26:27]
	v_lshrrev_b32_e32 v26, 23, v12
	v_add3_u32 v50, v1, v34, v26
	v_bfe_u32 v26, v12, 20, 1
	v_add_u32_e32 v26, -1, v26
	v_cndmask_b32_e32 v26, 0, v26, vcc
	v_add_u32_e32 v26, v26, v12
	v_and_b32_e32 v26, 0xfffff, v26
	v_add_co_u32_e32 v12, vcc, v26, v12
	v_add_u32_e32 v1, 6, v50
	v_addc_co_u32_e32 v13, vcc, 0, v13, vcc
	v_cmp_ne_u32_e32 vcc, 0, v1
                                        ; implicit-def: $vgpr26
	s_and_saveexec_b64 s[28:29], vcc
	s_xor_b64 s[28:29], exec, s[28:29]
; %bb.392:                              ;   in Loop: Header=BB6_348 Depth=4
	v_add_u32_e32 v26, 7, v50
	v_cmp_lt_u64_e32 vcc, s[56:57], v[12:13]
	v_cndmask_b32_e32 v26, v1, v26, vcc
	v_cndmask_b32_e64 v1, 0, 1, vcc
	v_lshrrev_b64 v[12:13], v1, v[12:13]
; %bb.393:                              ;   in Loop: Header=BB6_348 Depth=4
	s_andn2_saveexec_b64 s[28:29], s[28:29]
; %bb.394:                              ;   in Loop: Header=BB6_348 Depth=4
	v_bfe_u32 v26, v12, 23, 1
; %bb.395:                              ;   in Loop: Header=BB6_348 Depth=4
	s_or_b64 exec, exec, s[28:29]
	v_lshrrev_b64 v[12:13], 20, v[12:13]
	v_cmp_gt_i32_e32 vcc, 16, v26
	v_cndmask_b32_e32 v13, 0, v13, vcc
	v_cndmask_b32_e32 v12, 7, v12, vcc
	v_cmp_ne_u32_e32 vcc, 0, v26
	v_cmp_ne_u64_e64 s[28:29], 0, v[12:13]
	s_or_b64 s[28:29], vcc, s[28:29]
                                        ; implicit-def: $vgpr1
	s_and_saveexec_b64 vcc, s[28:29]
	s_xor_b64 s[28:29], exec, vcc
; %bb.396:                              ;   in Loop: Header=BB6_348 Depth=4
	v_min_i32_e32 v1, 15, v26
	v_lshl_or_b32 v1, v1, 3, v17
	v_and_or_b32 v1, v12, 7, v1
                                        ; implicit-def: $vgpr17
; %bb.397:                              ;   in Loop: Header=BB6_348 Depth=4
	s_andn2_saveexec_b64 s[28:29], s[28:29]
; %bb.398:                              ;   in Loop: Header=BB6_348 Depth=4
	v_mov_b32_e32 v1, v17
; %bb.399:                              ;   in Loop: Header=BB6_348 Depth=4
	s_or_b64 exec, exec, s[28:29]
.LBB6_400:                              ;   in Loop: Header=BB6_348 Depth=4
	s_or_b64 exec, exec, s[70:71]
.LBB6_401:                              ;   in Loop: Header=BB6_348 Depth=4
	s_andn2_saveexec_b64 s[28:29], s[68:69]
	s_or_b64 exec, exec, s[28:29]
                                        ; implicit-def: $vgpr12
.LBB6_402:                              ;   in Loop: Header=BB6_348 Depth=4
	s_andn2_saveexec_b64 s[28:29], s[66:67]
; %bb.403:                              ;   in Loop: Header=BB6_348 Depth=4
	v_or_b32_sdwa v12, v12, s92 dst_sel:DWORD dst_unused:UNUSED_PAD src0_sel:BYTE_3 src1_sel:DWORD
	v_cmp_eq_u64_e32 vcc, 0, v[26:27]
	v_cndmask_b32_e32 v1, v12, v1, vcc
; %bb.404:                              ;   in Loop: Header=BB6_348 Depth=4
	s_or_b64 exec, exec, s[28:29]
	v_and_b32_e32 v12, 0xff, v29
	v_cmp_ne_u16_e32 vcc, 0, v12
	v_mov_b32_e32 v13, 0
	v_mov_b32_e32 v17, 0
	s_and_saveexec_b64 s[28:29], vcc
	s_cbranch_execz .LBB6_410
; %bb.405:                              ;   in Loop: Header=BB6_348 Depth=4
	v_cmp_ne_u16_e32 vcc, s91, v12
	v_bfrev_b32_e32 v17, 1
	s_and_saveexec_b64 s[66:67], vcc
	s_cbranch_execz .LBB6_409
; %bb.406:                              ;   in Loop: Header=BB6_348 Depth=4
	v_and_b32_e32 v26, 0x7f, v29
	v_cmp_ne_u32_e32 vcc, s92, v26
	v_mov_b32_e32 v17, 0x7f800001
	s_and_saveexec_b64 s[68:69], vcc
	s_cbranch_execz .LBB6_408
; %bb.407:                              ;   in Loop: Header=BB6_348 Depth=4
	v_and_b32_e32 v17, 7, v12
	v_ffbh_u32_e32 v32, v17
	v_min_u32_e32 v35, 32, v32
	v_subrev_u32_e32 v32, 28, v35
	v_lshlrev_b64 v[32:33], v32, v[12:13]
	v_lshrrev_b32_e32 v34, 3, v26
	v_sub_u32_e32 v12, 29, v35
	v_and_b32_e32 v32, 7, v32
	v_cmp_gt_u32_e32 vcc, 8, v26
	v_cndmask_b32_e32 v12, v34, v12, vcc
	v_cndmask_b32_e32 v17, v17, v32, vcc
	v_lshlrev_b32_e32 v26, 24, v29
	v_lshlrev_b32_e32 v17, 20, v17
	v_and_b32_e32 v26, 0x80000000, v26
	v_lshl_add_u32 v12, v12, 23, v31
	v_or3_b32 v17, v26, v12, v17
.LBB6_408:                              ;   in Loop: Header=BB6_348 Depth=4
	s_or_b64 exec, exec, s[68:69]
.LBB6_409:                              ;   in Loop: Header=BB6_348 Depth=4
	s_or_b64 exec, exec, s[66:67]
.LBB6_410:                              ;   in Loop: Header=BB6_348 Depth=4
	s_or_b64 exec, exec, s[28:29]
	v_and_b32_e32 v12, 0xff, v23
	v_cmp_ne_u16_e32 vcc, 0, v12
	s_and_saveexec_b64 s[28:29], vcc
	s_cbranch_execz .LBB6_416
; %bb.411:                              ;   in Loop: Header=BB6_348 Depth=4
	v_cmp_ne_u16_e32 vcc, s91, v12
	v_bfrev_b32_e32 v13, 1
	s_and_saveexec_b64 s[66:67], vcc
	s_cbranch_execz .LBB6_415
; %bb.412:                              ;   in Loop: Header=BB6_348 Depth=4
	v_and_b32_e32 v26, 0x7f, v23
	v_cmp_ne_u32_e32 vcc, s92, v26
	v_mov_b32_e32 v13, 0x7f800001
	s_and_saveexec_b64 s[68:69], vcc
	s_cbranch_execz .LBB6_414
; %bb.413:                              ;   in Loop: Header=BB6_348 Depth=4
	v_and_b32_e32 v29, 7, v12
	v_ffbh_u32_e32 v13, v29
	v_min_u32_e32 v33, 32, v13
	v_subrev_u32_e32 v13, 28, v33
	v_lshlrev_b64 v[12:13], v13, v[12:13]
	v_lshrrev_b32_e32 v32, 3, v26
	v_sub_u32_e32 v13, 29, v33
	v_and_b32_e32 v12, 7, v12
	v_cmp_gt_u32_e32 vcc, 8, v26
	v_cndmask_b32_e32 v13, v32, v13, vcc
	v_cndmask_b32_e32 v12, v29, v12, vcc
	v_lshlrev_b32_e32 v23, 24, v23
	v_lshlrev_b32_e32 v12, 20, v12
	v_and_b32_e32 v23, 0x80000000, v23
	v_lshl_add_u32 v13, v13, 23, v31
	v_or3_b32 v13, v23, v13, v12
.LBB6_414:                              ;   in Loop: Header=BB6_348 Depth=4
	s_or_b64 exec, exec, s[68:69]
.LBB6_415:                              ;   in Loop: Header=BB6_348 Depth=4
	s_or_b64 exec, exec, s[66:67]
.LBB6_416:                              ;   in Loop: Header=BB6_348 Depth=4
	s_or_b64 exec, exec, s[28:29]
	v_add_f32_e32 v12, v17, v13
	v_and_b32_sdwa v17, v12, s91 dst_sel:DWORD dst_unused:UNUSED_PAD src0_sel:BYTE_3 src1_sel:DWORD
	v_and_b32_e32 v32, 0x7f800000, v12
	v_mov_b32_e32 v33, v27
	v_and_b32_e32 v26, 0x7fffff, v12
	v_or_b32_e32 v23, 0x7e, v17
	v_cmp_ne_u64_e32 vcc, s[52:53], v[32:33]
	s_and_saveexec_b64 s[28:29], vcc
	s_xor_b64 s[66:67], exec, s[28:29]
	s_cbranch_execz .LBB6_430
; %bb.417:                              ;   in Loop: Header=BB6_348 Depth=4
	v_and_b32_e32 v32, 0x7fffffff, v12
	v_mov_b32_e32 v33, v27
	v_cmp_gt_u64_e32 vcc, s[54:55], v[32:33]
	s_and_saveexec_b64 s[28:29], vcc
	s_xor_b64 s[68:69], exec, s[28:29]
	s_cbranch_execz .LBB6_429
; %bb.418:                              ;   in Loop: Header=BB6_348 Depth=4
	v_cmp_ne_u32_e32 vcc, 0, v12
	v_mov_b32_e32 v23, 0
	s_and_saveexec_b64 s[70:71], vcc
	s_cbranch_execz .LBB6_428
; %bb.419:                              ;   in Loop: Header=BB6_348 Depth=4
	v_bfe_u32 v12, v12, 23, 8
	v_cmp_eq_u32_e32 vcc, 0, v12
	v_add_u32_e32 v13, 0xffffff81, v12
	v_cmp_gt_u32_e64 s[28:29], s93, v12
	v_sub_u32_e32 v12, 0x79, v12
	v_mov_b32_e32 v0, 0xffffff82
	v_cndmask_b32_e64 v12, 0, v12, s[28:29]
	v_cndmask_b32_e32 v29, v13, v0, vcc
	v_mov_b32_e32 v0, 0x78
	v_cndmask_b32_e32 v34, v12, v0, vcc
	v_add_u32_e32 v12, 20, v34
	v_or_b32_e32 v23, 0x800000, v26
	v_lshlrev_b64 v[12:13], v12, -1
	v_cndmask_b32_e32 v26, v23, v26, vcc
	v_not_b32_e32 v13, v13
	v_not_b32_e32 v12, v12
	v_add_u32_e32 v23, 19, v34
	v_and_b32_e32 v13, 0, v13
	v_and_b32_e32 v12, v26, v12
	v_lshlrev_b64 v[32:33], v23, 1
	v_cmp_eq_u64_e32 vcc, v[12:13], v[32:33]
	v_lshrrev_b64 v[12:13], v34, v[26:27]
	v_bfe_u32 v26, v12, 20, 1
	v_add_u32_e32 v26, -1, v26
	v_cndmask_b32_e32 v26, 0, v26, vcc
	v_add_u32_e32 v26, v26, v12
	v_lshrrev_b32_e32 v23, 23, v12
	v_and_b32_e32 v26, 0xfffff, v26
	v_add3_u32 v29, v34, v29, v23
	v_add_co_u32_e32 v12, vcc, v26, v12
	v_add_u32_e32 v23, 6, v29
	v_addc_co_u32_e32 v13, vcc, 0, v13, vcc
	v_cmp_ne_u32_e32 vcc, 0, v23
                                        ; implicit-def: $vgpr26
	s_and_saveexec_b64 s[28:29], vcc
	s_xor_b64 s[28:29], exec, s[28:29]
; %bb.420:                              ;   in Loop: Header=BB6_348 Depth=4
	v_add_u32_e32 v26, 7, v29
	v_cmp_lt_u64_e32 vcc, s[56:57], v[12:13]
	v_cndmask_b32_e32 v26, v23, v26, vcc
	v_cndmask_b32_e64 v23, 0, 1, vcc
	v_lshrrev_b64 v[12:13], v23, v[12:13]
; %bb.421:                              ;   in Loop: Header=BB6_348 Depth=4
	s_andn2_saveexec_b64 s[28:29], s[28:29]
; %bb.422:                              ;   in Loop: Header=BB6_348 Depth=4
	v_bfe_u32 v26, v12, 23, 1
; %bb.423:                              ;   in Loop: Header=BB6_348 Depth=4
	s_or_b64 exec, exec, s[28:29]
	v_lshrrev_b64 v[12:13], 20, v[12:13]
	v_cmp_gt_i32_e32 vcc, 16, v26
	v_cndmask_b32_e32 v13, 0, v13, vcc
	v_cndmask_b32_e32 v12, 7, v12, vcc
	v_cmp_ne_u32_e32 vcc, 0, v26
	v_cmp_ne_u64_e64 s[28:29], 0, v[12:13]
	s_or_b64 s[28:29], vcc, s[28:29]
                                        ; implicit-def: $vgpr23
	s_and_saveexec_b64 vcc, s[28:29]
	s_xor_b64 s[28:29], exec, vcc
; %bb.424:                              ;   in Loop: Header=BB6_348 Depth=4
	v_min_i32_e32 v13, 15, v26
	v_lshl_or_b32 v13, v13, 3, v17
	v_and_or_b32 v23, v12, 7, v13
                                        ; implicit-def: $vgpr17
; %bb.425:                              ;   in Loop: Header=BB6_348 Depth=4
	s_andn2_saveexec_b64 s[28:29], s[28:29]
; %bb.426:                              ;   in Loop: Header=BB6_348 Depth=4
	v_mov_b32_e32 v23, v17
; %bb.427:                              ;   in Loop: Header=BB6_348 Depth=4
	s_or_b64 exec, exec, s[28:29]
.LBB6_428:                              ;   in Loop: Header=BB6_348 Depth=4
	s_or_b64 exec, exec, s[70:71]
.LBB6_429:                              ;   in Loop: Header=BB6_348 Depth=4
	s_andn2_saveexec_b64 s[28:29], s[68:69]
	s_or_b64 exec, exec, s[28:29]
                                        ; implicit-def: $vgpr12
.LBB6_430:                              ;   in Loop: Header=BB6_348 Depth=4
	s_andn2_saveexec_b64 s[28:29], s[66:67]
; %bb.431:                              ;   in Loop: Header=BB6_348 Depth=4
	v_or_b32_sdwa v12, v12, s92 dst_sel:DWORD dst_unused:UNUSED_PAD src0_sel:BYTE_3 src1_sel:DWORD
	v_cmp_eq_u64_e32 vcc, 0, v[26:27]
	v_cndmask_b32_e32 v23, v12, v23, vcc
; %bb.432:                              ;   in Loop: Header=BB6_348 Depth=4
	s_or_b64 exec, exec, s[28:29]
	v_and_b32_e32 v12, 0xff, v43
	v_cmp_ne_u16_e32 vcc, 0, v12
	v_mov_b32_e32 v13, 0
	v_mov_b32_e32 v17, 0
	s_and_saveexec_b64 s[28:29], vcc
	s_cbranch_execz .LBB6_438
; %bb.433:                              ;   in Loop: Header=BB6_348 Depth=4
	v_cmp_ne_u16_e32 vcc, s91, v12
	v_bfrev_b32_e32 v17, 1
	s_and_saveexec_b64 s[66:67], vcc
	s_cbranch_execz .LBB6_437
; %bb.434:                              ;   in Loop: Header=BB6_348 Depth=4
	v_and_b32_e32 v26, 0x7f, v43
	v_cmp_ne_u32_e32 vcc, s92, v26
	v_mov_b32_e32 v17, 0x7f800001
	s_and_saveexec_b64 s[68:69], vcc
	s_cbranch_execz .LBB6_436
; %bb.435:                              ;   in Loop: Header=BB6_348 Depth=4
	v_and_b32_e32 v17, 7, v12
	v_ffbh_u32_e32 v32, v17
	v_min_u32_e32 v34, 32, v32
	v_subrev_u32_e32 v32, 28, v34
	v_lshlrev_b64 v[32:33], v32, v[12:13]
	v_lshrrev_b32_e32 v29, 3, v26
	v_sub_u32_e32 v12, 29, v34
	v_and_b32_e32 v32, 7, v32
	v_cmp_gt_u32_e32 vcc, 8, v26
	v_cndmask_b32_e32 v12, v29, v12, vcc
	v_cndmask_b32_e32 v17, v17, v32, vcc
	v_lshlrev_b32_e32 v26, 24, v43
	v_lshlrev_b32_e32 v17, 20, v17
	v_and_b32_e32 v26, 0x80000000, v26
	v_lshl_add_u32 v12, v12, 23, v31
	v_or3_b32 v17, v26, v12, v17
.LBB6_436:                              ;   in Loop: Header=BB6_348 Depth=4
	s_or_b64 exec, exec, s[68:69]
.LBB6_437:                              ;   in Loop: Header=BB6_348 Depth=4
	s_or_b64 exec, exec, s[66:67]
.LBB6_438:                              ;   in Loop: Header=BB6_348 Depth=4
	s_or_b64 exec, exec, s[28:29]
	v_and_b32_e32 v12, 0xff, v28
	v_cmp_ne_u16_e32 vcc, 0, v12
	s_and_saveexec_b64 s[28:29], vcc
	s_cbranch_execz .LBB6_444
; %bb.439:                              ;   in Loop: Header=BB6_348 Depth=4
	v_cmp_ne_u16_e32 vcc, s91, v12
	v_bfrev_b32_e32 v13, 1
	s_and_saveexec_b64 s[66:67], vcc
	s_cbranch_execz .LBB6_443
; %bb.440:                              ;   in Loop: Header=BB6_348 Depth=4
	v_and_b32_e32 v26, 0x7f, v28
	v_cmp_ne_u32_e32 vcc, s92, v26
	v_mov_b32_e32 v13, 0x7f800001
	s_and_saveexec_b64 s[68:69], vcc
	s_cbranch_execz .LBB6_442
; %bb.441:                              ;   in Loop: Header=BB6_348 Depth=4
	v_and_b32_e32 v29, 7, v12
	v_ffbh_u32_e32 v13, v29
	v_min_u32_e32 v33, 32, v13
	v_subrev_u32_e32 v13, 28, v33
	v_lshlrev_b64 v[12:13], v13, v[12:13]
	v_lshrrev_b32_e32 v32, 3, v26
	v_sub_u32_e32 v13, 29, v33
	v_and_b32_e32 v12, 7, v12
	v_cmp_gt_u32_e32 vcc, 8, v26
	v_cndmask_b32_e32 v13, v32, v13, vcc
	v_cndmask_b32_e32 v12, v29, v12, vcc
	v_lshlrev_b32_e32 v26, 24, v28
	v_lshlrev_b32_e32 v12, 20, v12
	v_and_b32_e32 v26, 0x80000000, v26
	v_lshl_add_u32 v13, v13, 23, v31
	v_or3_b32 v13, v26, v13, v12
.LBB6_442:                              ;   in Loop: Header=BB6_348 Depth=4
	s_or_b64 exec, exec, s[68:69]
.LBB6_443:                              ;   in Loop: Header=BB6_348 Depth=4
	s_or_b64 exec, exec, s[66:67]
.LBB6_444:                              ;   in Loop: Header=BB6_348 Depth=4
	s_or_b64 exec, exec, s[28:29]
	v_add_f32_e32 v12, v17, v13
	v_and_b32_sdwa v17, v12, s91 dst_sel:DWORD dst_unused:UNUSED_PAD src0_sel:BYTE_3 src1_sel:DWORD
	v_and_b32_e32 v32, 0x7f800000, v12
	v_mov_b32_e32 v33, v27
	v_and_b32_e32 v26, 0x7fffff, v12
	v_or_b32_e32 v28, 0x7e, v17
	v_cmp_ne_u64_e32 vcc, s[52:53], v[32:33]
	s_and_saveexec_b64 s[28:29], vcc
	s_xor_b64 s[66:67], exec, s[28:29]
	s_cbranch_execz .LBB6_458
; %bb.445:                              ;   in Loop: Header=BB6_348 Depth=4
	v_and_b32_e32 v32, 0x7fffffff, v12
	v_mov_b32_e32 v33, v27
	v_cmp_gt_u64_e32 vcc, s[54:55], v[32:33]
	s_and_saveexec_b64 s[28:29], vcc
	s_xor_b64 s[68:69], exec, s[28:29]
	s_cbranch_execz .LBB6_457
; %bb.446:                              ;   in Loop: Header=BB6_348 Depth=4
	v_cmp_ne_u32_e32 vcc, 0, v12
	v_mov_b32_e32 v28, 0
	s_and_saveexec_b64 s[70:71], vcc
	s_cbranch_execz .LBB6_456
; %bb.447:                              ;   in Loop: Header=BB6_348 Depth=4
	v_bfe_u32 v12, v12, 23, 8
	v_cmp_eq_u32_e32 vcc, 0, v12
	v_add_u32_e32 v13, 0xffffff81, v12
	v_cmp_gt_u32_e64 s[28:29], s93, v12
	v_sub_u32_e32 v12, 0x79, v12
	v_mov_b32_e32 v0, 0xffffff82
	v_cndmask_b32_e64 v12, 0, v12, s[28:29]
	v_cndmask_b32_e32 v32, v13, v0, vcc
	v_mov_b32_e32 v0, 0x78
	v_cndmask_b32_e32 v33, v12, v0, vcc
	v_add_u32_e32 v12, 20, v33
	v_or_b32_e32 v28, 0x800000, v26
	v_lshlrev_b64 v[12:13], v12, -1
	v_cndmask_b32_e32 v26, v28, v26, vcc
	v_not_b32_e32 v13, v13
	v_not_b32_e32 v12, v12
	v_add_u32_e32 v28, 19, v33
	v_and_b32_e32 v13, 0, v13
	v_and_b32_e32 v12, v26, v12
	v_lshlrev_b64 v[28:29], v28, 1
	v_cmp_eq_u64_e32 vcc, v[12:13], v[28:29]
	v_lshrrev_b64 v[12:13], v33, v[26:27]
	v_lshrrev_b32_e32 v26, 23, v12
	v_add3_u32 v29, v33, v32, v26
	v_bfe_u32 v26, v12, 20, 1
	v_add_u32_e32 v26, -1, v26
	v_cndmask_b32_e32 v26, 0, v26, vcc
	v_add_u32_e32 v26, v26, v12
	v_and_b32_e32 v26, 0xfffff, v26
	v_add_co_u32_e32 v12, vcc, v26, v12
	v_add_u32_e32 v28, 6, v29
	v_addc_co_u32_e32 v13, vcc, 0, v13, vcc
	v_cmp_ne_u32_e32 vcc, 0, v28
                                        ; implicit-def: $vgpr26
	s_and_saveexec_b64 s[28:29], vcc
	s_xor_b64 s[28:29], exec, s[28:29]
; %bb.448:                              ;   in Loop: Header=BB6_348 Depth=4
	v_add_u32_e32 v26, 7, v29
	v_cmp_lt_u64_e32 vcc, s[56:57], v[12:13]
	v_cndmask_b32_e32 v26, v28, v26, vcc
	v_cndmask_b32_e64 v28, 0, 1, vcc
	v_lshrrev_b64 v[12:13], v28, v[12:13]
; %bb.449:                              ;   in Loop: Header=BB6_348 Depth=4
	s_andn2_saveexec_b64 s[28:29], s[28:29]
; %bb.450:                              ;   in Loop: Header=BB6_348 Depth=4
	v_bfe_u32 v26, v12, 23, 1
; %bb.451:                              ;   in Loop: Header=BB6_348 Depth=4
	s_or_b64 exec, exec, s[28:29]
	v_lshrrev_b64 v[12:13], 20, v[12:13]
	v_cmp_gt_i32_e32 vcc, 16, v26
	v_cndmask_b32_e32 v13, 0, v13, vcc
	v_cndmask_b32_e32 v12, 7, v12, vcc
	v_cmp_ne_u32_e32 vcc, 0, v26
	v_cmp_ne_u64_e64 s[28:29], 0, v[12:13]
	s_or_b64 s[28:29], vcc, s[28:29]
                                        ; implicit-def: $vgpr28
	s_and_saveexec_b64 vcc, s[28:29]
	s_xor_b64 s[28:29], exec, vcc
; %bb.452:                              ;   in Loop: Header=BB6_348 Depth=4
	v_min_i32_e32 v13, 15, v26
	v_lshl_or_b32 v13, v13, 3, v17
	v_and_or_b32 v28, v12, 7, v13
                                        ; implicit-def: $vgpr17
; %bb.453:                              ;   in Loop: Header=BB6_348 Depth=4
	s_andn2_saveexec_b64 s[28:29], s[28:29]
; %bb.454:                              ;   in Loop: Header=BB6_348 Depth=4
	v_mov_b32_e32 v28, v17
; %bb.455:                              ;   in Loop: Header=BB6_348 Depth=4
	s_or_b64 exec, exec, s[28:29]
.LBB6_456:                              ;   in Loop: Header=BB6_348 Depth=4
	s_or_b64 exec, exec, s[70:71]
.LBB6_457:                              ;   in Loop: Header=BB6_348 Depth=4
	s_andn2_saveexec_b64 s[28:29], s[68:69]
	s_or_b64 exec, exec, s[28:29]
                                        ; implicit-def: $vgpr12
.LBB6_458:                              ;   in Loop: Header=BB6_348 Depth=4
	s_andn2_saveexec_b64 s[28:29], s[66:67]
; %bb.459:                              ;   in Loop: Header=BB6_348 Depth=4
	v_or_b32_sdwa v12, v12, s92 dst_sel:DWORD dst_unused:UNUSED_PAD src0_sel:BYTE_3 src1_sel:DWORD
	v_cmp_eq_u64_e32 vcc, 0, v[26:27]
	v_cndmask_b32_e32 v28, v12, v28, vcc
; %bb.460:                              ;   in Loop: Header=BB6_348 Depth=4
	s_or_b64 exec, exec, s[28:29]
	v_and_b32_e32 v12, 0xff, v37
	v_cmp_ne_u16_e32 vcc, 0, v12
	v_mov_b32_e32 v13, 0
	v_mov_b32_e32 v17, 0
	s_and_saveexec_b64 s[28:29], vcc
	s_cbranch_execz .LBB6_466
; %bb.461:                              ;   in Loop: Header=BB6_348 Depth=4
	v_cmp_ne_u16_e32 vcc, s91, v12
	v_bfrev_b32_e32 v17, 1
	s_and_saveexec_b64 s[66:67], vcc
	s_cbranch_execz .LBB6_465
; %bb.462:                              ;   in Loop: Header=BB6_348 Depth=4
	v_and_b32_e32 v26, 0x7f, v37
	v_cmp_ne_u32_e32 vcc, s92, v26
	v_mov_b32_e32 v17, 0x7f800001
	s_and_saveexec_b64 s[68:69], vcc
	s_cbranch_execz .LBB6_464
; %bb.463:                              ;   in Loop: Header=BB6_348 Depth=4
	v_and_b32_e32 v17, 7, v12
	v_ffbh_u32_e32 v32, v17
	v_min_u32_e32 v34, 32, v32
	v_subrev_u32_e32 v32, 28, v34
	v_lshlrev_b64 v[32:33], v32, v[12:13]
	v_lshrrev_b32_e32 v29, 3, v26
	v_sub_u32_e32 v12, 29, v34
	v_and_b32_e32 v32, 7, v32
	v_cmp_gt_u32_e32 vcc, 8, v26
	v_cndmask_b32_e32 v12, v29, v12, vcc
	v_cndmask_b32_e32 v17, v17, v32, vcc
	v_lshlrev_b32_e32 v26, 24, v37
	v_lshlrev_b32_e32 v17, 20, v17
	v_and_b32_e32 v26, 0x80000000, v26
	v_lshl_add_u32 v12, v12, 23, v31
	v_or3_b32 v17, v26, v12, v17
.LBB6_464:                              ;   in Loop: Header=BB6_348 Depth=4
	s_or_b64 exec, exec, s[68:69]
.LBB6_465:                              ;   in Loop: Header=BB6_348 Depth=4
	s_or_b64 exec, exec, s[66:67]
.LBB6_466:                              ;   in Loop: Header=BB6_348 Depth=4
	s_or_b64 exec, exec, s[28:29]
	v_and_b32_e32 v12, 0xff, v3
	v_cmp_ne_u16_e32 vcc, 0, v12
	s_and_saveexec_b64 s[28:29], vcc
	s_cbranch_execz .LBB6_472
; %bb.467:                              ;   in Loop: Header=BB6_348 Depth=4
	v_cmp_ne_u16_e32 vcc, s91, v12
	v_bfrev_b32_e32 v13, 1
	s_and_saveexec_b64 s[66:67], vcc
	s_cbranch_execz .LBB6_471
; %bb.468:                              ;   in Loop: Header=BB6_348 Depth=4
	v_and_b32_e32 v26, 0x7f, v3
	v_cmp_ne_u32_e32 vcc, s92, v26
	v_mov_b32_e32 v13, 0x7f800001
	s_and_saveexec_b64 s[68:69], vcc
	s_cbranch_execz .LBB6_470
; %bb.469:                              ;   in Loop: Header=BB6_348 Depth=4
	v_and_b32_e32 v29, 7, v12
	v_ffbh_u32_e32 v13, v29
	v_min_u32_e32 v33, 32, v13
	v_subrev_u32_e32 v13, 28, v33
	v_lshlrev_b64 v[12:13], v13, v[12:13]
	v_lshrrev_b32_e32 v32, 3, v26
	v_sub_u32_e32 v13, 29, v33
	v_and_b32_e32 v12, 7, v12
	v_cmp_gt_u32_e32 vcc, 8, v26
	v_cndmask_b32_e32 v13, v32, v13, vcc
	v_cndmask_b32_e32 v12, v29, v12, vcc
	v_lshlrev_b32_e32 v3, 24, v3
	v_lshlrev_b32_e32 v12, 20, v12
	v_and_b32_e32 v3, 0x80000000, v3
	v_lshl_add_u32 v13, v13, 23, v31
	v_or3_b32 v13, v3, v13, v12
.LBB6_470:                              ;   in Loop: Header=BB6_348 Depth=4
	s_or_b64 exec, exec, s[68:69]
.LBB6_471:                              ;   in Loop: Header=BB6_348 Depth=4
	s_or_b64 exec, exec, s[66:67]
.LBB6_472:                              ;   in Loop: Header=BB6_348 Depth=4
	s_or_b64 exec, exec, s[28:29]
	v_add_f32_e32 v12, v17, v13
	v_and_b32_sdwa v3, v12, s91 dst_sel:DWORD dst_unused:UNUSED_PAD src0_sel:BYTE_3 src1_sel:DWORD
	v_and_b32_e32 v32, 0x7f800000, v12
	v_mov_b32_e32 v33, v27
	v_and_b32_e32 v26, 0x7fffff, v12
	v_or_b32_e32 v37, 0x7e, v3
	v_cmp_ne_u64_e32 vcc, s[52:53], v[32:33]
	s_and_saveexec_b64 s[28:29], vcc
	s_xor_b64 s[66:67], exec, s[28:29]
	s_cbranch_execz .LBB6_486
; %bb.473:                              ;   in Loop: Header=BB6_348 Depth=4
	v_and_b32_e32 v32, 0x7fffffff, v12
	v_mov_b32_e32 v33, v27
	v_cmp_gt_u64_e32 vcc, s[54:55], v[32:33]
	s_and_saveexec_b64 s[28:29], vcc
	s_xor_b64 s[68:69], exec, s[28:29]
	s_cbranch_execz .LBB6_485
; %bb.474:                              ;   in Loop: Header=BB6_348 Depth=4
	v_cmp_ne_u32_e32 vcc, 0, v12
	v_mov_b32_e32 v37, 0
	s_and_saveexec_b64 s[70:71], vcc
	s_cbranch_execz .LBB6_484
; %bb.475:                              ;   in Loop: Header=BB6_348 Depth=4
	v_bfe_u32 v12, v12, 23, 8
	v_cmp_eq_u32_e32 vcc, 0, v12
	v_add_u32_e32 v13, 0xffffff81, v12
	v_cmp_gt_u32_e64 s[28:29], s93, v12
	v_sub_u32_e32 v12, 0x79, v12
	v_mov_b32_e32 v0, 0xffffff82
	v_cndmask_b32_e64 v12, 0, v12, s[28:29]
	v_cndmask_b32_e32 v29, v13, v0, vcc
	v_mov_b32_e32 v0, 0x78
	v_cndmask_b32_e32 v34, v12, v0, vcc
	v_add_u32_e32 v12, 20, v34
	v_or_b32_e32 v17, 0x800000, v26
	v_lshlrev_b64 v[12:13], v12, -1
	v_cndmask_b32_e32 v26, v17, v26, vcc
	v_not_b32_e32 v13, v13
	v_not_b32_e32 v12, v12
	v_add_u32_e32 v17, 19, v34
	v_and_b32_e32 v13, 0, v13
	v_and_b32_e32 v12, v26, v12
	v_lshlrev_b64 v[32:33], v17, 1
	v_cmp_eq_u64_e32 vcc, v[12:13], v[32:33]
	v_lshrrev_b64 v[12:13], v34, v[26:27]
	v_lshrrev_b32_e32 v17, 23, v12
	v_add3_u32 v29, v34, v29, v17
	v_bfe_u32 v17, v12, 20, 1
	v_add_u32_e32 v17, -1, v17
	v_cndmask_b32_e32 v17, 0, v17, vcc
	v_add_u32_e32 v17, v17, v12
	v_and_b32_e32 v17, 0xfffff, v17
	v_add_co_u32_e32 v12, vcc, v17, v12
	v_add_u32_e32 v26, 6, v29
	v_addc_co_u32_e32 v13, vcc, 0, v13, vcc
	v_cmp_ne_u32_e32 vcc, 0, v26
                                        ; implicit-def: $vgpr17
	s_and_saveexec_b64 s[28:29], vcc
	s_xor_b64 s[28:29], exec, s[28:29]
; %bb.476:                              ;   in Loop: Header=BB6_348 Depth=4
	v_add_u32_e32 v17, 7, v29
	v_cmp_lt_u64_e32 vcc, s[56:57], v[12:13]
	v_cndmask_b32_e32 v17, v26, v17, vcc
	v_cndmask_b32_e64 v26, 0, 1, vcc
	v_lshrrev_b64 v[12:13], v26, v[12:13]
; %bb.477:                              ;   in Loop: Header=BB6_348 Depth=4
	s_andn2_saveexec_b64 s[28:29], s[28:29]
; %bb.478:                              ;   in Loop: Header=BB6_348 Depth=4
	v_bfe_u32 v17, v12, 23, 1
; %bb.479:                              ;   in Loop: Header=BB6_348 Depth=4
	s_or_b64 exec, exec, s[28:29]
	v_lshrrev_b64 v[12:13], 20, v[12:13]
	v_cmp_gt_i32_e32 vcc, 16, v17
	v_cndmask_b32_e32 v13, 0, v13, vcc
	v_cndmask_b32_e32 v12, 7, v12, vcc
	v_cmp_ne_u32_e32 vcc, 0, v17
	v_cmp_ne_u64_e64 s[28:29], 0, v[12:13]
	s_or_b64 s[28:29], vcc, s[28:29]
                                        ; implicit-def: $vgpr37
	s_and_saveexec_b64 vcc, s[28:29]
	s_xor_b64 s[28:29], exec, vcc
; %bb.480:                              ;   in Loop: Header=BB6_348 Depth=4
	v_min_i32_e32 v13, 15, v17
	v_lshl_or_b32 v3, v13, 3, v3
	v_and_or_b32 v37, v12, 7, v3
                                        ; implicit-def: $vgpr3
; %bb.481:                              ;   in Loop: Header=BB6_348 Depth=4
	s_andn2_saveexec_b64 s[28:29], s[28:29]
; %bb.482:                              ;   in Loop: Header=BB6_348 Depth=4
	v_mov_b32_e32 v37, v3
; %bb.483:                              ;   in Loop: Header=BB6_348 Depth=4
	s_or_b64 exec, exec, s[28:29]
.LBB6_484:                              ;   in Loop: Header=BB6_348 Depth=4
	s_or_b64 exec, exec, s[70:71]
.LBB6_485:                              ;   in Loop: Header=BB6_348 Depth=4
	s_andn2_saveexec_b64 s[28:29], s[68:69]
	s_or_b64 exec, exec, s[28:29]
                                        ; implicit-def: $vgpr12
.LBB6_486:                              ;   in Loop: Header=BB6_348 Depth=4
	s_andn2_saveexec_b64 s[28:29], s[66:67]
; %bb.487:                              ;   in Loop: Header=BB6_348 Depth=4
	v_or_b32_sdwa v3, v12, s92 dst_sel:DWORD dst_unused:UNUSED_PAD src0_sel:BYTE_3 src1_sel:DWORD
	v_cmp_eq_u64_e32 vcc, 0, v[26:27]
	v_cndmask_b32_e32 v37, v3, v37, vcc
; %bb.488:                              ;   in Loop: Header=BB6_348 Depth=4
	s_or_b64 exec, exec, s[28:29]
	v_and_b32_e32 v12, 0xff, v54
	v_cmp_ne_u16_e32 vcc, 0, v12
	v_mov_b32_e32 v3, 0
	v_mov_b32_e32 v13, 0
	s_and_saveexec_b64 s[28:29], vcc
	s_cbranch_execz .LBB6_494
; %bb.489:                              ;   in Loop: Header=BB6_348 Depth=4
	v_cmp_ne_u16_e32 vcc, s91, v12
	v_bfrev_b32_e32 v13, 1
	s_and_saveexec_b64 s[66:67], vcc
	s_cbranch_execz .LBB6_493
; %bb.490:                              ;   in Loop: Header=BB6_348 Depth=4
	v_and_b32_e32 v17, 0x7f, v54
	v_cmp_ne_u32_e32 vcc, s92, v17
	v_mov_b32_e32 v13, 0x7f800001
	s_and_saveexec_b64 s[68:69], vcc
	s_cbranch_execz .LBB6_492
; %bb.491:                              ;   in Loop: Header=BB6_348 Depth=4
	v_and_b32_e32 v26, 7, v12
	v_ffbh_u32_e32 v13, v26
	v_min_u32_e32 v32, 32, v13
	v_subrev_u32_e32 v13, 28, v32
	v_lshlrev_b64 v[12:13], v13, v[12:13]
	v_lshrrev_b32_e32 v29, 3, v17
	v_sub_u32_e32 v13, 29, v32
	v_and_b32_e32 v12, 7, v12
	v_cmp_gt_u32_e32 vcc, 8, v17
	v_cndmask_b32_e32 v13, v29, v13, vcc
	v_cndmask_b32_e32 v12, v26, v12, vcc
	v_lshlrev_b32_e32 v17, 24, v54
	v_lshlrev_b32_e32 v12, 20, v12
	v_and_b32_e32 v17, 0x80000000, v17
	v_lshl_add_u32 v13, v13, 23, v31
	v_or3_b32 v13, v17, v13, v12
.LBB6_492:                              ;   in Loop: Header=BB6_348 Depth=4
	s_or_b64 exec, exec, s[68:69]
.LBB6_493:                              ;   in Loop: Header=BB6_348 Depth=4
	s_or_b64 exec, exec, s[66:67]
.LBB6_494:                              ;   in Loop: Header=BB6_348 Depth=4
	s_or_b64 exec, exec, s[28:29]
	v_and_b32_e32 v12, 0xff, v52
	v_cmp_ne_u16_e32 vcc, 0, v12
	s_and_saveexec_b64 s[28:29], vcc
	s_cbranch_execz .LBB6_500
; %bb.495:                              ;   in Loop: Header=BB6_348 Depth=4
	v_cmp_ne_u16_e32 vcc, s91, v12
	v_bfrev_b32_e32 v3, 1
	s_and_saveexec_b64 s[66:67], vcc
	s_cbranch_execz .LBB6_499
; %bb.496:                              ;   in Loop: Header=BB6_348 Depth=4
	v_and_b32_e32 v17, 0x7f, v52
	v_cmp_ne_u32_e32 vcc, s92, v17
	v_mov_b32_e32 v3, 0x7f800001
	s_and_saveexec_b64 s[68:69], vcc
	s_cbranch_execz .LBB6_498
; %bb.497:                              ;   in Loop: Header=BB6_348 Depth=4
	v_and_b32_e32 v3, 7, v12
	v_ffbh_u32_e32 v29, v3
	v_min_u32_e32 v29, 32, v29
	v_subrev_u32_e32 v32, 28, v29
	v_lshlrev_b64 v[32:33], v32, v[12:13]
	v_lshrrev_b32_e32 v26, 3, v17
	v_sub_u32_e32 v12, 29, v29
	v_and_b32_e32 v29, 7, v32
	v_cmp_gt_u32_e32 vcc, 8, v17
	v_cndmask_b32_e32 v12, v26, v12, vcc
	v_cndmask_b32_e32 v3, v3, v29, vcc
	v_lshlrev_b32_e32 v17, 24, v52
	v_lshlrev_b32_e32 v3, 20, v3
	v_and_b32_e32 v17, 0x80000000, v17
	v_lshl_add_u32 v12, v12, 23, v31
	v_or3_b32 v3, v17, v12, v3
.LBB6_498:                              ;   in Loop: Header=BB6_348 Depth=4
	s_or_b64 exec, exec, s[68:69]
.LBB6_499:                              ;   in Loop: Header=BB6_348 Depth=4
	s_or_b64 exec, exec, s[66:67]
.LBB6_500:                              ;   in Loop: Header=BB6_348 Depth=4
	s_or_b64 exec, exec, s[28:29]
	v_add_f32_e32 v12, v13, v3
	v_and_b32_sdwa v3, v12, s91 dst_sel:DWORD dst_unused:UNUSED_PAD src0_sel:BYTE_3 src1_sel:DWORD
	v_and_b32_e32 v32, 0x7f800000, v12
	v_mov_b32_e32 v33, v27
	v_and_b32_e32 v26, 0x7fffff, v12
	v_or_b32_e32 v52, 0x7e, v3
	v_cmp_ne_u64_e32 vcc, s[52:53], v[32:33]
	s_and_saveexec_b64 s[28:29], vcc
	s_xor_b64 s[66:67], exec, s[28:29]
	s_cbranch_execz .LBB6_514
; %bb.501:                              ;   in Loop: Header=BB6_348 Depth=4
	v_and_b32_e32 v32, 0x7fffffff, v12
	v_mov_b32_e32 v33, v27
	v_cmp_gt_u64_e32 vcc, s[54:55], v[32:33]
	s_and_saveexec_b64 s[28:29], vcc
	s_xor_b64 s[68:69], exec, s[28:29]
	s_cbranch_execz .LBB6_513
; %bb.502:                              ;   in Loop: Header=BB6_348 Depth=4
	v_cmp_ne_u32_e32 vcc, 0, v12
	v_mov_b32_e32 v52, 0
	s_and_saveexec_b64 s[70:71], vcc
	s_cbranch_execz .LBB6_512
; %bb.503:                              ;   in Loop: Header=BB6_348 Depth=4
	v_bfe_u32 v12, v12, 23, 8
	v_cmp_eq_u32_e32 vcc, 0, v12
	v_add_u32_e32 v13, 0xffffff81, v12
	v_cmp_gt_u32_e64 s[28:29], s93, v12
	v_sub_u32_e32 v12, 0x79, v12
	v_mov_b32_e32 v0, 0xffffff82
	v_cndmask_b32_e64 v12, 0, v12, s[28:29]
	v_cndmask_b32_e32 v29, v13, v0, vcc
	v_mov_b32_e32 v0, 0x78
	v_cndmask_b32_e32 v34, v12, v0, vcc
	v_add_u32_e32 v12, 20, v34
	v_or_b32_e32 v17, 0x800000, v26
	v_lshlrev_b64 v[12:13], v12, -1
	v_cndmask_b32_e32 v26, v17, v26, vcc
	v_not_b32_e32 v13, v13
	v_not_b32_e32 v12, v12
	v_add_u32_e32 v17, 19, v34
	v_and_b32_e32 v13, 0, v13
	v_and_b32_e32 v12, v26, v12
	v_lshlrev_b64 v[32:33], v17, 1
	v_cmp_eq_u64_e32 vcc, v[12:13], v[32:33]
	v_lshrrev_b64 v[12:13], v34, v[26:27]
	v_lshrrev_b32_e32 v17, 23, v12
	v_add3_u32 v29, v34, v29, v17
	v_bfe_u32 v17, v12, 20, 1
	v_add_u32_e32 v17, -1, v17
	v_cndmask_b32_e32 v17, 0, v17, vcc
	v_add_u32_e32 v17, v17, v12
	v_and_b32_e32 v17, 0xfffff, v17
	v_add_co_u32_e32 v12, vcc, v17, v12
	v_add_u32_e32 v26, 6, v29
	v_addc_co_u32_e32 v13, vcc, 0, v13, vcc
	v_cmp_ne_u32_e32 vcc, 0, v26
                                        ; implicit-def: $vgpr17
	s_and_saveexec_b64 s[28:29], vcc
	s_xor_b64 s[28:29], exec, s[28:29]
; %bb.504:                              ;   in Loop: Header=BB6_348 Depth=4
	v_add_u32_e32 v17, 7, v29
	v_cmp_lt_u64_e32 vcc, s[56:57], v[12:13]
	v_cndmask_b32_e32 v17, v26, v17, vcc
	v_cndmask_b32_e64 v26, 0, 1, vcc
	v_lshrrev_b64 v[12:13], v26, v[12:13]
; %bb.505:                              ;   in Loop: Header=BB6_348 Depth=4
	s_andn2_saveexec_b64 s[28:29], s[28:29]
; %bb.506:                              ;   in Loop: Header=BB6_348 Depth=4
	v_bfe_u32 v17, v12, 23, 1
; %bb.507:                              ;   in Loop: Header=BB6_348 Depth=4
	s_or_b64 exec, exec, s[28:29]
	v_lshrrev_b64 v[12:13], 20, v[12:13]
	v_cmp_gt_i32_e32 vcc, 16, v17
	v_cndmask_b32_e32 v13, 0, v13, vcc
	v_cndmask_b32_e32 v12, 7, v12, vcc
	v_cmp_ne_u32_e32 vcc, 0, v17
	v_cmp_ne_u64_e64 s[28:29], 0, v[12:13]
	s_or_b64 s[28:29], vcc, s[28:29]
                                        ; implicit-def: $vgpr52
	s_and_saveexec_b64 vcc, s[28:29]
	s_xor_b64 s[28:29], exec, vcc
; %bb.508:                              ;   in Loop: Header=BB6_348 Depth=4
	v_min_i32_e32 v13, 15, v17
	v_lshl_or_b32 v3, v13, 3, v3
	v_and_or_b32 v52, v12, 7, v3
                                        ; implicit-def: $vgpr3
; %bb.509:                              ;   in Loop: Header=BB6_348 Depth=4
	s_andn2_saveexec_b64 s[28:29], s[28:29]
; %bb.510:                              ;   in Loop: Header=BB6_348 Depth=4
	v_mov_b32_e32 v52, v3
; %bb.511:                              ;   in Loop: Header=BB6_348 Depth=4
	s_or_b64 exec, exec, s[28:29]
.LBB6_512:                              ;   in Loop: Header=BB6_348 Depth=4
	s_or_b64 exec, exec, s[70:71]
.LBB6_513:                              ;   in Loop: Header=BB6_348 Depth=4
	s_andn2_saveexec_b64 s[28:29], s[68:69]
	s_or_b64 exec, exec, s[28:29]
                                        ; implicit-def: $vgpr12
.LBB6_514:                              ;   in Loop: Header=BB6_348 Depth=4
	s_andn2_saveexec_b64 s[28:29], s[66:67]
; %bb.515:                              ;   in Loop: Header=BB6_348 Depth=4
	v_or_b32_sdwa v3, v12, s92 dst_sel:DWORD dst_unused:UNUSED_PAD src0_sel:BYTE_3 src1_sel:DWORD
	v_cmp_eq_u64_e32 vcc, 0, v[26:27]
	v_cndmask_b32_e32 v52, v3, v52, vcc
; %bb.516:                              ;   in Loop: Header=BB6_348 Depth=4
	s_or_b64 exec, exec, s[28:29]
	v_and_b32_e32 v12, 0xff, v16
	v_cmp_ne_u16_e32 vcc, 0, v12
	v_mov_b32_e32 v3, 0
	v_mov_b32_e32 v13, 0
	s_and_saveexec_b64 s[28:29], vcc
	s_cbranch_execz .LBB6_522
; %bb.517:                              ;   in Loop: Header=BB6_348 Depth=4
	v_cmp_ne_u16_e32 vcc, s91, v12
	v_bfrev_b32_e32 v13, 1
	s_and_saveexec_b64 s[66:67], vcc
	s_cbranch_execz .LBB6_521
; %bb.518:                              ;   in Loop: Header=BB6_348 Depth=4
	v_and_b32_e32 v17, 0x7f, v16
	v_cmp_ne_u32_e32 vcc, s92, v17
	v_mov_b32_e32 v13, 0x7f800001
	s_and_saveexec_b64 s[68:69], vcc
	s_cbranch_execz .LBB6_520
; %bb.519:                              ;   in Loop: Header=BB6_348 Depth=4
	v_and_b32_e32 v26, 7, v12
	v_ffbh_u32_e32 v13, v26
	v_min_u32_e32 v32, 32, v13
	v_subrev_u32_e32 v13, 28, v32
	v_lshlrev_b64 v[12:13], v13, v[12:13]
	v_lshrrev_b32_e32 v29, 3, v17
	v_sub_u32_e32 v13, 29, v32
	v_and_b32_e32 v12, 7, v12
	v_cmp_gt_u32_e32 vcc, 8, v17
	v_cndmask_b32_e32 v13, v29, v13, vcc
	v_cndmask_b32_e32 v12, v26, v12, vcc
	v_lshlrev_b32_e32 v16, 24, v16
	v_lshlrev_b32_e32 v12, 20, v12
	v_and_b32_e32 v16, 0x80000000, v16
	v_lshl_add_u32 v13, v13, 23, v31
	v_or3_b32 v13, v16, v13, v12
.LBB6_520:                              ;   in Loop: Header=BB6_348 Depth=4
	s_or_b64 exec, exec, s[68:69]
.LBB6_521:                              ;   in Loop: Header=BB6_348 Depth=4
	s_or_b64 exec, exec, s[66:67]
.LBB6_522:                              ;   in Loop: Header=BB6_348 Depth=4
	s_or_b64 exec, exec, s[28:29]
	v_and_b32_e32 v12, 0xff, v41
	v_cmp_ne_u16_e32 vcc, 0, v12
	s_and_saveexec_b64 s[28:29], vcc
	s_cbranch_execz .LBB6_528
; %bb.523:                              ;   in Loop: Header=BB6_348 Depth=4
	v_cmp_ne_u16_e32 vcc, s91, v12
	v_bfrev_b32_e32 v3, 1
	s_and_saveexec_b64 s[66:67], vcc
	s_cbranch_execz .LBB6_527
; %bb.524:                              ;   in Loop: Header=BB6_348 Depth=4
	v_and_b32_e32 v16, 0x7f, v41
	v_cmp_ne_u32_e32 vcc, s92, v16
	v_mov_b32_e32 v3, 0x7f800001
	s_and_saveexec_b64 s[68:69], vcc
	s_cbranch_execz .LBB6_526
; %bb.525:                              ;   in Loop: Header=BB6_348 Depth=4
	v_and_b32_e32 v3, 7, v12
	v_ffbh_u32_e32 v26, v3
	v_min_u32_e32 v26, 32, v26
	v_subrev_u32_e32 v29, 28, v26
	v_lshlrev_b64 v[32:33], v29, v[12:13]
	v_lshrrev_b32_e32 v17, 3, v16
	v_sub_u32_e32 v12, 29, v26
	v_and_b32_e32 v26, 7, v32
	v_cmp_gt_u32_e32 vcc, 8, v16
	v_cndmask_b32_e32 v12, v17, v12, vcc
	v_cndmask_b32_e32 v3, v3, v26, vcc
	v_lshlrev_b32_e32 v16, 24, v41
	v_lshlrev_b32_e32 v3, 20, v3
	v_and_b32_e32 v16, 0x80000000, v16
	v_lshl_add_u32 v12, v12, 23, v31
	v_or3_b32 v3, v16, v12, v3
.LBB6_526:                              ;   in Loop: Header=BB6_348 Depth=4
	s_or_b64 exec, exec, s[68:69]
.LBB6_527:                              ;   in Loop: Header=BB6_348 Depth=4
	s_or_b64 exec, exec, s[66:67]
.LBB6_528:                              ;   in Loop: Header=BB6_348 Depth=4
	s_or_b64 exec, exec, s[28:29]
	v_add_f32_e32 v12, v13, v3
	v_and_b32_sdwa v3, v12, s91 dst_sel:DWORD dst_unused:UNUSED_PAD src0_sel:BYTE_3 src1_sel:DWORD
	v_and_b32_e32 v16, 0x7f800000, v12
	v_mov_b32_e32 v17, v27
	v_and_b32_e32 v26, 0x7fffff, v12
	v_or_b32_e32 v41, 0x7e, v3
	v_cmp_ne_u64_e32 vcc, s[52:53], v[16:17]
	s_and_saveexec_b64 s[28:29], vcc
	s_xor_b64 s[66:67], exec, s[28:29]
	s_cbranch_execz .LBB6_542
; %bb.529:                              ;   in Loop: Header=BB6_348 Depth=4
	v_and_b32_e32 v16, 0x7fffffff, v12
	v_mov_b32_e32 v17, v27
	v_cmp_gt_u64_e32 vcc, s[54:55], v[16:17]
	s_and_saveexec_b64 s[28:29], vcc
	s_xor_b64 s[68:69], exec, s[28:29]
	s_cbranch_execz .LBB6_541
; %bb.530:                              ;   in Loop: Header=BB6_348 Depth=4
	v_cmp_ne_u32_e32 vcc, 0, v12
	v_mov_b32_e32 v41, 0
	s_and_saveexec_b64 s[70:71], vcc
	s_cbranch_execz .LBB6_540
; %bb.531:                              ;   in Loop: Header=BB6_348 Depth=4
	v_bfe_u32 v12, v12, 23, 8
	v_cmp_eq_u32_e32 vcc, 0, v12
	v_add_u32_e32 v13, 0xffffff81, v12
	v_cmp_gt_u32_e64 s[28:29], s93, v12
	v_sub_u32_e32 v12, 0x79, v12
	v_mov_b32_e32 v0, 0xffffff82
	v_cndmask_b32_e64 v12, 0, v12, s[28:29]
	v_cndmask_b32_e32 v29, v13, v0, vcc
	v_mov_b32_e32 v0, 0x78
	v_cndmask_b32_e32 v32, v12, v0, vcc
	v_add_u32_e32 v12, 20, v32
	v_or_b32_e32 v16, 0x800000, v26
	v_lshlrev_b64 v[12:13], v12, -1
	v_cndmask_b32_e32 v26, v16, v26, vcc
	v_not_b32_e32 v13, v13
	v_not_b32_e32 v12, v12
	v_add_u32_e32 v16, 19, v32
	v_and_b32_e32 v13, 0, v13
	v_and_b32_e32 v12, v26, v12
	v_lshlrev_b64 v[16:17], v16, 1
	v_cmp_eq_u64_e32 vcc, v[12:13], v[16:17]
	v_lshrrev_b64 v[12:13], v32, v[26:27]
	v_lshrrev_b32_e32 v16, 23, v12
	v_add3_u32 v26, v32, v29, v16
	v_bfe_u32 v16, v12, 20, 1
	v_add_u32_e32 v16, -1, v16
	v_cndmask_b32_e32 v16, 0, v16, vcc
	v_add_u32_e32 v16, v16, v12
	v_and_b32_e32 v16, 0xfffff, v16
	v_add_co_u32_e32 v12, vcc, v16, v12
	v_add_u32_e32 v17, 6, v26
	v_addc_co_u32_e32 v13, vcc, 0, v13, vcc
	v_cmp_ne_u32_e32 vcc, 0, v17
                                        ; implicit-def: $vgpr16
	s_and_saveexec_b64 s[28:29], vcc
	s_xor_b64 s[28:29], exec, s[28:29]
; %bb.532:                              ;   in Loop: Header=BB6_348 Depth=4
	v_add_u32_e32 v16, 7, v26
	v_cmp_lt_u64_e32 vcc, s[56:57], v[12:13]
	v_cndmask_b32_e32 v16, v17, v16, vcc
	v_cndmask_b32_e64 v17, 0, 1, vcc
	v_lshrrev_b64 v[12:13], v17, v[12:13]
; %bb.533:                              ;   in Loop: Header=BB6_348 Depth=4
	s_andn2_saveexec_b64 s[28:29], s[28:29]
; %bb.534:                              ;   in Loop: Header=BB6_348 Depth=4
	v_bfe_u32 v16, v12, 23, 1
; %bb.535:                              ;   in Loop: Header=BB6_348 Depth=4
	s_or_b64 exec, exec, s[28:29]
	v_lshrrev_b64 v[12:13], 20, v[12:13]
	v_cmp_gt_i32_e32 vcc, 16, v16
	v_cndmask_b32_e32 v13, 0, v13, vcc
	v_cndmask_b32_e32 v12, 7, v12, vcc
	v_cmp_ne_u32_e32 vcc, 0, v16
	v_cmp_ne_u64_e64 s[28:29], 0, v[12:13]
	s_or_b64 s[28:29], vcc, s[28:29]
                                        ; implicit-def: $vgpr41
	s_and_saveexec_b64 vcc, s[28:29]
	s_xor_b64 s[28:29], exec, vcc
; %bb.536:                              ;   in Loop: Header=BB6_348 Depth=4
	v_min_i32_e32 v13, 15, v16
	v_lshl_or_b32 v3, v13, 3, v3
	v_and_or_b32 v41, v12, 7, v3
                                        ; implicit-def: $vgpr3
; %bb.537:                              ;   in Loop: Header=BB6_348 Depth=4
	s_andn2_saveexec_b64 s[28:29], s[28:29]
; %bb.538:                              ;   in Loop: Header=BB6_348 Depth=4
	v_mov_b32_e32 v41, v3
; %bb.539:                              ;   in Loop: Header=BB6_348 Depth=4
	s_or_b64 exec, exec, s[28:29]
.LBB6_540:                              ;   in Loop: Header=BB6_348 Depth=4
	s_or_b64 exec, exec, s[70:71]
.LBB6_541:                              ;   in Loop: Header=BB6_348 Depth=4
	s_andn2_saveexec_b64 s[28:29], s[68:69]
	s_or_b64 exec, exec, s[28:29]
                                        ; implicit-def: $vgpr12
.LBB6_542:                              ;   in Loop: Header=BB6_348 Depth=4
	s_andn2_saveexec_b64 s[28:29], s[66:67]
; %bb.543:                              ;   in Loop: Header=BB6_348 Depth=4
	v_or_b32_sdwa v3, v12, s92 dst_sel:DWORD dst_unused:UNUSED_PAD src0_sel:BYTE_3 src1_sel:DWORD
	v_cmp_eq_u64_e32 vcc, 0, v[26:27]
	v_cndmask_b32_e32 v41, v3, v41, vcc
; %bb.544:                              ;   in Loop: Header=BB6_348 Depth=4
	s_or_b64 exec, exec, s[28:29]
	v_and_b32_e32 v12, 0xff, v59
	v_cmp_ne_u16_e32 vcc, 0, v12
	v_mov_b32_e32 v3, 0
	v_mov_b32_e32 v13, 0
	s_and_saveexec_b64 s[28:29], vcc
	s_cbranch_execz .LBB6_550
; %bb.545:                              ;   in Loop: Header=BB6_348 Depth=4
	v_cmp_ne_u16_e32 vcc, s91, v12
	v_bfrev_b32_e32 v13, 1
	s_and_saveexec_b64 s[66:67], vcc
	s_cbranch_execz .LBB6_549
; %bb.546:                              ;   in Loop: Header=BB6_348 Depth=4
	v_and_b32_e32 v16, 0x7f, v59
	v_cmp_ne_u32_e32 vcc, s92, v16
	v_mov_b32_e32 v13, 0x7f800001
	s_and_saveexec_b64 s[68:69], vcc
	s_cbranch_execz .LBB6_548
; %bb.547:                              ;   in Loop: Header=BB6_348 Depth=4
	v_and_b32_e32 v17, 7, v12
	v_ffbh_u32_e32 v13, v17
	v_min_u32_e32 v29, 32, v13
	v_subrev_u32_e32 v13, 28, v29
	v_lshlrev_b64 v[12:13], v13, v[12:13]
	v_lshrrev_b32_e32 v26, 3, v16
	v_sub_u32_e32 v13, 29, v29
	v_and_b32_e32 v12, 7, v12
	v_cmp_gt_u32_e32 vcc, 8, v16
	v_cndmask_b32_e32 v13, v26, v13, vcc
	v_cndmask_b32_e32 v12, v17, v12, vcc
	v_lshlrev_b32_e32 v16, 24, v59
	v_lshlrev_b32_e32 v12, 20, v12
	v_and_b32_e32 v16, 0x80000000, v16
	v_lshl_add_u32 v13, v13, 23, v31
	v_or3_b32 v13, v16, v13, v12
.LBB6_548:                              ;   in Loop: Header=BB6_348 Depth=4
	s_or_b64 exec, exec, s[68:69]
.LBB6_549:                              ;   in Loop: Header=BB6_348 Depth=4
	s_or_b64 exec, exec, s[66:67]
.LBB6_550:                              ;   in Loop: Header=BB6_348 Depth=4
	s_or_b64 exec, exec, s[28:29]
	v_and_b32_e32 v12, 0xff, v56
	v_cmp_ne_u16_e32 vcc, 0, v12
	s_and_saveexec_b64 s[28:29], vcc
	s_cbranch_execz .LBB6_556
; %bb.551:                              ;   in Loop: Header=BB6_348 Depth=4
	v_cmp_ne_u16_e32 vcc, s91, v12
	v_bfrev_b32_e32 v3, 1
	s_and_saveexec_b64 s[66:67], vcc
	s_cbranch_execz .LBB6_555
; %bb.552:                              ;   in Loop: Header=BB6_348 Depth=4
	v_and_b32_e32 v16, 0x7f, v56
	v_cmp_ne_u32_e32 vcc, s92, v16
	v_mov_b32_e32 v3, 0x7f800001
	s_and_saveexec_b64 s[68:69], vcc
	s_cbranch_execz .LBB6_554
; %bb.553:                              ;   in Loop: Header=BB6_348 Depth=4
	v_and_b32_e32 v3, 7, v12
	v_ffbh_u32_e32 v26, v3
	v_min_u32_e32 v26, 32, v26
	v_subrev_u32_e32 v29, 28, v26
	v_lshlrev_b64 v[32:33], v29, v[12:13]
	v_lshrrev_b32_e32 v17, 3, v16
	v_sub_u32_e32 v12, 29, v26
	v_and_b32_e32 v26, 7, v32
	v_cmp_gt_u32_e32 vcc, 8, v16
	v_cndmask_b32_e32 v12, v17, v12, vcc
	v_cndmask_b32_e32 v3, v3, v26, vcc
	v_lshlrev_b32_e32 v16, 24, v56
	v_lshlrev_b32_e32 v3, 20, v3
	v_and_b32_e32 v16, 0x80000000, v16
	v_lshl_add_u32 v12, v12, 23, v31
	v_or3_b32 v3, v16, v12, v3
.LBB6_554:                              ;   in Loop: Header=BB6_348 Depth=4
	s_or_b64 exec, exec, s[68:69]
.LBB6_555:                              ;   in Loop: Header=BB6_348 Depth=4
	s_or_b64 exec, exec, s[66:67]
.LBB6_556:                              ;   in Loop: Header=BB6_348 Depth=4
	s_or_b64 exec, exec, s[28:29]
	v_add_f32_e32 v12, v13, v3
	v_and_b32_sdwa v3, v12, s91 dst_sel:DWORD dst_unused:UNUSED_PAD src0_sel:BYTE_3 src1_sel:DWORD
	v_and_b32_e32 v16, 0x7f800000, v12
	v_mov_b32_e32 v17, v27
	v_and_b32_e32 v26, 0x7fffff, v12
	v_or_b32_e32 v56, 0x7e, v3
	v_cmp_ne_u64_e32 vcc, s[52:53], v[16:17]
	s_and_saveexec_b64 s[28:29], vcc
	s_xor_b64 s[66:67], exec, s[28:29]
	s_cbranch_execz .LBB6_570
; %bb.557:                              ;   in Loop: Header=BB6_348 Depth=4
	v_and_b32_e32 v16, 0x7fffffff, v12
	v_mov_b32_e32 v17, v27
	v_cmp_gt_u64_e32 vcc, s[54:55], v[16:17]
	s_and_saveexec_b64 s[28:29], vcc
	s_xor_b64 s[68:69], exec, s[28:29]
	s_cbranch_execz .LBB6_569
; %bb.558:                              ;   in Loop: Header=BB6_348 Depth=4
	v_cmp_ne_u32_e32 vcc, 0, v12
	v_mov_b32_e32 v56, 0
	s_and_saveexec_b64 s[70:71], vcc
	s_cbranch_execz .LBB6_568
; %bb.559:                              ;   in Loop: Header=BB6_348 Depth=4
	v_bfe_u32 v12, v12, 23, 8
	v_cmp_eq_u32_e32 vcc, 0, v12
	v_add_u32_e32 v13, 0xffffff81, v12
	v_cmp_gt_u32_e64 s[28:29], s93, v12
	v_sub_u32_e32 v12, 0x79, v12
	v_mov_b32_e32 v0, 0xffffff82
	v_cndmask_b32_e64 v12, 0, v12, s[28:29]
	v_cndmask_b32_e32 v29, v13, v0, vcc
	v_mov_b32_e32 v0, 0x78
	v_cndmask_b32_e32 v32, v12, v0, vcc
	v_add_u32_e32 v12, 20, v32
	v_or_b32_e32 v16, 0x800000, v26
	v_lshlrev_b64 v[12:13], v12, -1
	v_cndmask_b32_e32 v26, v16, v26, vcc
	v_not_b32_e32 v13, v13
	v_not_b32_e32 v12, v12
	v_add_u32_e32 v16, 19, v32
	v_and_b32_e32 v13, 0, v13
	v_and_b32_e32 v12, v26, v12
	v_lshlrev_b64 v[16:17], v16, 1
	v_cmp_eq_u64_e32 vcc, v[12:13], v[16:17]
	v_lshrrev_b64 v[12:13], v32, v[26:27]
	v_lshrrev_b32_e32 v16, 23, v12
	v_add3_u32 v26, v32, v29, v16
	v_bfe_u32 v16, v12, 20, 1
	v_add_u32_e32 v16, -1, v16
	v_cndmask_b32_e32 v16, 0, v16, vcc
	v_add_u32_e32 v16, v16, v12
	v_and_b32_e32 v16, 0xfffff, v16
	v_add_co_u32_e32 v12, vcc, v16, v12
	v_add_u32_e32 v17, 6, v26
	v_addc_co_u32_e32 v13, vcc, 0, v13, vcc
	v_cmp_ne_u32_e32 vcc, 0, v17
                                        ; implicit-def: $vgpr16
	s_and_saveexec_b64 s[28:29], vcc
	s_xor_b64 s[28:29], exec, s[28:29]
; %bb.560:                              ;   in Loop: Header=BB6_348 Depth=4
	v_add_u32_e32 v16, 7, v26
	v_cmp_lt_u64_e32 vcc, s[56:57], v[12:13]
	v_cndmask_b32_e32 v16, v17, v16, vcc
	v_cndmask_b32_e64 v17, 0, 1, vcc
	v_lshrrev_b64 v[12:13], v17, v[12:13]
; %bb.561:                              ;   in Loop: Header=BB6_348 Depth=4
	s_andn2_saveexec_b64 s[28:29], s[28:29]
; %bb.562:                              ;   in Loop: Header=BB6_348 Depth=4
	v_bfe_u32 v16, v12, 23, 1
; %bb.563:                              ;   in Loop: Header=BB6_348 Depth=4
	s_or_b64 exec, exec, s[28:29]
	v_lshrrev_b64 v[12:13], 20, v[12:13]
	v_cmp_gt_i32_e32 vcc, 16, v16
	v_cndmask_b32_e32 v13, 0, v13, vcc
	v_cndmask_b32_e32 v12, 7, v12, vcc
	v_cmp_ne_u32_e32 vcc, 0, v16
	v_cmp_ne_u64_e64 s[28:29], 0, v[12:13]
	s_or_b64 s[28:29], vcc, s[28:29]
                                        ; implicit-def: $vgpr56
	s_and_saveexec_b64 vcc, s[28:29]
	s_xor_b64 s[28:29], exec, vcc
; %bb.564:                              ;   in Loop: Header=BB6_348 Depth=4
	v_min_i32_e32 v13, 15, v16
	v_lshl_or_b32 v3, v13, 3, v3
	v_and_or_b32 v56, v12, 7, v3
                                        ; implicit-def: $vgpr3
; %bb.565:                              ;   in Loop: Header=BB6_348 Depth=4
	s_andn2_saveexec_b64 s[28:29], s[28:29]
; %bb.566:                              ;   in Loop: Header=BB6_348 Depth=4
	v_mov_b32_e32 v56, v3
; %bb.567:                              ;   in Loop: Header=BB6_348 Depth=4
	s_or_b64 exec, exec, s[28:29]
.LBB6_568:                              ;   in Loop: Header=BB6_348 Depth=4
	s_or_b64 exec, exec, s[70:71]
.LBB6_569:                              ;   in Loop: Header=BB6_348 Depth=4
	s_andn2_saveexec_b64 s[28:29], s[68:69]
	s_or_b64 exec, exec, s[28:29]
                                        ; implicit-def: $vgpr12
.LBB6_570:                              ;   in Loop: Header=BB6_348 Depth=4
	s_andn2_saveexec_b64 s[28:29], s[66:67]
; %bb.571:                              ;   in Loop: Header=BB6_348 Depth=4
	v_or_b32_sdwa v3, v12, s92 dst_sel:DWORD dst_unused:UNUSED_PAD src0_sel:BYTE_3 src1_sel:DWORD
	v_cmp_eq_u64_e32 vcc, 0, v[26:27]
	v_cndmask_b32_e32 v56, v3, v56, vcc
; %bb.572:                              ;   in Loop: Header=BB6_348 Depth=4
	s_or_b64 exec, exec, s[28:29]
	v_and_b32_e32 v12, 0xff, v58
	v_cmp_ne_u16_e32 vcc, 0, v12
	v_mov_b32_e32 v3, 0
	v_mov_b32_e32 v13, 0
	s_and_saveexec_b64 s[28:29], vcc
	s_cbranch_execz .LBB6_578
; %bb.573:                              ;   in Loop: Header=BB6_348 Depth=4
	v_cmp_ne_u16_e32 vcc, s91, v12
	v_bfrev_b32_e32 v13, 1
	s_and_saveexec_b64 s[66:67], vcc
	s_cbranch_execz .LBB6_577
; %bb.574:                              ;   in Loop: Header=BB6_348 Depth=4
	v_and_b32_e32 v16, 0x7f, v58
	v_cmp_ne_u32_e32 vcc, s92, v16
	v_mov_b32_e32 v13, 0x7f800001
	s_and_saveexec_b64 s[68:69], vcc
	s_cbranch_execz .LBB6_576
; %bb.575:                              ;   in Loop: Header=BB6_348 Depth=4
	v_and_b32_e32 v17, 7, v12
	v_ffbh_u32_e32 v13, v17
	v_min_u32_e32 v29, 32, v13
	v_subrev_u32_e32 v13, 28, v29
	v_lshlrev_b64 v[12:13], v13, v[12:13]
	v_lshrrev_b32_e32 v26, 3, v16
	v_sub_u32_e32 v13, 29, v29
	v_and_b32_e32 v12, 7, v12
	v_cmp_gt_u32_e32 vcc, 8, v16
	v_cndmask_b32_e32 v13, v26, v13, vcc
	v_cndmask_b32_e32 v12, v17, v12, vcc
	v_lshlrev_b32_e32 v16, 24, v58
	v_lshlrev_b32_e32 v12, 20, v12
	v_and_b32_e32 v16, 0x80000000, v16
	v_lshl_add_u32 v13, v13, 23, v31
	v_or3_b32 v13, v16, v13, v12
.LBB6_576:                              ;   in Loop: Header=BB6_348 Depth=4
	s_or_b64 exec, exec, s[68:69]
.LBB6_577:                              ;   in Loop: Header=BB6_348 Depth=4
	s_or_b64 exec, exec, s[66:67]
.LBB6_578:                              ;   in Loop: Header=BB6_348 Depth=4
	s_or_b64 exec, exec, s[28:29]
	v_and_b32_e32 v12, 0xff, v57
	v_cmp_ne_u16_e32 vcc, 0, v12
	s_and_saveexec_b64 s[28:29], vcc
	s_cbranch_execz .LBB6_584
; %bb.579:                              ;   in Loop: Header=BB6_348 Depth=4
	v_cmp_ne_u16_e32 vcc, s91, v12
	v_bfrev_b32_e32 v3, 1
	s_and_saveexec_b64 s[66:67], vcc
	s_cbranch_execz .LBB6_583
; %bb.580:                              ;   in Loop: Header=BB6_348 Depth=4
	v_and_b32_e32 v16, 0x7f, v57
	v_cmp_ne_u32_e32 vcc, s92, v16
	v_mov_b32_e32 v3, 0x7f800001
	s_and_saveexec_b64 s[68:69], vcc
	s_cbranch_execz .LBB6_582
; %bb.581:                              ;   in Loop: Header=BB6_348 Depth=4
	v_and_b32_e32 v3, 7, v12
	v_ffbh_u32_e32 v26, v3
	v_min_u32_e32 v26, 32, v26
	v_subrev_u32_e32 v29, 28, v26
	v_lshlrev_b64 v[32:33], v29, v[12:13]
	v_lshrrev_b32_e32 v17, 3, v16
	v_sub_u32_e32 v12, 29, v26
	v_and_b32_e32 v26, 7, v32
	v_cmp_gt_u32_e32 vcc, 8, v16
	v_cndmask_b32_e32 v12, v17, v12, vcc
	v_cndmask_b32_e32 v3, v3, v26, vcc
	v_lshlrev_b32_e32 v16, 24, v57
	v_lshlrev_b32_e32 v3, 20, v3
	v_and_b32_e32 v16, 0x80000000, v16
	v_lshl_add_u32 v12, v12, 23, v31
	v_or3_b32 v3, v16, v12, v3
.LBB6_582:                              ;   in Loop: Header=BB6_348 Depth=4
	s_or_b64 exec, exec, s[68:69]
.LBB6_583:                              ;   in Loop: Header=BB6_348 Depth=4
	s_or_b64 exec, exec, s[66:67]
.LBB6_584:                              ;   in Loop: Header=BB6_348 Depth=4
	s_or_b64 exec, exec, s[28:29]
	v_add_f32_e32 v12, v13, v3
	v_and_b32_sdwa v3, v12, s91 dst_sel:DWORD dst_unused:UNUSED_PAD src0_sel:BYTE_3 src1_sel:DWORD
	v_and_b32_e32 v16, 0x7f800000, v12
	v_mov_b32_e32 v17, v27
	v_and_b32_e32 v26, 0x7fffff, v12
	v_or_b32_e32 v57, 0x7e, v3
	v_cmp_ne_u64_e32 vcc, s[52:53], v[16:17]
	s_and_saveexec_b64 s[28:29], vcc
	s_xor_b64 s[66:67], exec, s[28:29]
	s_cbranch_execz .LBB6_598
; %bb.585:                              ;   in Loop: Header=BB6_348 Depth=4
	v_and_b32_e32 v16, 0x7fffffff, v12
	v_mov_b32_e32 v17, v27
	v_cmp_gt_u64_e32 vcc, s[54:55], v[16:17]
	s_and_saveexec_b64 s[28:29], vcc
	s_xor_b64 s[68:69], exec, s[28:29]
	s_cbranch_execz .LBB6_597
; %bb.586:                              ;   in Loop: Header=BB6_348 Depth=4
	v_cmp_ne_u32_e32 vcc, 0, v12
	v_mov_b32_e32 v57, 0
	s_and_saveexec_b64 s[70:71], vcc
	s_cbranch_execz .LBB6_596
; %bb.587:                              ;   in Loop: Header=BB6_348 Depth=4
	v_bfe_u32 v12, v12, 23, 8
	v_cmp_eq_u32_e32 vcc, 0, v12
	v_add_u32_e32 v13, 0xffffff81, v12
	v_cmp_gt_u32_e64 s[28:29], s93, v12
	v_sub_u32_e32 v12, 0x79, v12
	v_mov_b32_e32 v0, 0xffffff82
	v_cndmask_b32_e64 v12, 0, v12, s[28:29]
	v_cndmask_b32_e32 v29, v13, v0, vcc
	v_mov_b32_e32 v0, 0x78
	v_cndmask_b32_e32 v32, v12, v0, vcc
	v_add_u32_e32 v12, 20, v32
	v_or_b32_e32 v16, 0x800000, v26
	v_lshlrev_b64 v[12:13], v12, -1
	v_cndmask_b32_e32 v26, v16, v26, vcc
	v_not_b32_e32 v13, v13
	v_not_b32_e32 v12, v12
	v_add_u32_e32 v16, 19, v32
	v_and_b32_e32 v13, 0, v13
	v_and_b32_e32 v12, v26, v12
	v_lshlrev_b64 v[16:17], v16, 1
	v_cmp_eq_u64_e32 vcc, v[12:13], v[16:17]
	v_lshrrev_b64 v[12:13], v32, v[26:27]
	v_lshrrev_b32_e32 v16, 23, v12
	v_add3_u32 v26, v32, v29, v16
	v_bfe_u32 v16, v12, 20, 1
	v_add_u32_e32 v16, -1, v16
	v_cndmask_b32_e32 v16, 0, v16, vcc
	v_add_u32_e32 v16, v16, v12
	v_and_b32_e32 v16, 0xfffff, v16
	v_add_co_u32_e32 v12, vcc, v16, v12
	v_add_u32_e32 v17, 6, v26
	v_addc_co_u32_e32 v13, vcc, 0, v13, vcc
	v_cmp_ne_u32_e32 vcc, 0, v17
                                        ; implicit-def: $vgpr16
	s_and_saveexec_b64 s[28:29], vcc
	s_xor_b64 s[28:29], exec, s[28:29]
; %bb.588:                              ;   in Loop: Header=BB6_348 Depth=4
	v_add_u32_e32 v16, 7, v26
	v_cmp_lt_u64_e32 vcc, s[56:57], v[12:13]
	v_cndmask_b32_e32 v16, v17, v16, vcc
	v_cndmask_b32_e64 v17, 0, 1, vcc
	v_lshrrev_b64 v[12:13], v17, v[12:13]
; %bb.589:                              ;   in Loop: Header=BB6_348 Depth=4
	s_andn2_saveexec_b64 s[28:29], s[28:29]
; %bb.590:                              ;   in Loop: Header=BB6_348 Depth=4
	v_bfe_u32 v16, v12, 23, 1
; %bb.591:                              ;   in Loop: Header=BB6_348 Depth=4
	s_or_b64 exec, exec, s[28:29]
	v_lshrrev_b64 v[12:13], 20, v[12:13]
	v_cmp_gt_i32_e32 vcc, 16, v16
	v_cndmask_b32_e32 v13, 0, v13, vcc
	v_cndmask_b32_e32 v12, 7, v12, vcc
	v_cmp_ne_u32_e32 vcc, 0, v16
	v_cmp_ne_u64_e64 s[28:29], 0, v[12:13]
	s_or_b64 s[28:29], vcc, s[28:29]
                                        ; implicit-def: $vgpr57
	s_and_saveexec_b64 vcc, s[28:29]
	s_xor_b64 s[28:29], exec, vcc
; %bb.592:                              ;   in Loop: Header=BB6_348 Depth=4
	v_min_i32_e32 v13, 15, v16
	v_lshl_or_b32 v3, v13, 3, v3
	v_and_or_b32 v57, v12, 7, v3
                                        ; implicit-def: $vgpr3
; %bb.593:                              ;   in Loop: Header=BB6_348 Depth=4
	s_andn2_saveexec_b64 s[28:29], s[28:29]
; %bb.594:                              ;   in Loop: Header=BB6_348 Depth=4
	v_mov_b32_e32 v57, v3
; %bb.595:                              ;   in Loop: Header=BB6_348 Depth=4
	s_or_b64 exec, exec, s[28:29]
.LBB6_596:                              ;   in Loop: Header=BB6_348 Depth=4
	s_or_b64 exec, exec, s[70:71]
.LBB6_597:                              ;   in Loop: Header=BB6_348 Depth=4
	s_andn2_saveexec_b64 s[28:29], s[68:69]
	s_or_b64 exec, exec, s[28:29]
                                        ; implicit-def: $vgpr12
.LBB6_598:                              ;   in Loop: Header=BB6_348 Depth=4
	s_andn2_saveexec_b64 s[28:29], s[66:67]
; %bb.599:                              ;   in Loop: Header=BB6_348 Depth=4
	v_or_b32_sdwa v3, v12, s92 dst_sel:DWORD dst_unused:UNUSED_PAD src0_sel:BYTE_3 src1_sel:DWORD
	v_cmp_eq_u64_e32 vcc, 0, v[26:27]
	v_cndmask_b32_e32 v57, v3, v57, vcc
; %bb.600:                              ;   in Loop: Header=BB6_348 Depth=4
	s_or_b64 exec, exec, s[28:29]
	v_and_b32_e32 v12, 0xff, v46
	v_cmp_ne_u16_e32 vcc, 0, v12
	v_mov_b32_e32 v3, 0
	v_mov_b32_e32 v13, 0
	s_and_saveexec_b64 s[28:29], vcc
	s_cbranch_execz .LBB6_606
; %bb.601:                              ;   in Loop: Header=BB6_348 Depth=4
	v_cmp_ne_u16_e32 vcc, s91, v12
	v_bfrev_b32_e32 v13, 1
	s_and_saveexec_b64 s[66:67], vcc
	s_cbranch_execz .LBB6_605
; %bb.602:                              ;   in Loop: Header=BB6_348 Depth=4
	v_and_b32_e32 v16, 0x7f, v46
	v_cmp_ne_u32_e32 vcc, s92, v16
	v_mov_b32_e32 v13, 0x7f800001
	s_and_saveexec_b64 s[68:69], vcc
	s_cbranch_execz .LBB6_604
; %bb.603:                              ;   in Loop: Header=BB6_348 Depth=4
	v_and_b32_e32 v17, 7, v12
	v_ffbh_u32_e32 v13, v17
	v_min_u32_e32 v29, 32, v13
	v_subrev_u32_e32 v13, 28, v29
	v_lshlrev_b64 v[12:13], v13, v[12:13]
	v_lshrrev_b32_e32 v26, 3, v16
	v_sub_u32_e32 v13, 29, v29
	v_and_b32_e32 v12, 7, v12
	v_cmp_gt_u32_e32 vcc, 8, v16
	v_cndmask_b32_e32 v13, v26, v13, vcc
	v_cndmask_b32_e32 v12, v17, v12, vcc
	v_lshlrev_b32_e32 v16, 24, v46
	v_lshlrev_b32_e32 v12, 20, v12
	v_and_b32_e32 v16, 0x80000000, v16
	v_lshl_add_u32 v13, v13, 23, v31
	v_or3_b32 v13, v16, v13, v12
.LBB6_604:                              ;   in Loop: Header=BB6_348 Depth=4
	s_or_b64 exec, exec, s[68:69]
.LBB6_605:                              ;   in Loop: Header=BB6_348 Depth=4
	s_or_b64 exec, exec, s[66:67]
.LBB6_606:                              ;   in Loop: Header=BB6_348 Depth=4
	s_or_b64 exec, exec, s[28:29]
	v_and_b32_e32 v12, 0xff, v44
	v_cmp_ne_u16_e32 vcc, 0, v12
	s_and_saveexec_b64 s[28:29], vcc
	s_cbranch_execz .LBB6_612
; %bb.607:                              ;   in Loop: Header=BB6_348 Depth=4
	v_cmp_ne_u16_e32 vcc, s91, v12
	v_bfrev_b32_e32 v3, 1
	s_and_saveexec_b64 s[66:67], vcc
	s_cbranch_execz .LBB6_611
; %bb.608:                              ;   in Loop: Header=BB6_348 Depth=4
	v_and_b32_e32 v16, 0x7f, v44
	v_cmp_ne_u32_e32 vcc, s92, v16
	v_mov_b32_e32 v3, 0x7f800001
	s_and_saveexec_b64 s[68:69], vcc
	s_cbranch_execz .LBB6_610
; %bb.609:                              ;   in Loop: Header=BB6_348 Depth=4
	v_and_b32_e32 v3, 7, v12
	v_ffbh_u32_e32 v26, v3
	v_min_u32_e32 v26, 32, v26
	v_subrev_u32_e32 v29, 28, v26
	v_lshlrev_b64 v[32:33], v29, v[12:13]
	v_lshrrev_b32_e32 v17, 3, v16
	v_sub_u32_e32 v12, 29, v26
	v_and_b32_e32 v26, 7, v32
	v_cmp_gt_u32_e32 vcc, 8, v16
	v_cndmask_b32_e32 v12, v17, v12, vcc
	v_cndmask_b32_e32 v3, v3, v26, vcc
	v_lshlrev_b32_e32 v16, 24, v44
	v_lshlrev_b32_e32 v3, 20, v3
	v_and_b32_e32 v16, 0x80000000, v16
	v_lshl_add_u32 v12, v12, 23, v31
	v_or3_b32 v3, v16, v12, v3
.LBB6_610:                              ;   in Loop: Header=BB6_348 Depth=4
	s_or_b64 exec, exec, s[68:69]
.LBB6_611:                              ;   in Loop: Header=BB6_348 Depth=4
	s_or_b64 exec, exec, s[66:67]
.LBB6_612:                              ;   in Loop: Header=BB6_348 Depth=4
	s_or_b64 exec, exec, s[28:29]
	v_add_f32_e32 v12, v13, v3
	v_and_b32_sdwa v3, v12, s91 dst_sel:DWORD dst_unused:UNUSED_PAD src0_sel:BYTE_3 src1_sel:DWORD
	v_and_b32_e32 v16, 0x7f800000, v12
	v_mov_b32_e32 v17, v27
	v_and_b32_e32 v26, 0x7fffff, v12
	v_or_b32_e32 v44, 0x7e, v3
	v_cmp_ne_u64_e32 vcc, s[52:53], v[16:17]
	s_and_saveexec_b64 s[28:29], vcc
	s_xor_b64 s[66:67], exec, s[28:29]
	s_cbranch_execz .LBB6_626
; %bb.613:                              ;   in Loop: Header=BB6_348 Depth=4
	v_and_b32_e32 v16, 0x7fffffff, v12
	v_mov_b32_e32 v17, v27
	v_cmp_gt_u64_e32 vcc, s[54:55], v[16:17]
	s_and_saveexec_b64 s[28:29], vcc
	s_xor_b64 s[68:69], exec, s[28:29]
	s_cbranch_execz .LBB6_625
; %bb.614:                              ;   in Loop: Header=BB6_348 Depth=4
	v_cmp_ne_u32_e32 vcc, 0, v12
	v_mov_b32_e32 v44, 0
	s_and_saveexec_b64 s[70:71], vcc
	s_cbranch_execz .LBB6_624
; %bb.615:                              ;   in Loop: Header=BB6_348 Depth=4
	v_bfe_u32 v12, v12, 23, 8
	v_cmp_eq_u32_e32 vcc, 0, v12
	v_add_u32_e32 v13, 0xffffff81, v12
	v_cmp_gt_u32_e64 s[28:29], s93, v12
	v_sub_u32_e32 v12, 0x79, v12
	v_mov_b32_e32 v0, 0xffffff82
	v_cndmask_b32_e64 v12, 0, v12, s[28:29]
	v_cndmask_b32_e32 v29, v13, v0, vcc
	v_mov_b32_e32 v0, 0x78
	v_cndmask_b32_e32 v32, v12, v0, vcc
	v_add_u32_e32 v12, 20, v32
	v_or_b32_e32 v16, 0x800000, v26
	v_lshlrev_b64 v[12:13], v12, -1
	v_cndmask_b32_e32 v26, v16, v26, vcc
	v_not_b32_e32 v13, v13
	v_not_b32_e32 v12, v12
	v_add_u32_e32 v16, 19, v32
	v_and_b32_e32 v13, 0, v13
	v_and_b32_e32 v12, v26, v12
	v_lshlrev_b64 v[16:17], v16, 1
	v_cmp_eq_u64_e32 vcc, v[12:13], v[16:17]
	v_lshrrev_b64 v[12:13], v32, v[26:27]
	v_lshrrev_b32_e32 v16, 23, v12
	v_add3_u32 v26, v32, v29, v16
	v_bfe_u32 v16, v12, 20, 1
	v_add_u32_e32 v16, -1, v16
	v_cndmask_b32_e32 v16, 0, v16, vcc
	v_add_u32_e32 v16, v16, v12
	v_and_b32_e32 v16, 0xfffff, v16
	v_add_co_u32_e32 v12, vcc, v16, v12
	v_add_u32_e32 v17, 6, v26
	v_addc_co_u32_e32 v13, vcc, 0, v13, vcc
	v_cmp_ne_u32_e32 vcc, 0, v17
                                        ; implicit-def: $vgpr16
	s_and_saveexec_b64 s[28:29], vcc
	s_xor_b64 s[28:29], exec, s[28:29]
; %bb.616:                              ;   in Loop: Header=BB6_348 Depth=4
	v_add_u32_e32 v16, 7, v26
	v_cmp_lt_u64_e32 vcc, s[56:57], v[12:13]
	v_cndmask_b32_e32 v16, v17, v16, vcc
	v_cndmask_b32_e64 v17, 0, 1, vcc
	v_lshrrev_b64 v[12:13], v17, v[12:13]
; %bb.617:                              ;   in Loop: Header=BB6_348 Depth=4
	s_andn2_saveexec_b64 s[28:29], s[28:29]
; %bb.618:                              ;   in Loop: Header=BB6_348 Depth=4
	v_bfe_u32 v16, v12, 23, 1
; %bb.619:                              ;   in Loop: Header=BB6_348 Depth=4
	s_or_b64 exec, exec, s[28:29]
	v_lshrrev_b64 v[12:13], 20, v[12:13]
	v_cmp_gt_i32_e32 vcc, 16, v16
	v_cndmask_b32_e32 v13, 0, v13, vcc
	v_cndmask_b32_e32 v12, 7, v12, vcc
	v_cmp_ne_u32_e32 vcc, 0, v16
	v_cmp_ne_u64_e64 s[28:29], 0, v[12:13]
	s_or_b64 s[28:29], vcc, s[28:29]
                                        ; implicit-def: $vgpr44
	s_and_saveexec_b64 vcc, s[28:29]
	s_xor_b64 s[28:29], exec, vcc
; %bb.620:                              ;   in Loop: Header=BB6_348 Depth=4
	v_min_i32_e32 v13, 15, v16
	v_lshl_or_b32 v3, v13, 3, v3
	v_and_or_b32 v44, v12, 7, v3
                                        ; implicit-def: $vgpr3
; %bb.621:                              ;   in Loop: Header=BB6_348 Depth=4
	s_andn2_saveexec_b64 s[28:29], s[28:29]
; %bb.622:                              ;   in Loop: Header=BB6_348 Depth=4
	v_mov_b32_e32 v44, v3
; %bb.623:                              ;   in Loop: Header=BB6_348 Depth=4
	s_or_b64 exec, exec, s[28:29]
.LBB6_624:                              ;   in Loop: Header=BB6_348 Depth=4
	s_or_b64 exec, exec, s[70:71]
.LBB6_625:                              ;   in Loop: Header=BB6_348 Depth=4
	s_andn2_saveexec_b64 s[28:29], s[68:69]
	s_or_b64 exec, exec, s[28:29]
                                        ; implicit-def: $vgpr12
.LBB6_626:                              ;   in Loop: Header=BB6_348 Depth=4
	s_andn2_saveexec_b64 s[28:29], s[66:67]
; %bb.627:                              ;   in Loop: Header=BB6_348 Depth=4
	v_or_b32_sdwa v3, v12, s92 dst_sel:DWORD dst_unused:UNUSED_PAD src0_sel:BYTE_3 src1_sel:DWORD
	v_cmp_eq_u64_e32 vcc, 0, v[26:27]
	v_cndmask_b32_e32 v44, v3, v44, vcc
; %bb.628:                              ;   in Loop: Header=BB6_348 Depth=4
	s_or_b64 exec, exec, s[28:29]
	v_and_b32_e32 v12, 0xff, v40
	v_cmp_ne_u16_e32 vcc, 0, v12
	v_mov_b32_e32 v3, 0
	v_mov_b32_e32 v13, 0
	s_and_saveexec_b64 s[28:29], vcc
	s_cbranch_execz .LBB6_634
; %bb.629:                              ;   in Loop: Header=BB6_348 Depth=4
	v_cmp_ne_u16_e32 vcc, s91, v12
	v_bfrev_b32_e32 v13, 1
	s_and_saveexec_b64 s[66:67], vcc
	s_cbranch_execz .LBB6_633
; %bb.630:                              ;   in Loop: Header=BB6_348 Depth=4
	v_and_b32_e32 v16, 0x7f, v40
	v_cmp_ne_u32_e32 vcc, s92, v16
	v_mov_b32_e32 v13, 0x7f800001
	s_and_saveexec_b64 s[68:69], vcc
	s_cbranch_execz .LBB6_632
; %bb.631:                              ;   in Loop: Header=BB6_348 Depth=4
	v_and_b32_e32 v17, 7, v12
	v_ffbh_u32_e32 v13, v17
	v_min_u32_e32 v29, 32, v13
	v_subrev_u32_e32 v13, 28, v29
	v_lshlrev_b64 v[12:13], v13, v[12:13]
	v_lshrrev_b32_e32 v26, 3, v16
	v_sub_u32_e32 v13, 29, v29
	v_and_b32_e32 v12, 7, v12
	v_cmp_gt_u32_e32 vcc, 8, v16
	v_cndmask_b32_e32 v13, v26, v13, vcc
	v_cndmask_b32_e32 v12, v17, v12, vcc
	v_lshlrev_b32_e32 v16, 24, v40
	v_lshlrev_b32_e32 v12, 20, v12
	v_and_b32_e32 v16, 0x80000000, v16
	v_lshl_add_u32 v13, v13, 23, v31
	v_or3_b32 v13, v16, v13, v12
.LBB6_632:                              ;   in Loop: Header=BB6_348 Depth=4
	s_or_b64 exec, exec, s[68:69]
.LBB6_633:                              ;   in Loop: Header=BB6_348 Depth=4
	s_or_b64 exec, exec, s[66:67]
.LBB6_634:                              ;   in Loop: Header=BB6_348 Depth=4
	s_or_b64 exec, exec, s[28:29]
	v_and_b32_e32 v12, 0xff, v53
	v_cmp_ne_u16_e32 vcc, 0, v12
	s_and_saveexec_b64 s[28:29], vcc
	s_cbranch_execz .LBB6_640
; %bb.635:                              ;   in Loop: Header=BB6_348 Depth=4
	v_cmp_ne_u16_e32 vcc, s91, v12
	v_bfrev_b32_e32 v3, 1
	s_and_saveexec_b64 s[66:67], vcc
	s_cbranch_execz .LBB6_639
; %bb.636:                              ;   in Loop: Header=BB6_348 Depth=4
	v_and_b32_e32 v16, 0x7f, v53
	v_cmp_ne_u32_e32 vcc, s92, v16
	v_mov_b32_e32 v3, 0x7f800001
	s_and_saveexec_b64 s[68:69], vcc
	s_cbranch_execz .LBB6_638
; %bb.637:                              ;   in Loop: Header=BB6_348 Depth=4
	v_and_b32_e32 v3, 7, v12
	v_ffbh_u32_e32 v26, v3
	v_min_u32_e32 v26, 32, v26
	v_subrev_u32_e32 v29, 28, v26
	v_lshlrev_b64 v[32:33], v29, v[12:13]
	v_lshrrev_b32_e32 v17, 3, v16
	v_sub_u32_e32 v12, 29, v26
	v_and_b32_e32 v26, 7, v32
	v_cmp_gt_u32_e32 vcc, 8, v16
	v_cndmask_b32_e32 v12, v17, v12, vcc
	v_cndmask_b32_e32 v3, v3, v26, vcc
	v_lshlrev_b32_e32 v16, 24, v53
	v_lshlrev_b32_e32 v3, 20, v3
	v_and_b32_e32 v16, 0x80000000, v16
	v_lshl_add_u32 v12, v12, 23, v31
	v_or3_b32 v3, v16, v12, v3
.LBB6_638:                              ;   in Loop: Header=BB6_348 Depth=4
	s_or_b64 exec, exec, s[68:69]
.LBB6_639:                              ;   in Loop: Header=BB6_348 Depth=4
	s_or_b64 exec, exec, s[66:67]
.LBB6_640:                              ;   in Loop: Header=BB6_348 Depth=4
	s_or_b64 exec, exec, s[28:29]
	v_add_f32_e32 v12, v13, v3
	v_and_b32_sdwa v3, v12, s91 dst_sel:DWORD dst_unused:UNUSED_PAD src0_sel:BYTE_3 src1_sel:DWORD
	v_and_b32_e32 v32, 0x7f800000, v12
	v_mov_b32_e32 v33, v27
	v_and_b32_e32 v26, 0x7fffff, v12
	v_or_b32_e32 v16, 0x7e, v3
	v_cmp_ne_u64_e32 vcc, s[52:53], v[32:33]
	s_and_saveexec_b64 s[28:29], vcc
	s_xor_b64 s[66:67], exec, s[28:29]
	s_cbranch_execz .LBB6_654
; %bb.641:                              ;   in Loop: Header=BB6_348 Depth=4
	v_and_b32_e32 v32, 0x7fffffff, v12
	v_mov_b32_e32 v33, v27
	v_cmp_gt_u64_e32 vcc, s[54:55], v[32:33]
	s_and_saveexec_b64 s[28:29], vcc
	s_xor_b64 s[68:69], exec, s[28:29]
	s_cbranch_execz .LBB6_653
; %bb.642:                              ;   in Loop: Header=BB6_348 Depth=4
	v_cmp_ne_u32_e32 vcc, 0, v12
	v_mov_b32_e32 v16, 0
	s_and_saveexec_b64 s[70:71], vcc
	s_cbranch_execz .LBB6_652
; %bb.643:                              ;   in Loop: Header=BB6_348 Depth=4
	v_bfe_u32 v12, v12, 23, 8
	v_cmp_eq_u32_e32 vcc, 0, v12
	v_add_u32_e32 v13, 0xffffff81, v12
	v_cmp_gt_u32_e64 s[28:29], s93, v12
	v_sub_u32_e32 v12, 0x79, v12
	v_mov_b32_e32 v0, 0xffffff82
	v_cndmask_b32_e64 v12, 0, v12, s[28:29]
	v_cndmask_b32_e32 v29, v13, v0, vcc
	v_mov_b32_e32 v0, 0x78
	v_cndmask_b32_e32 v32, v12, v0, vcc
	v_add_u32_e32 v12, 20, v32
	v_or_b32_e32 v16, 0x800000, v26
	v_lshlrev_b64 v[12:13], v12, -1
	v_cndmask_b32_e32 v26, v16, v26, vcc
	v_not_b32_e32 v13, v13
	v_not_b32_e32 v12, v12
	v_add_u32_e32 v16, 19, v32
	v_and_b32_e32 v13, 0, v13
	v_and_b32_e32 v12, v26, v12
	v_lshlrev_b64 v[16:17], v16, 1
	v_cmp_eq_u64_e32 vcc, v[12:13], v[16:17]
	v_lshrrev_b64 v[12:13], v32, v[26:27]
	v_bfe_u32 v17, v12, 20, 1
	v_add_u32_e32 v17, -1, v17
	v_cndmask_b32_e32 v17, 0, v17, vcc
	v_add_u32_e32 v17, v17, v12
	v_lshrrev_b32_e32 v16, 23, v12
	v_and_b32_e32 v17, 0xfffff, v17
	v_add3_u32 v26, v32, v29, v16
	v_add_co_u32_e32 v12, vcc, v17, v12
	v_add_u32_e32 v16, 6, v26
	v_addc_co_u32_e32 v13, vcc, 0, v13, vcc
	v_cmp_ne_u32_e32 vcc, 0, v16
                                        ; implicit-def: $vgpr17
	s_and_saveexec_b64 s[28:29], vcc
	s_xor_b64 s[28:29], exec, s[28:29]
; %bb.644:                              ;   in Loop: Header=BB6_348 Depth=4
	v_add_u32_e32 v17, 7, v26
	v_cmp_lt_u64_e32 vcc, s[56:57], v[12:13]
	v_cndmask_b32_e32 v17, v16, v17, vcc
	v_cndmask_b32_e64 v16, 0, 1, vcc
	v_lshrrev_b64 v[12:13], v16, v[12:13]
; %bb.645:                              ;   in Loop: Header=BB6_348 Depth=4
	s_andn2_saveexec_b64 s[28:29], s[28:29]
; %bb.646:                              ;   in Loop: Header=BB6_348 Depth=4
	v_bfe_u32 v17, v12, 23, 1
; %bb.647:                              ;   in Loop: Header=BB6_348 Depth=4
	s_or_b64 exec, exec, s[28:29]
	v_lshrrev_b64 v[12:13], 20, v[12:13]
	v_cmp_gt_i32_e32 vcc, 16, v17
	v_cndmask_b32_e32 v13, 0, v13, vcc
	v_cndmask_b32_e32 v12, 7, v12, vcc
	v_cmp_ne_u32_e32 vcc, 0, v17
	v_cmp_ne_u64_e64 s[28:29], 0, v[12:13]
	s_or_b64 s[28:29], vcc, s[28:29]
                                        ; implicit-def: $vgpr16
	s_and_saveexec_b64 vcc, s[28:29]
	s_xor_b64 s[28:29], exec, vcc
; %bb.648:                              ;   in Loop: Header=BB6_348 Depth=4
	v_min_i32_e32 v13, 15, v17
	v_lshl_or_b32 v3, v13, 3, v3
	v_and_or_b32 v16, v12, 7, v3
                                        ; implicit-def: $vgpr3
; %bb.649:                              ;   in Loop: Header=BB6_348 Depth=4
	s_andn2_saveexec_b64 s[28:29], s[28:29]
; %bb.650:                              ;   in Loop: Header=BB6_348 Depth=4
	v_mov_b32_e32 v16, v3
; %bb.651:                              ;   in Loop: Header=BB6_348 Depth=4
	s_or_b64 exec, exec, s[28:29]
.LBB6_652:                              ;   in Loop: Header=BB6_348 Depth=4
	s_or_b64 exec, exec, s[70:71]
.LBB6_653:                              ;   in Loop: Header=BB6_348 Depth=4
	s_andn2_saveexec_b64 s[28:29], s[68:69]
	s_or_b64 exec, exec, s[28:29]
                                        ; implicit-def: $vgpr12
.LBB6_654:                              ;   in Loop: Header=BB6_348 Depth=4
	s_andn2_saveexec_b64 s[28:29], s[66:67]
; %bb.655:                              ;   in Loop: Header=BB6_348 Depth=4
	v_or_b32_sdwa v3, v12, s92 dst_sel:DWORD dst_unused:UNUSED_PAD src0_sel:BYTE_3 src1_sel:DWORD
	v_cmp_eq_u64_e32 vcc, 0, v[26:27]
	v_cndmask_b32_e32 v16, v3, v16, vcc
; %bb.656:                              ;   in Loop: Header=BB6_348 Depth=4
	s_or_b64 exec, exec, s[28:29]
	v_and_b32_e32 v12, 0xff, v39
	v_cmp_ne_u16_e32 vcc, 0, v12
	v_mov_b32_e32 v3, 0
	v_mov_b32_e32 v13, 0
	s_and_saveexec_b64 s[28:29], vcc
	s_cbranch_execz .LBB6_662
; %bb.657:                              ;   in Loop: Header=BB6_348 Depth=4
	v_cmp_ne_u16_e32 vcc, s91, v12
	v_bfrev_b32_e32 v13, 1
	s_and_saveexec_b64 s[66:67], vcc
	s_cbranch_execz .LBB6_661
; %bb.658:                              ;   in Loop: Header=BB6_348 Depth=4
	v_and_b32_e32 v17, 0x7f, v39
	v_cmp_ne_u32_e32 vcc, s92, v17
	v_mov_b32_e32 v13, 0x7f800001
	s_and_saveexec_b64 s[68:69], vcc
	s_cbranch_execz .LBB6_660
; %bb.659:                              ;   in Loop: Header=BB6_348 Depth=4
	v_and_b32_e32 v26, 7, v12
	v_ffbh_u32_e32 v13, v26
	v_min_u32_e32 v32, 32, v13
	v_subrev_u32_e32 v13, 28, v32
	v_lshlrev_b64 v[12:13], v13, v[12:13]
	v_lshrrev_b32_e32 v29, 3, v17
	v_sub_u32_e32 v13, 29, v32
	v_and_b32_e32 v12, 7, v12
	v_cmp_gt_u32_e32 vcc, 8, v17
	v_cndmask_b32_e32 v13, v29, v13, vcc
	v_cndmask_b32_e32 v12, v26, v12, vcc
	v_lshlrev_b32_e32 v17, 24, v39
	v_lshlrev_b32_e32 v12, 20, v12
	v_and_b32_e32 v17, 0x80000000, v17
	v_lshl_add_u32 v13, v13, 23, v31
	v_or3_b32 v13, v17, v13, v12
.LBB6_660:                              ;   in Loop: Header=BB6_348 Depth=4
	s_or_b64 exec, exec, s[68:69]
.LBB6_661:                              ;   in Loop: Header=BB6_348 Depth=4
	s_or_b64 exec, exec, s[66:67]
.LBB6_662:                              ;   in Loop: Header=BB6_348 Depth=4
	s_or_b64 exec, exec, s[28:29]
	v_and_b32_e32 v12, 0xff, v38
	v_cmp_ne_u16_e32 vcc, 0, v12
	s_and_saveexec_b64 s[28:29], vcc
	s_cbranch_execz .LBB6_668
; %bb.663:                              ;   in Loop: Header=BB6_348 Depth=4
	v_cmp_ne_u16_e32 vcc, s91, v12
	v_bfrev_b32_e32 v3, 1
	s_and_saveexec_b64 s[66:67], vcc
	s_cbranch_execz .LBB6_667
; %bb.664:                              ;   in Loop: Header=BB6_348 Depth=4
	v_and_b32_e32 v17, 0x7f, v38
	v_cmp_ne_u32_e32 vcc, s92, v17
	v_mov_b32_e32 v3, 0x7f800001
	s_and_saveexec_b64 s[68:69], vcc
	s_cbranch_execz .LBB6_666
; %bb.665:                              ;   in Loop: Header=BB6_348 Depth=4
	v_and_b32_e32 v3, 7, v12
	v_ffbh_u32_e32 v29, v3
	v_min_u32_e32 v29, 32, v29
	v_subrev_u32_e32 v32, 28, v29
	v_lshlrev_b64 v[32:33], v32, v[12:13]
	v_lshrrev_b32_e32 v26, 3, v17
	v_sub_u32_e32 v12, 29, v29
	v_and_b32_e32 v29, 7, v32
	v_cmp_gt_u32_e32 vcc, 8, v17
	v_cndmask_b32_e32 v12, v26, v12, vcc
	v_cndmask_b32_e32 v3, v3, v29, vcc
	v_lshlrev_b32_e32 v17, 24, v38
	v_lshlrev_b32_e32 v3, 20, v3
	v_and_b32_e32 v17, 0x80000000, v17
	v_lshl_add_u32 v12, v12, 23, v31
	v_or3_b32 v3, v17, v12, v3
.LBB6_666:                              ;   in Loop: Header=BB6_348 Depth=4
	s_or_b64 exec, exec, s[68:69]
.LBB6_667:                              ;   in Loop: Header=BB6_348 Depth=4
	s_or_b64 exec, exec, s[66:67]
.LBB6_668:                              ;   in Loop: Header=BB6_348 Depth=4
	s_or_b64 exec, exec, s[28:29]
	v_add_f32_e32 v12, v13, v3
	v_and_b32_sdwa v3, v12, s91 dst_sel:DWORD dst_unused:UNUSED_PAD src0_sel:BYTE_3 src1_sel:DWORD
	v_and_b32_e32 v32, 0x7f800000, v12
	v_mov_b32_e32 v33, v27
	v_and_b32_e32 v26, 0x7fffff, v12
	v_or_b32_e32 v38, 0x7e, v3
	v_cmp_ne_u64_e32 vcc, s[52:53], v[32:33]
	s_and_saveexec_b64 s[28:29], vcc
	s_xor_b64 s[66:67], exec, s[28:29]
	s_cbranch_execz .LBB6_682
; %bb.669:                              ;   in Loop: Header=BB6_348 Depth=4
	v_and_b32_e32 v32, 0x7fffffff, v12
	v_mov_b32_e32 v33, v27
	v_cmp_gt_u64_e32 vcc, s[54:55], v[32:33]
	s_and_saveexec_b64 s[28:29], vcc
	s_xor_b64 s[68:69], exec, s[28:29]
	s_cbranch_execz .LBB6_681
; %bb.670:                              ;   in Loop: Header=BB6_348 Depth=4
	v_cmp_ne_u32_e32 vcc, 0, v12
	v_mov_b32_e32 v38, 0
	s_and_saveexec_b64 s[70:71], vcc
	s_cbranch_execz .LBB6_680
; %bb.671:                              ;   in Loop: Header=BB6_348 Depth=4
	v_bfe_u32 v12, v12, 23, 8
	v_cmp_eq_u32_e32 vcc, 0, v12
	v_add_u32_e32 v13, 0xffffff81, v12
	v_cmp_gt_u32_e64 s[28:29], s93, v12
	v_sub_u32_e32 v12, 0x79, v12
	v_mov_b32_e32 v0, 0xffffff82
	v_cndmask_b32_e64 v12, 0, v12, s[28:29]
	v_cndmask_b32_e32 v29, v13, v0, vcc
	v_mov_b32_e32 v0, 0x78
	v_cndmask_b32_e32 v34, v12, v0, vcc
	v_add_u32_e32 v12, 20, v34
	v_or_b32_e32 v17, 0x800000, v26
	v_lshlrev_b64 v[12:13], v12, -1
	v_cndmask_b32_e32 v26, v17, v26, vcc
	v_not_b32_e32 v13, v13
	v_not_b32_e32 v12, v12
	v_add_u32_e32 v17, 19, v34
	v_and_b32_e32 v13, 0, v13
	v_and_b32_e32 v12, v26, v12
	v_lshlrev_b64 v[32:33], v17, 1
	v_cmp_eq_u64_e32 vcc, v[12:13], v[32:33]
	v_lshrrev_b64 v[12:13], v34, v[26:27]
	v_lshrrev_b32_e32 v17, 23, v12
	v_add3_u32 v29, v34, v29, v17
	v_bfe_u32 v17, v12, 20, 1
	v_add_u32_e32 v17, -1, v17
	v_cndmask_b32_e32 v17, 0, v17, vcc
	v_add_u32_e32 v17, v17, v12
	v_and_b32_e32 v17, 0xfffff, v17
	v_add_co_u32_e32 v12, vcc, v17, v12
	v_add_u32_e32 v26, 6, v29
	v_addc_co_u32_e32 v13, vcc, 0, v13, vcc
	v_cmp_ne_u32_e32 vcc, 0, v26
                                        ; implicit-def: $vgpr17
	s_and_saveexec_b64 s[28:29], vcc
	s_xor_b64 s[28:29], exec, s[28:29]
; %bb.672:                              ;   in Loop: Header=BB6_348 Depth=4
	v_add_u32_e32 v17, 7, v29
	v_cmp_lt_u64_e32 vcc, s[56:57], v[12:13]
	v_cndmask_b32_e32 v17, v26, v17, vcc
	v_cndmask_b32_e64 v26, 0, 1, vcc
	v_lshrrev_b64 v[12:13], v26, v[12:13]
; %bb.673:                              ;   in Loop: Header=BB6_348 Depth=4
	s_andn2_saveexec_b64 s[28:29], s[28:29]
; %bb.674:                              ;   in Loop: Header=BB6_348 Depth=4
	v_bfe_u32 v17, v12, 23, 1
; %bb.675:                              ;   in Loop: Header=BB6_348 Depth=4
	s_or_b64 exec, exec, s[28:29]
	v_lshrrev_b64 v[12:13], 20, v[12:13]
	v_cmp_gt_i32_e32 vcc, 16, v17
	v_cndmask_b32_e32 v13, 0, v13, vcc
	v_cndmask_b32_e32 v12, 7, v12, vcc
	v_cmp_ne_u32_e32 vcc, 0, v17
	v_cmp_ne_u64_e64 s[28:29], 0, v[12:13]
	s_or_b64 s[28:29], vcc, s[28:29]
                                        ; implicit-def: $vgpr38
	s_and_saveexec_b64 vcc, s[28:29]
	s_xor_b64 s[28:29], exec, vcc
; %bb.676:                              ;   in Loop: Header=BB6_348 Depth=4
	v_min_i32_e32 v13, 15, v17
	v_lshl_or_b32 v3, v13, 3, v3
	v_and_or_b32 v38, v12, 7, v3
                                        ; implicit-def: $vgpr3
; %bb.677:                              ;   in Loop: Header=BB6_348 Depth=4
	s_andn2_saveexec_b64 s[28:29], s[28:29]
; %bb.678:                              ;   in Loop: Header=BB6_348 Depth=4
	v_mov_b32_e32 v38, v3
; %bb.679:                              ;   in Loop: Header=BB6_348 Depth=4
	s_or_b64 exec, exec, s[28:29]
.LBB6_680:                              ;   in Loop: Header=BB6_348 Depth=4
	s_or_b64 exec, exec, s[70:71]
.LBB6_681:                              ;   in Loop: Header=BB6_348 Depth=4
	s_andn2_saveexec_b64 s[28:29], s[68:69]
	s_or_b64 exec, exec, s[28:29]
                                        ; implicit-def: $vgpr12
.LBB6_682:                              ;   in Loop: Header=BB6_348 Depth=4
	s_andn2_saveexec_b64 s[28:29], s[66:67]
; %bb.683:                              ;   in Loop: Header=BB6_348 Depth=4
	v_or_b32_sdwa v3, v12, s92 dst_sel:DWORD dst_unused:UNUSED_PAD src0_sel:BYTE_3 src1_sel:DWORD
	v_cmp_eq_u64_e32 vcc, 0, v[26:27]
	v_cndmask_b32_e32 v38, v3, v38, vcc
; %bb.684:                              ;   in Loop: Header=BB6_348 Depth=4
	s_or_b64 exec, exec, s[28:29]
	v_and_b32_e32 v12, 0xff, v36
	v_cmp_ne_u16_e32 vcc, 0, v12
	v_mov_b32_e32 v3, 0
	v_mov_b32_e32 v13, 0
	s_and_saveexec_b64 s[28:29], vcc
	s_cbranch_execz .LBB6_690
; %bb.685:                              ;   in Loop: Header=BB6_348 Depth=4
	v_cmp_ne_u16_e32 vcc, s91, v12
	v_bfrev_b32_e32 v13, 1
	s_and_saveexec_b64 s[66:67], vcc
	s_cbranch_execz .LBB6_689
; %bb.686:                              ;   in Loop: Header=BB6_348 Depth=4
	v_and_b32_e32 v17, 0x7f, v36
	v_cmp_ne_u32_e32 vcc, s92, v17
	v_mov_b32_e32 v13, 0x7f800001
	s_and_saveexec_b64 s[68:69], vcc
	s_cbranch_execz .LBB6_688
; %bb.687:                              ;   in Loop: Header=BB6_348 Depth=4
	v_and_b32_e32 v26, 7, v12
	v_ffbh_u32_e32 v13, v26
	v_min_u32_e32 v32, 32, v13
	v_subrev_u32_e32 v13, 28, v32
	v_lshlrev_b64 v[12:13], v13, v[12:13]
	v_lshrrev_b32_e32 v29, 3, v17
	v_sub_u32_e32 v13, 29, v32
	v_and_b32_e32 v12, 7, v12
	v_cmp_gt_u32_e32 vcc, 8, v17
	v_cndmask_b32_e32 v13, v29, v13, vcc
	v_cndmask_b32_e32 v12, v26, v12, vcc
	v_lshlrev_b32_e32 v17, 24, v36
	v_lshlrev_b32_e32 v12, 20, v12
	v_and_b32_e32 v17, 0x80000000, v17
	v_lshl_add_u32 v13, v13, 23, v31
	v_or3_b32 v13, v17, v13, v12
.LBB6_688:                              ;   in Loop: Header=BB6_348 Depth=4
	s_or_b64 exec, exec, s[68:69]
.LBB6_689:                              ;   in Loop: Header=BB6_348 Depth=4
	s_or_b64 exec, exec, s[66:67]
.LBB6_690:                              ;   in Loop: Header=BB6_348 Depth=4
	s_or_b64 exec, exec, s[28:29]
	v_and_b32_e32 v12, 0xff, v30
	v_cmp_ne_u16_e32 vcc, 0, v12
	s_and_saveexec_b64 s[28:29], vcc
	s_cbranch_execz .LBB6_696
; %bb.691:                              ;   in Loop: Header=BB6_348 Depth=4
	v_cmp_ne_u16_e32 vcc, s91, v12
	v_bfrev_b32_e32 v3, 1
	s_and_saveexec_b64 s[66:67], vcc
	s_cbranch_execz .LBB6_695
; %bb.692:                              ;   in Loop: Header=BB6_348 Depth=4
	v_and_b32_e32 v17, 0x7f, v30
	v_cmp_ne_u32_e32 vcc, s92, v17
	v_mov_b32_e32 v3, 0x7f800001
	s_and_saveexec_b64 s[68:69], vcc
	s_cbranch_execz .LBB6_694
; %bb.693:                              ;   in Loop: Header=BB6_348 Depth=4
	v_and_b32_e32 v3, 7, v12
	v_ffbh_u32_e32 v29, v3
	v_min_u32_e32 v29, 32, v29
	v_subrev_u32_e32 v32, 28, v29
	v_lshlrev_b64 v[32:33], v32, v[12:13]
	v_lshrrev_b32_e32 v26, 3, v17
	v_sub_u32_e32 v12, 29, v29
	v_and_b32_e32 v29, 7, v32
	v_cmp_gt_u32_e32 vcc, 8, v17
	v_cndmask_b32_e32 v12, v26, v12, vcc
	v_cndmask_b32_e32 v3, v3, v29, vcc
	v_lshlrev_b32_e32 v17, 24, v30
	v_lshlrev_b32_e32 v3, 20, v3
	v_and_b32_e32 v17, 0x80000000, v17
	v_lshl_add_u32 v12, v12, 23, v31
	v_or3_b32 v3, v17, v12, v3
.LBB6_694:                              ;   in Loop: Header=BB6_348 Depth=4
	s_or_b64 exec, exec, s[68:69]
.LBB6_695:                              ;   in Loop: Header=BB6_348 Depth=4
	s_or_b64 exec, exec, s[66:67]
.LBB6_696:                              ;   in Loop: Header=BB6_348 Depth=4
	s_or_b64 exec, exec, s[28:29]
	v_add_f32_e32 v12, v13, v3
	v_and_b32_sdwa v17, v12, s91 dst_sel:DWORD dst_unused:UNUSED_PAD src0_sel:BYTE_3 src1_sel:DWORD
	v_and_b32_e32 v32, 0x7f800000, v12
	v_mov_b32_e32 v33, v27
	v_and_b32_e32 v26, 0x7fffff, v12
	v_or_b32_e32 v3, 0x7e, v17
	v_cmp_ne_u64_e32 vcc, s[52:53], v[32:33]
	s_and_saveexec_b64 s[28:29], vcc
	s_xor_b64 s[66:67], exec, s[28:29]
	s_cbranch_execz .LBB6_710
; %bb.697:                              ;   in Loop: Header=BB6_348 Depth=4
	v_and_b32_e32 v32, 0x7fffffff, v12
	v_mov_b32_e32 v33, v27
	v_cmp_gt_u64_e32 vcc, s[54:55], v[32:33]
	s_and_saveexec_b64 s[28:29], vcc
	s_xor_b64 s[68:69], exec, s[28:29]
	s_cbranch_execz .LBB6_709
; %bb.698:                              ;   in Loop: Header=BB6_348 Depth=4
	v_cmp_ne_u32_e32 vcc, 0, v12
	v_mov_b32_e32 v3, 0
	s_and_saveexec_b64 s[70:71], vcc
	s_cbranch_execz .LBB6_708
; %bb.699:                              ;   in Loop: Header=BB6_348 Depth=4
	v_bfe_u32 v3, v12, 23, 8
	v_cmp_eq_u32_e32 vcc, 0, v3
	v_add_u32_e32 v12, 0xffffff81, v3
	v_cmp_gt_u32_e64 s[28:29], s93, v3
	v_sub_u32_e32 v3, 0x79, v3
	v_mov_b32_e32 v0, 0xffffff82
	v_cndmask_b32_e64 v3, 0, v3, s[28:29]
	v_cndmask_b32_e32 v29, v12, v0, vcc
	v_mov_b32_e32 v0, 0x78
	v_cndmask_b32_e32 v3, v3, v0, vcc
	v_or_b32_e32 v13, 0x800000, v26
	v_add_u32_e32 v12, 20, v3
	v_cndmask_b32_e32 v26, v13, v26, vcc
	v_lshlrev_b64 v[12:13], v12, -1
	v_not_b32_e32 v13, v13
	v_not_b32_e32 v12, v12
	v_add_u32_e32 v30, 19, v3
	v_and_b32_e32 v13, 0, v13
	v_and_b32_e32 v12, v26, v12
	v_lshlrev_b64 v[32:33], v30, 1
	v_cmp_eq_u64_e32 vcc, v[12:13], v[32:33]
	v_lshrrev_b64 v[12:13], v3, v[26:27]
	v_lshrrev_b32_e32 v26, 23, v12
	v_add3_u32 v29, v3, v29, v26
	v_bfe_u32 v26, v12, 20, 1
	v_add_u32_e32 v26, -1, v26
	v_cndmask_b32_e32 v26, 0, v26, vcc
	v_add_u32_e32 v26, v26, v12
	v_and_b32_e32 v26, 0xfffff, v26
	v_add_co_u32_e32 v12, vcc, v26, v12
	v_add_u32_e32 v3, 6, v29
	v_addc_co_u32_e32 v13, vcc, 0, v13, vcc
	v_cmp_ne_u32_e32 vcc, 0, v3
                                        ; implicit-def: $vgpr26
	s_and_saveexec_b64 s[28:29], vcc
	s_xor_b64 s[28:29], exec, s[28:29]
; %bb.700:                              ;   in Loop: Header=BB6_348 Depth=4
	v_add_u32_e32 v26, 7, v29
	v_cmp_lt_u64_e32 vcc, s[56:57], v[12:13]
	v_cndmask_b32_e32 v26, v3, v26, vcc
	v_cndmask_b32_e64 v3, 0, 1, vcc
	v_lshrrev_b64 v[12:13], v3, v[12:13]
; %bb.701:                              ;   in Loop: Header=BB6_348 Depth=4
	s_andn2_saveexec_b64 s[28:29], s[28:29]
; %bb.702:                              ;   in Loop: Header=BB6_348 Depth=4
	v_bfe_u32 v26, v12, 23, 1
; %bb.703:                              ;   in Loop: Header=BB6_348 Depth=4
	s_or_b64 exec, exec, s[28:29]
	v_lshrrev_b64 v[12:13], 20, v[12:13]
	v_cmp_gt_i32_e32 vcc, 16, v26
	v_cndmask_b32_e32 v13, 0, v13, vcc
	v_cndmask_b32_e32 v12, 7, v12, vcc
	v_cmp_ne_u32_e32 vcc, 0, v26
	v_cmp_ne_u64_e64 s[28:29], 0, v[12:13]
	s_or_b64 s[28:29], vcc, s[28:29]
                                        ; implicit-def: $vgpr3
	s_and_saveexec_b64 vcc, s[28:29]
	s_xor_b64 s[28:29], exec, vcc
; %bb.704:                              ;   in Loop: Header=BB6_348 Depth=4
	v_min_i32_e32 v3, 15, v26
	v_lshl_or_b32 v3, v3, 3, v17
	v_and_or_b32 v3, v12, 7, v3
                                        ; implicit-def: $vgpr17
; %bb.705:                              ;   in Loop: Header=BB6_348 Depth=4
	s_andn2_saveexec_b64 s[28:29], s[28:29]
; %bb.706:                              ;   in Loop: Header=BB6_348 Depth=4
	v_mov_b32_e32 v3, v17
; %bb.707:                              ;   in Loop: Header=BB6_348 Depth=4
	s_or_b64 exec, exec, s[28:29]
.LBB6_708:                              ;   in Loop: Header=BB6_348 Depth=4
	s_or_b64 exec, exec, s[70:71]
.LBB6_709:                              ;   in Loop: Header=BB6_348 Depth=4
	s_andn2_saveexec_b64 s[28:29], s[68:69]
	s_or_b64 exec, exec, s[28:29]
                                        ; implicit-def: $vgpr12
.LBB6_710:                              ;   in Loop: Header=BB6_348 Depth=4
	s_andn2_saveexec_b64 s[28:29], s[66:67]
; %bb.711:                              ;   in Loop: Header=BB6_348 Depth=4
	v_or_b32_sdwa v12, v12, s92 dst_sel:DWORD dst_unused:UNUSED_PAD src0_sel:BYTE_3 src1_sel:DWORD
	v_cmp_eq_u64_e32 vcc, 0, v[26:27]
	v_cndmask_b32_e32 v3, v12, v3, vcc
; %bb.712:                              ;   in Loop: Header=BB6_348 Depth=4
	s_or_b64 exec, exec, s[28:29]
	v_and_b32_e32 v12, 0xff, v25
	v_cmp_ne_u16_e32 vcc, 0, v12
	v_mov_b32_e32 v13, 0
	v_mov_b32_e32 v17, 0
	s_and_saveexec_b64 s[28:29], vcc
	s_cbranch_execz .LBB6_718
; %bb.713:                              ;   in Loop: Header=BB6_348 Depth=4
	v_cmp_ne_u16_e32 vcc, s91, v12
	v_bfrev_b32_e32 v17, 1
	s_and_saveexec_b64 s[66:67], vcc
	s_cbranch_execz .LBB6_717
; %bb.714:                              ;   in Loop: Header=BB6_348 Depth=4
	v_and_b32_e32 v26, 0x7f, v25
	v_cmp_ne_u32_e32 vcc, s92, v26
	v_mov_b32_e32 v17, 0x7f800001
	s_and_saveexec_b64 s[68:69], vcc
	s_cbranch_execz .LBB6_716
; %bb.715:                              ;   in Loop: Header=BB6_348 Depth=4
	v_and_b32_e32 v17, 7, v12
	v_ffbh_u32_e32 v30, v17
	v_min_u32_e32 v30, 32, v30
	v_subrev_u32_e32 v32, 28, v30
	v_lshlrev_b64 v[32:33], v32, v[12:13]
	v_lshrrev_b32_e32 v29, 3, v26
	v_sub_u32_e32 v12, 29, v30
	v_and_b32_e32 v30, 7, v32
	v_cmp_gt_u32_e32 vcc, 8, v26
	v_cndmask_b32_e32 v12, v29, v12, vcc
	v_cndmask_b32_e32 v17, v17, v30, vcc
	v_lshlrev_b32_e32 v25, 24, v25
	v_lshlrev_b32_e32 v17, 20, v17
	v_and_b32_e32 v25, 0x80000000, v25
	v_lshl_add_u32 v12, v12, 23, v31
	v_or3_b32 v17, v25, v12, v17
.LBB6_716:                              ;   in Loop: Header=BB6_348 Depth=4
	s_or_b64 exec, exec, s[68:69]
.LBB6_717:                              ;   in Loop: Header=BB6_348 Depth=4
	s_or_b64 exec, exec, s[66:67]
.LBB6_718:                              ;   in Loop: Header=BB6_348 Depth=4
	s_or_b64 exec, exec, s[28:29]
	v_and_b32_e32 v12, 0xff, v24
	v_cmp_ne_u16_e32 vcc, 0, v12
	s_and_saveexec_b64 s[28:29], vcc
	s_cbranch_execz .LBB6_724
; %bb.719:                              ;   in Loop: Header=BB6_348 Depth=4
	v_cmp_ne_u16_e32 vcc, s91, v12
	v_bfrev_b32_e32 v13, 1
	s_and_saveexec_b64 s[66:67], vcc
	s_cbranch_execz .LBB6_723
; %bb.720:                              ;   in Loop: Header=BB6_348 Depth=4
	v_and_b32_e32 v25, 0x7f, v24
	v_cmp_ne_u32_e32 vcc, s92, v25
	v_mov_b32_e32 v13, 0x7f800001
	s_and_saveexec_b64 s[68:69], vcc
	s_cbranch_execz .LBB6_722
; %bb.721:                              ;   in Loop: Header=BB6_348 Depth=4
	v_and_b32_e32 v26, 7, v12
	v_ffbh_u32_e32 v13, v26
	v_min_u32_e32 v30, 32, v13
	v_subrev_u32_e32 v13, 28, v30
	v_lshlrev_b64 v[12:13], v13, v[12:13]
	v_lshrrev_b32_e32 v29, 3, v25
	v_sub_u32_e32 v13, 29, v30
	v_and_b32_e32 v12, 7, v12
	v_cmp_gt_u32_e32 vcc, 8, v25
	v_cndmask_b32_e32 v13, v29, v13, vcc
	v_cndmask_b32_e32 v12, v26, v12, vcc
	v_lshlrev_b32_e32 v24, 24, v24
	v_lshlrev_b32_e32 v12, 20, v12
	v_and_b32_e32 v24, 0x80000000, v24
	v_lshl_add_u32 v13, v13, 23, v31
	v_or3_b32 v13, v24, v13, v12
.LBB6_722:                              ;   in Loop: Header=BB6_348 Depth=4
	s_or_b64 exec, exec, s[68:69]
.LBB6_723:                              ;   in Loop: Header=BB6_348 Depth=4
	s_or_b64 exec, exec, s[66:67]
.LBB6_724:                              ;   in Loop: Header=BB6_348 Depth=4
	s_or_b64 exec, exec, s[28:29]
	v_add_f32_e32 v12, v17, v13
	v_and_b32_sdwa v17, v12, s91 dst_sel:DWORD dst_unused:UNUSED_PAD src0_sel:BYTE_3 src1_sel:DWORD
	v_and_b32_e32 v32, 0x7f800000, v12
	v_mov_b32_e32 v33, v27
	v_and_b32_e32 v26, 0x7fffff, v12
	v_or_b32_e32 v24, 0x7e, v17
	v_cmp_ne_u64_e32 vcc, s[52:53], v[32:33]
	s_and_saveexec_b64 s[28:29], vcc
	s_xor_b64 s[66:67], exec, s[28:29]
	s_cbranch_execz .LBB6_738
; %bb.725:                              ;   in Loop: Header=BB6_348 Depth=4
	v_and_b32_e32 v32, 0x7fffffff, v12
	v_mov_b32_e32 v33, v27
	v_cmp_gt_u64_e32 vcc, s[54:55], v[32:33]
	s_and_saveexec_b64 s[28:29], vcc
	s_xor_b64 s[68:69], exec, s[28:29]
	s_cbranch_execz .LBB6_737
; %bb.726:                              ;   in Loop: Header=BB6_348 Depth=4
	v_cmp_ne_u32_e32 vcc, 0, v12
	v_mov_b32_e32 v24, 0
	s_and_saveexec_b64 s[70:71], vcc
	s_cbranch_execz .LBB6_736
; %bb.727:                              ;   in Loop: Header=BB6_348 Depth=4
	v_bfe_u32 v12, v12, 23, 8
	v_cmp_eq_u32_e32 vcc, 0, v12
	v_add_u32_e32 v13, 0xffffff81, v12
	v_cmp_gt_u32_e64 s[28:29], s93, v12
	v_sub_u32_e32 v12, 0x79, v12
	v_mov_b32_e32 v0, 0xffffff82
	v_cndmask_b32_e64 v12, 0, v12, s[28:29]
	v_cndmask_b32_e32 v29, v13, v0, vcc
	v_mov_b32_e32 v0, 0x78
	v_cndmask_b32_e32 v30, v12, v0, vcc
	v_add_u32_e32 v12, 20, v30
	v_or_b32_e32 v24, 0x800000, v26
	v_lshlrev_b64 v[12:13], v12, -1
	v_cndmask_b32_e32 v26, v24, v26, vcc
	v_not_b32_e32 v13, v13
	v_not_b32_e32 v12, v12
	v_add_u32_e32 v24, 19, v30
	v_and_b32_e32 v13, 0, v13
	v_and_b32_e32 v12, v26, v12
	v_lshlrev_b64 v[24:25], v24, 1
	v_cmp_eq_u64_e32 vcc, v[12:13], v[24:25]
	v_lshrrev_b64 v[12:13], v30, v[26:27]
	v_bfe_u32 v25, v12, 20, 1
	v_add_u32_e32 v25, -1, v25
	v_cndmask_b32_e32 v25, 0, v25, vcc
	v_add_u32_e32 v25, v25, v12
	v_lshrrev_b32_e32 v24, 23, v12
	v_and_b32_e32 v25, 0xfffff, v25
	v_add3_u32 v26, v30, v29, v24
	v_add_co_u32_e32 v12, vcc, v25, v12
	v_add_u32_e32 v24, 6, v26
	v_addc_co_u32_e32 v13, vcc, 0, v13, vcc
	v_cmp_ne_u32_e32 vcc, 0, v24
                                        ; implicit-def: $vgpr25
	s_and_saveexec_b64 s[28:29], vcc
	s_xor_b64 s[28:29], exec, s[28:29]
; %bb.728:                              ;   in Loop: Header=BB6_348 Depth=4
	v_add_u32_e32 v25, 7, v26
	v_cmp_lt_u64_e32 vcc, s[56:57], v[12:13]
	v_cndmask_b32_e32 v25, v24, v25, vcc
	v_cndmask_b32_e64 v24, 0, 1, vcc
	v_lshrrev_b64 v[12:13], v24, v[12:13]
; %bb.729:                              ;   in Loop: Header=BB6_348 Depth=4
	s_andn2_saveexec_b64 s[28:29], s[28:29]
; %bb.730:                              ;   in Loop: Header=BB6_348 Depth=4
	v_bfe_u32 v25, v12, 23, 1
; %bb.731:                              ;   in Loop: Header=BB6_348 Depth=4
	s_or_b64 exec, exec, s[28:29]
	v_lshrrev_b64 v[12:13], 20, v[12:13]
	v_cmp_gt_i32_e32 vcc, 16, v25
	v_cndmask_b32_e32 v13, 0, v13, vcc
	v_cndmask_b32_e32 v12, 7, v12, vcc
	v_cmp_ne_u32_e32 vcc, 0, v25
	v_cmp_ne_u64_e64 s[28:29], 0, v[12:13]
	s_or_b64 s[28:29], vcc, s[28:29]
                                        ; implicit-def: $vgpr24
	s_and_saveexec_b64 vcc, s[28:29]
	s_xor_b64 s[28:29], exec, vcc
; %bb.732:                              ;   in Loop: Header=BB6_348 Depth=4
	v_min_i32_e32 v13, 15, v25
	v_lshl_or_b32 v13, v13, 3, v17
	v_and_or_b32 v24, v12, 7, v13
                                        ; implicit-def: $vgpr17
; %bb.733:                              ;   in Loop: Header=BB6_348 Depth=4
	s_andn2_saveexec_b64 s[28:29], s[28:29]
; %bb.734:                              ;   in Loop: Header=BB6_348 Depth=4
	v_mov_b32_e32 v24, v17
; %bb.735:                              ;   in Loop: Header=BB6_348 Depth=4
	s_or_b64 exec, exec, s[28:29]
.LBB6_736:                              ;   in Loop: Header=BB6_348 Depth=4
	s_or_b64 exec, exec, s[70:71]
.LBB6_737:                              ;   in Loop: Header=BB6_348 Depth=4
	s_andn2_saveexec_b64 s[28:29], s[68:69]
	s_or_b64 exec, exec, s[28:29]
                                        ; implicit-def: $vgpr12
.LBB6_738:                              ;   in Loop: Header=BB6_348 Depth=4
	s_andn2_saveexec_b64 s[28:29], s[66:67]
; %bb.739:                              ;   in Loop: Header=BB6_348 Depth=4
	v_or_b32_sdwa v12, v12, s92 dst_sel:DWORD dst_unused:UNUSED_PAD src0_sel:BYTE_3 src1_sel:DWORD
	v_cmp_eq_u64_e32 vcc, 0, v[26:27]
	v_cndmask_b32_e32 v24, v12, v24, vcc
; %bb.740:                              ;   in Loop: Header=BB6_348 Depth=4
	s_or_b64 exec, exec, s[28:29]
	v_and_b32_e32 v12, 0xff, v22
	v_cmp_ne_u16_e32 vcc, 0, v12
	v_mov_b32_e32 v13, 0
	v_mov_b32_e32 v17, 0
	s_and_saveexec_b64 s[28:29], vcc
	s_cbranch_execz .LBB6_746
; %bb.741:                              ;   in Loop: Header=BB6_348 Depth=4
	v_cmp_ne_u16_e32 vcc, s91, v12
	v_bfrev_b32_e32 v17, 1
	s_and_saveexec_b64 s[66:67], vcc
	s_cbranch_execz .LBB6_745
; %bb.742:                              ;   in Loop: Header=BB6_348 Depth=4
	v_and_b32_e32 v25, 0x7f, v22
	v_cmp_ne_u32_e32 vcc, s92, v25
	v_mov_b32_e32 v17, 0x7f800001
	s_and_saveexec_b64 s[68:69], vcc
	s_cbranch_execz .LBB6_744
; %bb.743:                              ;   in Loop: Header=BB6_348 Depth=4
	v_and_b32_e32 v17, 7, v12
	v_ffbh_u32_e32 v29, v17
	v_min_u32_e32 v29, 32, v29
	v_subrev_u32_e32 v30, 28, v29
	v_lshlrev_b64 v[32:33], v30, v[12:13]
	v_lshrrev_b32_e32 v26, 3, v25
	v_sub_u32_e32 v12, 29, v29
	v_and_b32_e32 v29, 7, v32
	v_cmp_gt_u32_e32 vcc, 8, v25
	v_cndmask_b32_e32 v12, v26, v12, vcc
	v_cndmask_b32_e32 v17, v17, v29, vcc
	v_lshlrev_b32_e32 v22, 24, v22
	v_lshlrev_b32_e32 v17, 20, v17
	v_and_b32_e32 v22, 0x80000000, v22
	v_lshl_add_u32 v12, v12, 23, v31
	v_or3_b32 v17, v22, v12, v17
.LBB6_744:                              ;   in Loop: Header=BB6_348 Depth=4
	s_or_b64 exec, exec, s[68:69]
.LBB6_745:                              ;   in Loop: Header=BB6_348 Depth=4
	s_or_b64 exec, exec, s[66:67]
.LBB6_746:                              ;   in Loop: Header=BB6_348 Depth=4
	s_or_b64 exec, exec, s[28:29]
	v_and_b32_e32 v12, 0xff, v21
	v_cmp_ne_u16_e32 vcc, 0, v12
	s_and_saveexec_b64 s[28:29], vcc
	s_cbranch_execz .LBB6_752
; %bb.747:                              ;   in Loop: Header=BB6_348 Depth=4
	v_cmp_ne_u16_e32 vcc, s91, v12
	v_bfrev_b32_e32 v13, 1
	s_and_saveexec_b64 s[66:67], vcc
	s_cbranch_execz .LBB6_751
; %bb.748:                              ;   in Loop: Header=BB6_348 Depth=4
	v_and_b32_e32 v22, 0x7f, v21
	v_cmp_ne_u32_e32 vcc, s92, v22
	v_mov_b32_e32 v13, 0x7f800001
	s_and_saveexec_b64 s[68:69], vcc
	s_cbranch_execz .LBB6_750
; %bb.749:                              ;   in Loop: Header=BB6_348 Depth=4
	v_and_b32_e32 v25, 7, v12
	v_ffbh_u32_e32 v13, v25
	v_min_u32_e32 v29, 32, v13
	v_subrev_u32_e32 v13, 28, v29
	v_lshlrev_b64 v[12:13], v13, v[12:13]
	v_lshrrev_b32_e32 v26, 3, v22
	v_sub_u32_e32 v13, 29, v29
	v_and_b32_e32 v12, 7, v12
	v_cmp_gt_u32_e32 vcc, 8, v22
	v_cndmask_b32_e32 v13, v26, v13, vcc
	v_cndmask_b32_e32 v12, v25, v12, vcc
	v_lshlrev_b32_e32 v21, 24, v21
	v_lshlrev_b32_e32 v12, 20, v12
	v_and_b32_e32 v21, 0x80000000, v21
	v_lshl_add_u32 v13, v13, 23, v31
	v_or3_b32 v13, v21, v13, v12
.LBB6_750:                              ;   in Loop: Header=BB6_348 Depth=4
	s_or_b64 exec, exec, s[68:69]
.LBB6_751:                              ;   in Loop: Header=BB6_348 Depth=4
	s_or_b64 exec, exec, s[66:67]
.LBB6_752:                              ;   in Loop: Header=BB6_348 Depth=4
	s_or_b64 exec, exec, s[28:29]
	v_add_f32_e32 v12, v17, v13
	v_and_b32_sdwa v17, v12, s91 dst_sel:DWORD dst_unused:UNUSED_PAD src0_sel:BYTE_3 src1_sel:DWORD
	v_and_b32_e32 v32, 0x7f800000, v12
	v_mov_b32_e32 v33, v27
	v_and_b32_e32 v26, 0x7fffff, v12
	v_or_b32_e32 v21, 0x7e, v17
	v_cmp_ne_u64_e32 vcc, s[52:53], v[32:33]
	s_and_saveexec_b64 s[28:29], vcc
	s_xor_b64 s[66:67], exec, s[28:29]
	s_cbranch_execz .LBB6_766
; %bb.753:                              ;   in Loop: Header=BB6_348 Depth=4
	v_and_b32_e32 v32, 0x7fffffff, v12
	v_mov_b32_e32 v33, v27
	v_cmp_gt_u64_e32 vcc, s[54:55], v[32:33]
	s_and_saveexec_b64 s[28:29], vcc
	s_xor_b64 s[68:69], exec, s[28:29]
	s_cbranch_execz .LBB6_765
; %bb.754:                              ;   in Loop: Header=BB6_348 Depth=4
	v_cmp_ne_u32_e32 vcc, 0, v12
	v_mov_b32_e32 v21, 0
	s_and_saveexec_b64 s[70:71], vcc
	s_cbranch_execz .LBB6_764
; %bb.755:                              ;   in Loop: Header=BB6_348 Depth=4
	v_bfe_u32 v12, v12, 23, 8
	v_cmp_eq_u32_e32 vcc, 0, v12
	v_add_u32_e32 v13, 0xffffff81, v12
	v_cmp_gt_u32_e64 s[28:29], s93, v12
	v_sub_u32_e32 v12, 0x79, v12
	v_mov_b32_e32 v0, 0xffffff82
	v_cndmask_b32_e64 v12, 0, v12, s[28:29]
	v_cndmask_b32_e32 v22, v13, v0, vcc
	v_mov_b32_e32 v0, 0x78
	v_cndmask_b32_e32 v25, v12, v0, vcc
	v_add_u32_e32 v12, 20, v25
	v_or_b32_e32 v21, 0x800000, v26
	v_lshlrev_b64 v[12:13], v12, -1
	v_cndmask_b32_e32 v26, v21, v26, vcc
	v_not_b32_e32 v13, v13
	v_not_b32_e32 v12, v12
	v_add_u32_e32 v21, 19, v25
	v_and_b32_e32 v13, 0, v13
	v_and_b32_e32 v12, v26, v12
	v_lshlrev_b64 v[32:33], v21, 1
	v_cmp_eq_u64_e32 vcc, v[12:13], v[32:33]
	v_lshrrev_b64 v[12:13], v25, v[26:27]
	v_lshrrev_b32_e32 v21, 23, v12
	v_add3_u32 v25, v25, v22, v21
	v_bfe_u32 v22, v12, 20, 1
	v_add_u32_e32 v22, -1, v22
	v_cndmask_b32_e32 v22, 0, v22, vcc
	v_add_u32_e32 v22, v22, v12
	v_and_b32_e32 v22, 0xfffff, v22
	v_add_co_u32_e32 v12, vcc, v22, v12
	v_add_u32_e32 v21, 6, v25
	v_addc_co_u32_e32 v13, vcc, 0, v13, vcc
	v_cmp_ne_u32_e32 vcc, 0, v21
                                        ; implicit-def: $vgpr22
	s_and_saveexec_b64 s[28:29], vcc
	s_xor_b64 s[28:29], exec, s[28:29]
; %bb.756:                              ;   in Loop: Header=BB6_348 Depth=4
	v_add_u32_e32 v22, 7, v25
	v_cmp_lt_u64_e32 vcc, s[56:57], v[12:13]
	v_cndmask_b32_e32 v22, v21, v22, vcc
	v_cndmask_b32_e64 v21, 0, 1, vcc
	v_lshrrev_b64 v[12:13], v21, v[12:13]
; %bb.757:                              ;   in Loop: Header=BB6_348 Depth=4
	s_andn2_saveexec_b64 s[28:29], s[28:29]
; %bb.758:                              ;   in Loop: Header=BB6_348 Depth=4
	v_bfe_u32 v22, v12, 23, 1
; %bb.759:                              ;   in Loop: Header=BB6_348 Depth=4
	s_or_b64 exec, exec, s[28:29]
	v_lshrrev_b64 v[12:13], 20, v[12:13]
	v_cmp_gt_i32_e32 vcc, 16, v22
	v_cndmask_b32_e32 v13, 0, v13, vcc
	v_cndmask_b32_e32 v12, 7, v12, vcc
	v_cmp_ne_u32_e32 vcc, 0, v22
	v_cmp_ne_u64_e64 s[28:29], 0, v[12:13]
	s_or_b64 s[28:29], vcc, s[28:29]
                                        ; implicit-def: $vgpr21
	s_and_saveexec_b64 vcc, s[28:29]
	s_xor_b64 s[28:29], exec, vcc
; %bb.760:                              ;   in Loop: Header=BB6_348 Depth=4
	v_min_i32_e32 v13, 15, v22
	v_lshl_or_b32 v13, v13, 3, v17
	v_and_or_b32 v21, v12, 7, v13
                                        ; implicit-def: $vgpr17
; %bb.761:                              ;   in Loop: Header=BB6_348 Depth=4
	s_andn2_saveexec_b64 s[28:29], s[28:29]
; %bb.762:                              ;   in Loop: Header=BB6_348 Depth=4
	v_mov_b32_e32 v21, v17
; %bb.763:                              ;   in Loop: Header=BB6_348 Depth=4
	s_or_b64 exec, exec, s[28:29]
.LBB6_764:                              ;   in Loop: Header=BB6_348 Depth=4
	s_or_b64 exec, exec, s[70:71]
.LBB6_765:                              ;   in Loop: Header=BB6_348 Depth=4
	s_andn2_saveexec_b64 s[28:29], s[68:69]
	s_or_b64 exec, exec, s[28:29]
                                        ; implicit-def: $vgpr12
.LBB6_766:                              ;   in Loop: Header=BB6_348 Depth=4
	s_andn2_saveexec_b64 s[28:29], s[66:67]
; %bb.767:                              ;   in Loop: Header=BB6_348 Depth=4
	v_or_b32_sdwa v12, v12, s92 dst_sel:DWORD dst_unused:UNUSED_PAD src0_sel:BYTE_3 src1_sel:DWORD
	v_cmp_eq_u64_e32 vcc, 0, v[26:27]
	v_cndmask_b32_e32 v21, v12, v21, vcc
; %bb.768:                              ;   in Loop: Header=BB6_348 Depth=4
	s_or_b64 exec, exec, s[28:29]
	v_and_b32_e32 v12, 0xff, v20
	v_cmp_ne_u16_e32 vcc, 0, v12
	v_mov_b32_e32 v13, 0
	v_mov_b32_e32 v17, 0
	s_and_saveexec_b64 s[28:29], vcc
	s_cbranch_execz .LBB6_774
; %bb.769:                              ;   in Loop: Header=BB6_348 Depth=4
	v_cmp_ne_u16_e32 vcc, s91, v12
	v_bfrev_b32_e32 v17, 1
	s_and_saveexec_b64 s[66:67], vcc
	s_cbranch_execz .LBB6_773
; %bb.770:                              ;   in Loop: Header=BB6_348 Depth=4
	v_and_b32_e32 v22, 0x7f, v20
	v_cmp_ne_u32_e32 vcc, s92, v22
	v_mov_b32_e32 v17, 0x7f800001
	s_and_saveexec_b64 s[68:69], vcc
	s_cbranch_execz .LBB6_772
; %bb.771:                              ;   in Loop: Header=BB6_348 Depth=4
	v_and_b32_e32 v17, 7, v12
	v_ffbh_u32_e32 v26, v17
	v_min_u32_e32 v26, 32, v26
	v_subrev_u32_e32 v29, 28, v26
	v_lshlrev_b64 v[32:33], v29, v[12:13]
	v_lshrrev_b32_e32 v25, 3, v22
	v_sub_u32_e32 v12, 29, v26
	v_and_b32_e32 v26, 7, v32
	v_cmp_gt_u32_e32 vcc, 8, v22
	v_cndmask_b32_e32 v12, v25, v12, vcc
	v_cndmask_b32_e32 v17, v17, v26, vcc
	v_lshlrev_b32_e32 v20, 24, v20
	v_lshlrev_b32_e32 v17, 20, v17
	v_and_b32_e32 v20, 0x80000000, v20
	v_lshl_add_u32 v12, v12, 23, v31
	v_or3_b32 v17, v20, v12, v17
.LBB6_772:                              ;   in Loop: Header=BB6_348 Depth=4
	s_or_b64 exec, exec, s[68:69]
.LBB6_773:                              ;   in Loop: Header=BB6_348 Depth=4
	s_or_b64 exec, exec, s[66:67]
.LBB6_774:                              ;   in Loop: Header=BB6_348 Depth=4
	s_or_b64 exec, exec, s[28:29]
	v_and_b32_e32 v12, 0xff, v19
	v_cmp_ne_u16_e32 vcc, 0, v12
	s_and_saveexec_b64 s[28:29], vcc
	s_cbranch_execz .LBB6_780
; %bb.775:                              ;   in Loop: Header=BB6_348 Depth=4
	v_cmp_ne_u16_e32 vcc, s91, v12
	v_bfrev_b32_e32 v13, 1
	s_and_saveexec_b64 s[66:67], vcc
	s_cbranch_execz .LBB6_779
; %bb.776:                              ;   in Loop: Header=BB6_348 Depth=4
	v_and_b32_e32 v20, 0x7f, v19
	v_cmp_ne_u32_e32 vcc, s92, v20
	v_mov_b32_e32 v13, 0x7f800001
	s_and_saveexec_b64 s[68:69], vcc
	s_cbranch_execz .LBB6_778
; %bb.777:                              ;   in Loop: Header=BB6_348 Depth=4
	v_and_b32_e32 v22, 7, v12
	v_ffbh_u32_e32 v13, v22
	v_min_u32_e32 v26, 32, v13
	v_subrev_u32_e32 v13, 28, v26
	v_lshlrev_b64 v[12:13], v13, v[12:13]
	v_lshrrev_b32_e32 v25, 3, v20
	v_sub_u32_e32 v13, 29, v26
	v_and_b32_e32 v12, 7, v12
	v_cmp_gt_u32_e32 vcc, 8, v20
	v_cndmask_b32_e32 v13, v25, v13, vcc
	v_cndmask_b32_e32 v12, v22, v12, vcc
	v_lshlrev_b32_e32 v19, 24, v19
	v_lshlrev_b32_e32 v12, 20, v12
	v_and_b32_e32 v19, 0x80000000, v19
	v_lshl_add_u32 v13, v13, 23, v31
	v_or3_b32 v13, v19, v13, v12
.LBB6_778:                              ;   in Loop: Header=BB6_348 Depth=4
	s_or_b64 exec, exec, s[68:69]
.LBB6_779:                              ;   in Loop: Header=BB6_348 Depth=4
	s_or_b64 exec, exec, s[66:67]
.LBB6_780:                              ;   in Loop: Header=BB6_348 Depth=4
	s_or_b64 exec, exec, s[28:29]
	v_add_f32_e32 v12, v17, v13
	v_and_b32_sdwa v17, v12, s91 dst_sel:DWORD dst_unused:UNUSED_PAD src0_sel:BYTE_3 src1_sel:DWORD
	v_and_b32_e32 v32, 0x7f800000, v12
	v_mov_b32_e32 v33, v27
	v_and_b32_e32 v26, 0x7fffff, v12
	v_or_b32_e32 v13, 0x7e, v17
	v_cmp_ne_u64_e32 vcc, s[52:53], v[32:33]
	s_and_saveexec_b64 s[28:29], vcc
	s_xor_b64 s[66:67], exec, s[28:29]
	s_cbranch_execz .LBB6_794
; %bb.781:                              ;   in Loop: Header=BB6_348 Depth=4
	v_and_b32_e32 v32, 0x7fffffff, v12
	v_mov_b32_e32 v33, v27
	v_cmp_gt_u64_e32 vcc, s[54:55], v[32:33]
	s_and_saveexec_b64 s[28:29], vcc
	s_xor_b64 s[68:69], exec, s[28:29]
	s_cbranch_execz .LBB6_793
; %bb.782:                              ;   in Loop: Header=BB6_348 Depth=4
	v_cmp_ne_u32_e32 vcc, 0, v12
	v_mov_b32_e32 v13, 0
	s_and_saveexec_b64 s[70:71], vcc
	s_cbranch_execz .LBB6_792
; %bb.783:                              ;   in Loop: Header=BB6_348 Depth=4
	v_bfe_u32 v12, v12, 23, 8
	v_cmp_eq_u32_e32 vcc, 0, v12
	v_add_u32_e32 v13, 0xffffff81, v12
	v_cmp_gt_u32_e64 s[28:29], s93, v12
	v_sub_u32_e32 v12, 0x79, v12
	v_mov_b32_e32 v0, 0xffffff82
	v_cndmask_b32_e64 v12, 0, v12, s[28:29]
	v_cndmask_b32_e32 v20, v13, v0, vcc
	v_mov_b32_e32 v0, 0x78
	v_cndmask_b32_e32 v22, v12, v0, vcc
	v_add_u32_e32 v12, 20, v22
	v_or_b32_e32 v19, 0x800000, v26
	v_lshlrev_b64 v[12:13], v12, -1
	v_cndmask_b32_e32 v26, v19, v26, vcc
	v_not_b32_e32 v13, v13
	v_not_b32_e32 v12, v12
	v_add_u32_e32 v19, 19, v22
	v_and_b32_e32 v13, 0, v13
	v_and_b32_e32 v12, v26, v12
	v_lshlrev_b64 v[32:33], v19, 1
	v_cmp_eq_u64_e32 vcc, v[12:13], v[32:33]
	v_lshrrev_b64 v[12:13], v22, v[26:27]
	v_lshrrev_b32_e32 v19, 23, v12
	v_add3_u32 v22, v22, v20, v19
	v_bfe_u32 v19, v12, 20, 1
	v_add_u32_e32 v19, -1, v19
	v_cndmask_b32_e32 v19, 0, v19, vcc
	v_add_u32_e32 v19, v19, v12
	v_and_b32_e32 v19, 0xfffff, v19
	v_add_co_u32_e32 v12, vcc, v19, v12
	v_add_u32_e32 v20, 6, v22
	v_addc_co_u32_e32 v13, vcc, 0, v13, vcc
	v_cmp_ne_u32_e32 vcc, 0, v20
                                        ; implicit-def: $vgpr19
	s_and_saveexec_b64 s[28:29], vcc
	s_xor_b64 s[28:29], exec, s[28:29]
; %bb.784:                              ;   in Loop: Header=BB6_348 Depth=4
	v_add_u32_e32 v19, 7, v22
	v_cmp_lt_u64_e32 vcc, s[56:57], v[12:13]
	v_cndmask_b32_e32 v19, v20, v19, vcc
	v_cndmask_b32_e64 v20, 0, 1, vcc
	v_lshrrev_b64 v[12:13], v20, v[12:13]
; %bb.785:                              ;   in Loop: Header=BB6_348 Depth=4
	s_andn2_saveexec_b64 s[28:29], s[28:29]
; %bb.786:                              ;   in Loop: Header=BB6_348 Depth=4
	v_bfe_u32 v19, v12, 23, 1
; %bb.787:                              ;   in Loop: Header=BB6_348 Depth=4
	s_or_b64 exec, exec, s[28:29]
	v_lshrrev_b64 v[12:13], 20, v[12:13]
	v_cmp_gt_i32_e32 vcc, 16, v19
	v_cndmask_b32_e32 v13, 0, v13, vcc
	v_cndmask_b32_e32 v12, 7, v12, vcc
	v_cmp_ne_u32_e32 vcc, 0, v19
	v_cmp_ne_u64_e64 s[28:29], 0, v[12:13]
	s_or_b64 s[28:29], vcc, s[28:29]
                                        ; implicit-def: $vgpr13
	s_and_saveexec_b64 vcc, s[28:29]
	s_xor_b64 s[28:29], exec, vcc
; %bb.788:                              ;   in Loop: Header=BB6_348 Depth=4
	v_min_i32_e32 v13, 15, v19
	v_lshl_or_b32 v13, v13, 3, v17
	v_and_or_b32 v13, v12, 7, v13
                                        ; implicit-def: $vgpr17
; %bb.789:                              ;   in Loop: Header=BB6_348 Depth=4
	s_andn2_saveexec_b64 s[28:29], s[28:29]
; %bb.790:                              ;   in Loop: Header=BB6_348 Depth=4
	v_mov_b32_e32 v13, v17
; %bb.791:                              ;   in Loop: Header=BB6_348 Depth=4
	s_or_b64 exec, exec, s[28:29]
.LBB6_792:                              ;   in Loop: Header=BB6_348 Depth=4
	s_or_b64 exec, exec, s[70:71]
.LBB6_793:                              ;   in Loop: Header=BB6_348 Depth=4
	s_andn2_saveexec_b64 s[28:29], s[68:69]
	s_or_b64 exec, exec, s[28:29]
                                        ; implicit-def: $vgpr12
.LBB6_794:                              ;   in Loop: Header=BB6_348 Depth=4
	s_andn2_saveexec_b64 s[28:29], s[66:67]
	s_cbranch_execz .LBB6_347
; %bb.795:                              ;   in Loop: Header=BB6_348 Depth=4
	v_or_b32_sdwa v12, v12, s92 dst_sel:DWORD dst_unused:UNUSED_PAD src0_sel:BYTE_3 src1_sel:DWORD
	v_cmp_eq_u64_e32 vcc, 0, v[26:27]
	v_cndmask_b32_e32 v13, v12, v13, vcc
	s_branch .LBB6_347
.LBB6_796:                              ;   in Loop: Header=BB6_274 Depth=3
	s_and_saveexec_b64 s[28:29], s[10:11]
	s_cbranch_execnz .LBB6_2001
.LBB6_797:                              ;   in Loop: Header=BB6_274 Depth=3
	s_or_b64 exec, exec, s[28:29]
                                        ; implicit-def: $vgpr1
	s_and_saveexec_b64 s[28:29], s[24:25]
	s_xor_b64 s[30:31], exec, s[28:29]
	s_cbranch_execz .LBB6_2019
.LBB6_798:                              ;   in Loop: Header=BB6_274 Depth=3
	v_and_b32_e32 v3, 16, v60
	v_cmp_lt_i32_e32 vcc, 0, v44
	v_cmp_ne_u32_e64 s[28:29], 0, v3
	v_and_b32_e32 v1, 16, v60
	s_and_b64 vcc, s[28:29], vcc
	s_and_saveexec_b64 s[28:29], vcc
	s_cbranch_execz .LBB6_800
; %bb.799:                              ;   in Loop: Header=BB6_274 Depth=3
	v_mov_b32_e32 v1, 1
	s_waitcnt vmcnt(0) lgkmcnt(0)
	buffer_wbinvl1_vol
.LBB6_800:                              ;   in Loop: Header=BB6_274 Depth=3
	s_or_b64 exec, exec, s[28:29]
	s_andn2_saveexec_b64 s[28:29], s[30:31]
	s_cbranch_execz .LBB6_2038
	s_branch .LBB6_2020
.LBB6_801:                              ;   in Loop: Header=BB6_274 Depth=3
	v_ashrrev_i32_e32 v1, 31, v44
	v_lshrrev_b32_e32 v1, 21, v1
	v_add_u32_e32 v1, v44, v1
	v_ashrrev_i32_e32 v1, 11, v1
	v_accvgpr_read_b32 v0, a33
	v_sub_u32_e32 v38, v1, v0
	v_cmp_lt_i32_e32 vcc, 0, v38
	s_and_saveexec_b64 s[30:31], vcc
	s_cbranch_execz .LBB6_1607
; %bb.802:                              ;   in Loop: Header=BB6_274 Depth=3
	s_trap 2
	ds_read_b128 v[4:7], v0
	ds_read_b64 v[8:9], v0
	v_accvgpr_read_b32 v0, a48
	v_accvgpr_write_b32 a61, v1
	v_accvgpr_read_b32 v1, a47
	s_waitcnt lgkmcnt(0)
	v_add_co_u32_e32 v40, vcc, v4, v0
	v_addc_co_u32_e32 v41, vcc, v5, v1, vcc
	v_add_co_u32_e32 v4, vcc, v6, v0
	v_addc_co_u32_e32 v5, vcc, v7, v1, vcc
	v_add_co_u32_e32 v58, vcc, v8, v0
	v_accvgpr_write_b32 a60, v44
	v_addc_co_u32_e32 v59, vcc, v9, v1, vcc
	s_mov_b64 s[62:63], 0
	s_branch .LBB6_804
.LBB6_803:                              ;   in Loop: Header=BB6_804 Depth=4
	s_or_b64 exec, exec, s[28:29]
	v_lshlrev_b32_e32 v9, 8, v36
	v_perm_b32 v9, v9, v28, s94
	v_lshl_or_b32 v9, v37, 16, v9
	v_lshl_or_b32 v51, v21, 24, v9
	v_and_b32_e32 v9, 0xff, v30
	v_lshlrev_b32_e32 v7, 8, v7
	v_lshlrev_b32_e32 v10, 24, v39
	;; [unrolled: 1-line block ×3, first 2 shown]
	v_perm_b32 v6, v7, v6, s94
	v_or3_b32 v50, v10, v9, v6
	v_and_b32_e32 v6, 0xff, v24
	v_lshlrev_b32_e32 v9, 8, v53
	v_lshlrev_b32_e32 v7, 24, v25
	;; [unrolled: 1-line block ×3, first 2 shown]
	v_perm_b32 v9, v9, v52, s94
	v_or3_b32 v52, v7, v6, v9
	v_lshlrev_b32_e32 v6, 8, v20
	v_perm_b32 v6, v6, v46, s94
	v_lshl_or_b32 v1, v1, 16, v6
	v_lshl_or_b32 v53, v19, 24, v1
	v_lshlrev_b32_e32 v1, 8, v18
	v_perm_b32 v1, v1, v57, s94
	v_lshl_or_b32 v1, v16, 16, v1
	v_lshl_or_b32 v15, v13, 24, v1
	v_and_b32_e32 v1, 0xff, v44
	v_lshlrev_b32_e32 v7, 8, v23
	v_lshlrev_b32_e32 v6, 24, v56
	v_lshlrev_b32_e32 v1, 16, v1
	v_perm_b32 v7, v7, v22, s94
	v_or3_b32 v14, v6, v1, v7
	v_and_b32_e32 v1, 0xff, v3
	v_lshlrev_b32_e32 v6, 8, v54
	v_lshlrev_b32_e32 v3, 24, v43
	;; [unrolled: 1-line block ×3, first 2 shown]
	v_perm_b32 v6, v6, v17, s94
	v_or3_b32 v16, v3, v1, v6
	v_lshlrev_b32_e32 v1, 8, v12
	v_perm_b32 v1, v1, v29, s94
	v_lshl_or_b32 v1, v45, 16, v1
	v_lshl_or_b32 v17, v8, 24, v1
	v_accvgpr_read_b32 v1, a38
	v_add_co_u32_e32 v40, vcc, v40, v1
	v_accvgpr_read_b32 v3, a39
	v_addc_co_u32_e32 v41, vcc, v41, v3, vcc
	v_add_co_u32_e32 v4, vcc, v4, v1
	v_accvgpr_read_b32 v0, a26
	v_addc_co_u32_e32 v5, vcc, v5, v3, vcc
	v_sub_u32_e32 v38, v38, v0
	v_cmp_gt_i32_e32 vcc, 1, v38
	global_store_dwordx4 v[58:59], v[50:53], off glc slc
	global_store_dwordx4 v[58:59], v[14:17], off offset:1024 glc slc
	s_or_b64 s[62:63], vcc, s[62:63]
	v_add_co_u32_e32 v58, vcc, v58, v1
	v_addc_co_u32_e32 v59, vcc, v59, v3, vcc
	s_andn2_b64 exec, exec, s[62:63]
	s_cbranch_execz .LBB6_1606
.LBB6_804:                              ;   Parent Loop BB6_47 Depth=1
                                        ;     Parent Loop BB6_271 Depth=2
                                        ;       Parent Loop BB6_274 Depth=3
                                        ; =>      This Inner Loop Header: Depth=4
	global_load_dwordx4 v[20:23], v[40:41], off glc slc
	global_load_dwordx4 v[12:15], v[40:41], off offset:1024 glc slc
	global_load_dwordx4 v[16:19], v[4:5], off glc slc
	global_load_dwordx4 v[8:11], v[4:5], off offset:1024 glc slc
	v_mov_b32_e32 v1, 0
	v_mov_b32_e32 v3, 0
	s_waitcnt vmcnt(0)
	v_cmp_ne_u16_sdwa vcc, v20, v27 src0_sel:BYTE_0 src1_sel:DWORD
	s_and_saveexec_b64 s[28:29], vcc
	s_cbranch_execz .LBB6_810
; %bb.805:                              ;   in Loop: Header=BB6_804 Depth=4
	v_cmp_ne_u16_sdwa vcc, v20, s91 src0_sel:BYTE_0 src1_sel:DWORD
	v_bfrev_b32_e32 v3, 1
	s_and_saveexec_b64 s[64:65], vcc
	s_cbranch_execz .LBB6_809
; %bb.806:                              ;   in Loop: Header=BB6_804 Depth=4
	v_and_b32_e32 v6, 0x7f, v20
	v_cmp_ne_u32_e32 vcc, s92, v6
	v_mov_b32_e32 v3, 0x7f800001
	s_and_saveexec_b64 s[66:67], vcc
	s_cbranch_execz .LBB6_808
; %bb.807:                              ;   in Loop: Header=BB6_804 Depth=4
	v_and_b32_e32 v3, 7, v20
	v_ffbh_u32_e32 v3, v3
	v_min_u32_e32 v3, 32, v3
	v_subrev_u32_e32 v24, 28, v3
	v_cmp_gt_u32_e32 vcc, 8, v6
	v_lshrrev_b32_e32 v7, 3, v6
	v_sub_u32_e32 v3, 29, v3
	v_cndmask_b32_e32 v6, 0, v24, vcc
	v_cndmask_b32_e32 v3, v7, v3, vcc
	v_lshlrev_b64 v[6:7], v6, v[20:21]
	v_lshlrev_b32_e32 v6, 20, v6
	v_lshlrev_b32_e32 v7, 24, v20
	v_and_b32_e32 v6, 0x700000, v6
	v_and_b32_e32 v7, 0x80000000, v7
	v_lshl_add_u32 v3, v3, 23, v31
	v_or3_b32 v3, v7, v3, v6
.LBB6_808:                              ;   in Loop: Header=BB6_804 Depth=4
	s_or_b64 exec, exec, s[66:67]
.LBB6_809:                              ;   in Loop: Header=BB6_804 Depth=4
	s_or_b64 exec, exec, s[64:65]
.LBB6_810:                              ;   in Loop: Header=BB6_804 Depth=4
	s_or_b64 exec, exec, s[28:29]
	v_cmp_ne_u16_sdwa vcc, v16, v27 src0_sel:BYTE_0 src1_sel:DWORD
	s_and_saveexec_b64 s[28:29], vcc
	s_cbranch_execz .LBB6_816
; %bb.811:                              ;   in Loop: Header=BB6_804 Depth=4
	v_cmp_ne_u16_sdwa vcc, v16, s91 src0_sel:BYTE_0 src1_sel:DWORD
	v_bfrev_b32_e32 v1, 1
	s_and_saveexec_b64 s[64:65], vcc
	s_cbranch_execz .LBB6_815
; %bb.812:                              ;   in Loop: Header=BB6_804 Depth=4
	v_and_b32_e32 v6, 0x7f, v16
	v_cmp_ne_u32_e32 vcc, s92, v6
	v_mov_b32_e32 v1, 0x7f800001
	s_and_saveexec_b64 s[66:67], vcc
	s_cbranch_execz .LBB6_814
; %bb.813:                              ;   in Loop: Header=BB6_804 Depth=4
	v_and_b32_e32 v1, 7, v16
	v_ffbh_u32_e32 v1, v1
	v_min_u32_e32 v1, 32, v1
	v_subrev_u32_e32 v24, 28, v1
	v_cmp_gt_u32_e32 vcc, 8, v6
	v_lshrrev_b32_e32 v7, 3, v6
	v_sub_u32_e32 v1, 29, v1
	v_cndmask_b32_e32 v6, 0, v24, vcc
	v_cndmask_b32_e32 v1, v7, v1, vcc
	v_lshlrev_b64 v[6:7], v6, v[16:17]
	v_lshlrev_b32_e32 v6, 20, v6
	v_lshlrev_b32_e32 v7, 24, v16
	v_and_b32_e32 v6, 0x700000, v6
	v_and_b32_e32 v7, 0x80000000, v7
	v_lshl_add_u32 v1, v1, 23, v31
	v_or3_b32 v1, v7, v1, v6
.LBB6_814:                              ;   in Loop: Header=BB6_804 Depth=4
	s_or_b64 exec, exec, s[66:67]
.LBB6_815:                              ;   in Loop: Header=BB6_804 Depth=4
	s_or_b64 exec, exec, s[64:65]
.LBB6_816:                              ;   in Loop: Header=BB6_804 Depth=4
	s_or_b64 exec, exec, s[28:29]
	v_add_f32_e32 v3, v3, v1
	v_and_b32_sdwa v1, v3, s91 dst_sel:DWORD dst_unused:UNUSED_PAD src0_sel:BYTE_3 src1_sel:DWORD
	v_and_b32_e32 v24, 0x7f800000, v3
	v_mov_b32_e32 v25, v27
	v_and_b32_e32 v26, 0x7fffff, v3
	v_or_b32_e32 v6, 0x7e, v1
	v_cmp_ne_u64_e32 vcc, s[52:53], v[24:25]
	s_and_saveexec_b64 s[28:29], vcc
	s_xor_b64 s[64:65], exec, s[28:29]
	s_cbranch_execz .LBB6_826
; %bb.817:                              ;   in Loop: Header=BB6_804 Depth=4
	v_and_b32_e32 v24, 0x7fffffff, v3
	v_mov_b32_e32 v25, v27
	v_cmp_gt_u64_e32 vcc, s[54:55], v[24:25]
	s_and_saveexec_b64 s[66:67], vcc
	s_cbranch_execz .LBB6_825
; %bb.818:                              ;   in Loop: Header=BB6_804 Depth=4
	v_cmp_ne_u32_e32 vcc, 0, v3
	v_mov_b32_e32 v6, 0
	s_and_saveexec_b64 s[68:69], vcc
	s_cbranch_execz .LBB6_824
; %bb.819:                              ;   in Loop: Header=BB6_804 Depth=4
	v_bfe_u32 v3, v3, 23, 8
	v_sub_u32_e32 v7, 0x79, v3
	v_cmp_gt_u32_e32 vcc, s93, v3
	v_add_u32_e32 v6, 0xffffff81, v3
	v_cndmask_b32_e32 v7, 0, v7, vcc
	v_cmp_eq_u32_e32 vcc, 0, v3
	v_mov_b32_e32 v0, 0xffffff82
	v_cndmask_b32_e32 v3, v6, v0, vcc
	v_mov_b32_e32 v0, 0x78
	v_cndmask_b32_e32 v30, v7, v0, vcc
	v_add_u32_e32 v6, 20, v30
	v_or_b32_e32 v24, 0x800000, v26
	v_lshlrev_b64 v[6:7], v6, -1
	v_cndmask_b32_e32 v26, v24, v26, vcc
	v_not_b32_e32 v6, v6
	v_and_b32_e32 v24, v26, v6
	v_add_u32_e32 v6, 19, v30
	v_lshrrev_b64 v[36:37], v30, v[26:27]
	v_not_b32_e32 v7, v7
	v_lshlrev_b64 v[28:29], v6, 1
	v_lshrrev_b32_e32 v6, 23, v36
	v_and_b32_e32 v25, 0, v7
	v_add3_u32 v7, v30, v3, v6
	v_bfe_u32 v3, v36, 20, 1
	v_add_u32_e32 v3, -1, v3
	v_cmp_eq_u64_e32 vcc, v[24:25], v[28:29]
	v_cndmask_b32_e32 v3, 0, v3, vcc
	v_add_u32_e32 v3, v3, v36
	v_and_b32_e32 v3, 0xfffff, v3
	v_add_co_u32_e32 v52, vcc, v3, v36
	v_add_u32_e32 v6, 6, v7
	v_addc_co_u32_e32 v53, vcc, 0, v37, vcc
	v_cmp_ne_u32_e32 vcc, 0, v6
                                        ; implicit-def: $vgpr3
	s_and_saveexec_b64 s[28:29], vcc
	s_xor_b64 s[28:29], exec, s[28:29]
; %bb.820:                              ;   in Loop: Header=BB6_804 Depth=4
	v_add_u32_e32 v3, 7, v7
	v_cmp_lt_u64_e32 vcc, s[56:57], v[52:53]
	v_cndmask_b32_e32 v3, v6, v3, vcc
	v_cndmask_b32_e64 v6, 0, 1, vcc
	v_lshrrev_b64 v[52:53], v6, v[52:53]
; %bb.821:                              ;   in Loop: Header=BB6_804 Depth=4
	s_andn2_saveexec_b64 s[28:29], s[28:29]
; %bb.822:                              ;   in Loop: Header=BB6_804 Depth=4
	v_bfe_u32 v3, v52, 23, 1
; %bb.823:                              ;   in Loop: Header=BB6_804 Depth=4
	s_or_b64 exec, exec, s[28:29]
	v_lshrrev_b64 v[6:7], 20, v[52:53]
	v_cmp_gt_i32_e32 vcc, 16, v3
	v_cndmask_b32_e32 v7, 0, v7, vcc
	v_cndmask_b32_e32 v6, 7, v6, vcc
	v_cmp_eq_u32_e32 vcc, 0, v3
	v_min_i32_e32 v3, 15, v3
	v_cmp_eq_u64_e64 s[28:29], 0, v[6:7]
	v_lshlrev_b32_e32 v3, 3, v3
	v_and_or_b32 v3, v6, 7, v3
	s_and_b64 s[28:29], vcc, s[28:29]
	v_cndmask_b32_e64 v3, v3, 0, s[28:29]
	v_or_b32_e32 v6, v3, v1
.LBB6_824:                              ;   in Loop: Header=BB6_804 Depth=4
	s_or_b64 exec, exec, s[68:69]
.LBB6_825:                              ;   in Loop: Header=BB6_804 Depth=4
	s_or_b64 exec, exec, s[66:67]
                                        ; implicit-def: $vgpr3
.LBB6_826:                              ;   in Loop: Header=BB6_804 Depth=4
	s_andn2_saveexec_b64 s[28:29], s[64:65]
; %bb.827:                              ;   in Loop: Header=BB6_804 Depth=4
	v_or_b32_sdwa v1, v3, s92 dst_sel:DWORD dst_unused:UNUSED_PAD src0_sel:BYTE_3 src1_sel:DWORD
	v_cmp_eq_u64_e32 vcc, 0, v[26:27]
	v_cndmask_b32_e32 v6, v1, v6, vcc
; %bb.828:                              ;   in Loop: Header=BB6_804 Depth=4
	s_or_b64 exec, exec, s[28:29]
	v_lshrrev_b16_e32 v26, 8, v20
	v_cmp_ne_u16_e32 vcc, 0, v26
	v_mov_b32_e32 v1, 0
	v_mov_b32_e32 v3, 0
	s_and_saveexec_b64 s[28:29], vcc
	s_cbranch_execz .LBB6_834
; %bb.829:                              ;   in Loop: Header=BB6_804 Depth=4
	v_cmp_ne_u16_e32 vcc, s91, v26
	v_bfrev_b32_e32 v3, 1
	s_and_saveexec_b64 s[64:65], vcc
	s_cbranch_execz .LBB6_833
; %bb.830:                              ;   in Loop: Header=BB6_804 Depth=4
	v_and_b32_e32 v7, 0x7f, v26
	v_cmp_ne_u32_e32 vcc, s92, v7
	v_mov_b32_e32 v3, 0x7f800001
	s_and_saveexec_b64 s[66:67], vcc
	s_cbranch_execz .LBB6_832
; %bb.831:                              ;   in Loop: Header=BB6_804 Depth=4
	v_and_b32_e32 v3, 7, v26
	v_ffbh_u32_e32 v24, v3
	v_min_u32_e32 v29, 32, v24
	v_subrev_u32_e32 v24, 28, v29
	v_lshlrev_b64 v[24:25], v24, v[26:27]
	v_lshrrev_b32_e32 v28, 3, v7
	v_sub_u32_e32 v25, 29, v29
	v_and_b32_e32 v24, 7, v24
	v_cmp_gt_u32_e32 vcc, 8, v7
	v_cndmask_b32_e32 v7, v28, v25, vcc
	v_cndmask_b32_e32 v3, v3, v24, vcc
	v_lshlrev_b32_e32 v24, 16, v20
	v_lshlrev_b32_e32 v3, 20, v3
	v_and_b32_e32 v24, 0x80000000, v24
	v_lshl_add_u32 v7, v7, 23, v31
	v_or3_b32 v3, v24, v7, v3
.LBB6_832:                              ;   in Loop: Header=BB6_804 Depth=4
	s_or_b64 exec, exec, s[66:67]
.LBB6_833:                              ;   in Loop: Header=BB6_804 Depth=4
	s_or_b64 exec, exec, s[64:65]
.LBB6_834:                              ;   in Loop: Header=BB6_804 Depth=4
	s_or_b64 exec, exec, s[28:29]
	v_lshrrev_b16_e32 v26, 8, v16
	v_cmp_ne_u16_e32 vcc, 0, v26
	s_and_saveexec_b64 s[28:29], vcc
	s_cbranch_execz .LBB6_840
; %bb.835:                              ;   in Loop: Header=BB6_804 Depth=4
	v_cmp_ne_u16_e32 vcc, s91, v26
	v_bfrev_b32_e32 v1, 1
	s_and_saveexec_b64 s[64:65], vcc
	s_cbranch_execz .LBB6_839
; %bb.836:                              ;   in Loop: Header=BB6_804 Depth=4
	v_and_b32_e32 v7, 0x7f, v26
	v_cmp_ne_u32_e32 vcc, s92, v7
	v_mov_b32_e32 v1, 0x7f800001
	s_and_saveexec_b64 s[66:67], vcc
	s_cbranch_execz .LBB6_838
; %bb.837:                              ;   in Loop: Header=BB6_804 Depth=4
	v_and_b32_e32 v1, 7, v26
	v_ffbh_u32_e32 v24, v1
	v_min_u32_e32 v29, 32, v24
	v_subrev_u32_e32 v24, 28, v29
	v_lshlrev_b64 v[24:25], v24, v[26:27]
	v_lshrrev_b32_e32 v28, 3, v7
	v_sub_u32_e32 v25, 29, v29
	v_and_b32_e32 v24, 7, v24
	v_cmp_gt_u32_e32 vcc, 8, v7
	v_cndmask_b32_e32 v7, v28, v25, vcc
	v_cndmask_b32_e32 v1, v1, v24, vcc
	v_lshlrev_b32_e32 v24, 16, v16
	v_lshlrev_b32_e32 v1, 20, v1
	v_and_b32_e32 v24, 0x80000000, v24
	v_lshl_add_u32 v7, v7, 23, v31
	v_or3_b32 v1, v24, v7, v1
.LBB6_838:                              ;   in Loop: Header=BB6_804 Depth=4
	s_or_b64 exec, exec, s[66:67]
.LBB6_839:                              ;   in Loop: Header=BB6_804 Depth=4
	s_or_b64 exec, exec, s[64:65]
.LBB6_840:                              ;   in Loop: Header=BB6_804 Depth=4
	s_or_b64 exec, exec, s[28:29]
	v_add_f32_e32 v3, v3, v1
	v_and_b32_sdwa v1, v3, s91 dst_sel:DWORD dst_unused:UNUSED_PAD src0_sel:BYTE_3 src1_sel:DWORD
	v_and_b32_e32 v24, 0x7f800000, v3
	v_mov_b32_e32 v25, v27
	v_and_b32_e32 v26, 0x7fffff, v3
	v_or_b32_e32 v7, 0x7e, v1
	v_cmp_ne_u64_e32 vcc, s[52:53], v[24:25]
	s_and_saveexec_b64 s[28:29], vcc
	s_xor_b64 s[64:65], exec, s[28:29]
	s_cbranch_execz .LBB6_850
; %bb.841:                              ;   in Loop: Header=BB6_804 Depth=4
	v_and_b32_e32 v24, 0x7fffffff, v3
	v_mov_b32_e32 v25, v27
	v_cmp_gt_u64_e32 vcc, s[54:55], v[24:25]
	s_and_saveexec_b64 s[66:67], vcc
	s_cbranch_execz .LBB6_849
; %bb.842:                              ;   in Loop: Header=BB6_804 Depth=4
	v_cmp_ne_u32_e32 vcc, 0, v3
	v_mov_b32_e32 v7, 0
	s_and_saveexec_b64 s[68:69], vcc
	s_cbranch_execz .LBB6_848
; %bb.843:                              ;   in Loop: Header=BB6_804 Depth=4
	v_bfe_u32 v3, v3, 23, 8
	v_sub_u32_e32 v24, 0x79, v3
	v_cmp_gt_u32_e32 vcc, s93, v3
	v_add_u32_e32 v7, 0xffffff81, v3
	v_cndmask_b32_e32 v24, 0, v24, vcc
	v_cmp_eq_u32_e32 vcc, 0, v3
	v_mov_b32_e32 v0, 0xffffff82
	v_cndmask_b32_e32 v3, v7, v0, vcc
	v_mov_b32_e32 v0, 0x78
	v_cndmask_b32_e32 v7, v24, v0, vcc
	v_or_b32_e32 v25, 0x800000, v26
	v_add_u32_e32 v24, 20, v7
	v_cndmask_b32_e32 v26, v25, v26, vcc
	v_lshlrev_b64 v[24:25], v24, -1
	v_not_b32_e32 v24, v24
	v_and_b32_e32 v28, v26, v24
	v_add_u32_e32 v24, 19, v7
	v_lshrrev_b64 v[50:51], v7, v[26:27]
	v_not_b32_e32 v25, v25
	v_lshlrev_b64 v[36:37], v24, 1
	v_lshrrev_b32_e32 v24, 23, v50
	v_and_b32_e32 v29, 0, v25
	v_add3_u32 v24, v7, v3, v24
	v_bfe_u32 v3, v50, 20, 1
	v_add_u32_e32 v3, -1, v3
	v_cmp_eq_u64_e32 vcc, v[28:29], v[36:37]
	v_cndmask_b32_e32 v3, 0, v3, vcc
	v_add_u32_e32 v3, v3, v50
	v_and_b32_e32 v3, 0xfffff, v3
	v_add_co_u32_e32 v52, vcc, v3, v50
	v_add_u32_e32 v7, 6, v24
	v_addc_co_u32_e32 v53, vcc, 0, v51, vcc
	v_cmp_ne_u32_e32 vcc, 0, v7
                                        ; implicit-def: $vgpr3
	s_and_saveexec_b64 s[28:29], vcc
	s_xor_b64 s[28:29], exec, s[28:29]
; %bb.844:                              ;   in Loop: Header=BB6_804 Depth=4
	v_add_u32_e32 v3, 7, v24
	v_cmp_lt_u64_e32 vcc, s[56:57], v[52:53]
	v_cndmask_b32_e32 v3, v7, v3, vcc
	v_cndmask_b32_e64 v7, 0, 1, vcc
	v_lshrrev_b64 v[52:53], v7, v[52:53]
; %bb.845:                              ;   in Loop: Header=BB6_804 Depth=4
	s_andn2_saveexec_b64 s[28:29], s[28:29]
; %bb.846:                              ;   in Loop: Header=BB6_804 Depth=4
	v_bfe_u32 v3, v52, 23, 1
; %bb.847:                              ;   in Loop: Header=BB6_804 Depth=4
	s_or_b64 exec, exec, s[28:29]
	v_lshrrev_b64 v[24:25], 20, v[52:53]
	v_cmp_gt_i32_e32 vcc, 16, v3
	v_cndmask_b32_e32 v25, 0, v25, vcc
	v_cndmask_b32_e32 v24, 7, v24, vcc
	v_cmp_eq_u32_e32 vcc, 0, v3
	v_min_i32_e32 v3, 15, v3
	v_cmp_eq_u64_e64 s[28:29], 0, v[24:25]
	v_lshlrev_b32_e32 v3, 3, v3
	v_and_or_b32 v3, v24, 7, v3
	s_and_b64 s[28:29], vcc, s[28:29]
	v_cndmask_b32_e64 v3, v3, 0, s[28:29]
	v_or_b32_e32 v7, v3, v1
.LBB6_848:                              ;   in Loop: Header=BB6_804 Depth=4
	s_or_b64 exec, exec, s[68:69]
.LBB6_849:                              ;   in Loop: Header=BB6_804 Depth=4
	s_or_b64 exec, exec, s[66:67]
                                        ; implicit-def: $vgpr3
.LBB6_850:                              ;   in Loop: Header=BB6_804 Depth=4
	s_andn2_saveexec_b64 s[28:29], s[64:65]
; %bb.851:                              ;   in Loop: Header=BB6_804 Depth=4
	v_or_b32_sdwa v1, v3, s92 dst_sel:DWORD dst_unused:UNUSED_PAD src0_sel:BYTE_3 src1_sel:DWORD
	v_cmp_eq_u64_e32 vcc, 0, v[26:27]
	v_cndmask_b32_e32 v7, v1, v7, vcc
; %bb.852:                              ;   in Loop: Header=BB6_804 Depth=4
	s_or_b64 exec, exec, s[28:29]
	v_lshrrev_b32_e32 v26, 16, v20
	v_cmp_ne_u16_sdwa vcc, v26, v27 src0_sel:BYTE_0 src1_sel:DWORD
	v_mov_b32_e32 v1, 0
	v_mov_b32_e32 v3, 0
	s_and_saveexec_b64 s[28:29], vcc
	s_cbranch_execz .LBB6_858
; %bb.853:                              ;   in Loop: Header=BB6_804 Depth=4
	v_cmp_ne_u16_sdwa vcc, v26, s91 src0_sel:BYTE_0 src1_sel:DWORD
	v_bfrev_b32_e32 v3, 1
	s_and_saveexec_b64 s[64:65], vcc
	s_cbranch_execz .LBB6_857
; %bb.854:                              ;   in Loop: Header=BB6_804 Depth=4
	v_bfe_u32 v24, v20, 16, 7
	v_cmp_ne_u32_e32 vcc, s92, v24
	v_mov_b32_e32 v3, 0x7f800001
	s_and_saveexec_b64 s[66:67], vcc
	s_cbranch_execz .LBB6_856
; %bb.855:                              ;   in Loop: Header=BB6_804 Depth=4
	v_and_b32_e32 v3, 7, v26
	v_ffbh_u32_e32 v28, v3
	v_min_u32_e32 v30, 32, v28
	v_subrev_u32_e32 v28, 28, v30
	v_lshlrev_b64 v[28:29], v28, v[26:27]
	v_lshrrev_b32_e32 v25, 3, v24
	v_sub_u32_e32 v29, 29, v30
	v_and_b32_e32 v28, 7, v28
	v_cmp_gt_u32_e32 vcc, 8, v24
	v_cndmask_b32_e32 v24, v25, v29, vcc
	v_cndmask_b32_e32 v3, v3, v28, vcc
	v_lshlrev_b32_e32 v25, 24, v26
	v_lshlrev_b32_e32 v3, 20, v3
	v_and_b32_e32 v25, 0x80000000, v25
	v_lshl_add_u32 v24, v24, 23, v31
	v_or3_b32 v3, v25, v24, v3
.LBB6_856:                              ;   in Loop: Header=BB6_804 Depth=4
	s_or_b64 exec, exec, s[66:67]
.LBB6_857:                              ;   in Loop: Header=BB6_804 Depth=4
	s_or_b64 exec, exec, s[64:65]
.LBB6_858:                              ;   in Loop: Header=BB6_804 Depth=4
	s_or_b64 exec, exec, s[28:29]
	v_lshrrev_b32_e32 v26, 16, v16
	v_cmp_ne_u16_sdwa vcc, v26, v27 src0_sel:BYTE_0 src1_sel:DWORD
	s_and_saveexec_b64 s[28:29], vcc
	s_cbranch_execz .LBB6_864
; %bb.859:                              ;   in Loop: Header=BB6_804 Depth=4
	v_cmp_ne_u16_sdwa vcc, v26, s91 src0_sel:BYTE_0 src1_sel:DWORD
	v_bfrev_b32_e32 v1, 1
	s_and_saveexec_b64 s[64:65], vcc
	s_cbranch_execz .LBB6_863
; %bb.860:                              ;   in Loop: Header=BB6_804 Depth=4
	v_bfe_u32 v24, v16, 16, 7
	v_cmp_ne_u32_e32 vcc, s92, v24
	v_mov_b32_e32 v1, 0x7f800001
	s_and_saveexec_b64 s[66:67], vcc
	s_cbranch_execz .LBB6_862
; %bb.861:                              ;   in Loop: Header=BB6_804 Depth=4
	v_and_b32_e32 v1, 7, v26
	v_ffbh_u32_e32 v28, v1
	v_min_u32_e32 v30, 32, v28
	v_subrev_u32_e32 v28, 28, v30
	v_lshlrev_b64 v[28:29], v28, v[26:27]
	v_lshrrev_b32_e32 v25, 3, v24
	v_sub_u32_e32 v26, 29, v30
	v_and_b32_e32 v28, 7, v28
	v_cmp_gt_u32_e32 vcc, 8, v24
	v_cndmask_b32_e32 v24, v25, v26, vcc
	v_cndmask_b32_e32 v1, v1, v28, vcc
	v_lshlrev_b32_e32 v25, 8, v16
	v_lshlrev_b32_e32 v1, 20, v1
	v_and_b32_e32 v25, 0x80000000, v25
	v_lshl_add_u32 v24, v24, 23, v31
	v_or3_b32 v1, v25, v24, v1
.LBB6_862:                              ;   in Loop: Header=BB6_804 Depth=4
	s_or_b64 exec, exec, s[66:67]
.LBB6_863:                              ;   in Loop: Header=BB6_804 Depth=4
	s_or_b64 exec, exec, s[64:65]
.LBB6_864:                              ;   in Loop: Header=BB6_804 Depth=4
	s_or_b64 exec, exec, s[28:29]
	v_add_f32_e32 v3, v3, v1
	v_and_b32_sdwa v1, v3, s91 dst_sel:DWORD dst_unused:UNUSED_PAD src0_sel:BYTE_3 src1_sel:DWORD
	v_and_b32_e32 v24, 0x7f800000, v3
	v_mov_b32_e32 v25, v27
	v_and_b32_e32 v26, 0x7fffff, v3
	v_or_b32_e32 v30, 0x7e, v1
	v_cmp_ne_u64_e32 vcc, s[52:53], v[24:25]
	s_and_saveexec_b64 s[28:29], vcc
	s_xor_b64 s[64:65], exec, s[28:29]
	s_cbranch_execz .LBB6_874
; %bb.865:                              ;   in Loop: Header=BB6_804 Depth=4
	v_and_b32_e32 v24, 0x7fffffff, v3
	v_mov_b32_e32 v25, v27
	v_cmp_gt_u64_e32 vcc, s[54:55], v[24:25]
	s_and_saveexec_b64 s[66:67], vcc
	s_cbranch_execz .LBB6_873
; %bb.866:                              ;   in Loop: Header=BB6_804 Depth=4
	v_cmp_ne_u32_e32 vcc, 0, v3
	v_mov_b32_e32 v30, 0
	s_and_saveexec_b64 s[68:69], vcc
	s_cbranch_execz .LBB6_872
; %bb.867:                              ;   in Loop: Header=BB6_804 Depth=4
	v_bfe_u32 v3, v3, 23, 8
	v_sub_u32_e32 v25, 0x79, v3
	v_cmp_gt_u32_e32 vcc, s93, v3
	v_add_u32_e32 v24, 0xffffff81, v3
	v_cndmask_b32_e32 v25, 0, v25, vcc
	v_cmp_eq_u32_e32 vcc, 0, v3
	v_mov_b32_e32 v0, 0xffffff82
	v_cndmask_b32_e32 v3, v24, v0, vcc
	v_mov_b32_e32 v0, 0x78
	v_cndmask_b32_e32 v30, v25, v0, vcc
	v_add_u32_e32 v24, 20, v30
	v_or_b32_e32 v28, 0x800000, v26
	v_lshlrev_b64 v[24:25], v24, -1
	v_cndmask_b32_e32 v26, v28, v26, vcc
	v_not_b32_e32 v24, v24
	v_and_b32_e32 v28, v26, v24
	v_add_u32_e32 v24, 19, v30
	v_lshrrev_b64 v[50:51], v30, v[26:27]
	v_not_b32_e32 v25, v25
	v_lshlrev_b64 v[36:37], v24, 1
	v_lshrrev_b32_e32 v24, 23, v50
	v_and_b32_e32 v29, 0, v25
	v_add3_u32 v25, v30, v3, v24
	v_bfe_u32 v3, v50, 20, 1
	v_add_u32_e32 v3, -1, v3
	v_cmp_eq_u64_e32 vcc, v[28:29], v[36:37]
	v_cndmask_b32_e32 v3, 0, v3, vcc
	v_add_u32_e32 v3, v3, v50
	v_and_b32_e32 v3, 0xfffff, v3
	v_add_co_u32_e32 v52, vcc, v3, v50
	v_add_u32_e32 v24, 6, v25
	v_addc_co_u32_e32 v53, vcc, 0, v51, vcc
	v_cmp_ne_u32_e32 vcc, 0, v24
                                        ; implicit-def: $vgpr3
	s_and_saveexec_b64 s[28:29], vcc
	s_xor_b64 s[28:29], exec, s[28:29]
; %bb.868:                              ;   in Loop: Header=BB6_804 Depth=4
	v_add_u32_e32 v3, 7, v25
	v_cmp_lt_u64_e32 vcc, s[56:57], v[52:53]
	v_cndmask_b32_e32 v3, v24, v3, vcc
	v_cndmask_b32_e64 v24, 0, 1, vcc
	v_lshrrev_b64 v[52:53], v24, v[52:53]
; %bb.869:                              ;   in Loop: Header=BB6_804 Depth=4
	s_andn2_saveexec_b64 s[28:29], s[28:29]
; %bb.870:                              ;   in Loop: Header=BB6_804 Depth=4
	v_bfe_u32 v3, v52, 23, 1
; %bb.871:                              ;   in Loop: Header=BB6_804 Depth=4
	s_or_b64 exec, exec, s[28:29]
	v_lshrrev_b64 v[24:25], 20, v[52:53]
	v_cmp_gt_i32_e32 vcc, 16, v3
	v_cndmask_b32_e32 v25, 0, v25, vcc
	v_cndmask_b32_e32 v24, 7, v24, vcc
	v_cmp_eq_u32_e32 vcc, 0, v3
	v_min_i32_e32 v3, 15, v3
	v_cmp_eq_u64_e64 s[28:29], 0, v[24:25]
	v_lshlrev_b32_e32 v3, 3, v3
	v_and_or_b32 v3, v24, 7, v3
	s_and_b64 s[28:29], vcc, s[28:29]
	v_cndmask_b32_e64 v3, v3, 0, s[28:29]
	v_or_b32_e32 v30, v3, v1
.LBB6_872:                              ;   in Loop: Header=BB6_804 Depth=4
	s_or_b64 exec, exec, s[68:69]
.LBB6_873:                              ;   in Loop: Header=BB6_804 Depth=4
	s_or_b64 exec, exec, s[66:67]
                                        ; implicit-def: $vgpr3
.LBB6_874:                              ;   in Loop: Header=BB6_804 Depth=4
	s_andn2_saveexec_b64 s[28:29], s[64:65]
; %bb.875:                              ;   in Loop: Header=BB6_804 Depth=4
	v_or_b32_sdwa v1, v3, s92 dst_sel:DWORD dst_unused:UNUSED_PAD src0_sel:BYTE_3 src1_sel:DWORD
	v_cmp_eq_u64_e32 vcc, 0, v[26:27]
	v_cndmask_b32_e32 v30, v1, v30, vcc
; %bb.876:                              ;   in Loop: Header=BB6_804 Depth=4
	s_or_b64 exec, exec, s[28:29]
	v_cmp_lt_u32_e32 vcc, s43, v20
	v_mov_b32_e32 v1, 0
	v_mov_b32_e32 v3, 0
	s_and_saveexec_b64 s[28:29], vcc
	s_cbranch_execz .LBB6_882
; %bb.877:                              ;   in Loop: Header=BB6_804 Depth=4
	v_lshrrev_b32_e32 v26, 24, v20
	v_cmp_ne_u32_e32 vcc, s91, v26
	v_bfrev_b32_e32 v3, 1
	s_and_saveexec_b64 s[64:65], vcc
	s_cbranch_execz .LBB6_881
; %bb.878:                              ;   in Loop: Header=BB6_804 Depth=4
	v_bfe_u32 v24, v20, 24, 7
	v_cmp_ne_u32_e32 vcc, s92, v24
	v_mov_b32_e32 v3, 0x7f800001
	s_and_saveexec_b64 s[66:67], vcc
	s_cbranch_execz .LBB6_880
; %bb.879:                              ;   in Loop: Header=BB6_804 Depth=4
	v_and_b32_e32 v3, 7, v26
	v_ffbh_u32_e32 v28, v3
	v_min_u32_e32 v32, 32, v28
	v_subrev_u32_e32 v28, 28, v32
	v_lshlrev_b64 v[28:29], v28, v[26:27]
	v_lshrrev_b32_e32 v25, 3, v24
	v_sub_u32_e32 v29, 29, v32
	v_and_b32_e32 v28, 7, v28
	v_cmp_gt_u32_e32 vcc, 8, v24
	v_cndmask_b32_e32 v24, v25, v29, vcc
	v_cndmask_b32_e32 v3, v3, v28, vcc
	v_lshlrev_b32_e32 v25, 24, v26
	v_lshlrev_b32_e32 v3, 20, v3
	v_and_b32_e32 v25, 0x80000000, v25
	v_lshl_add_u32 v24, v24, 23, v31
	v_or3_b32 v3, v25, v24, v3
.LBB6_880:                              ;   in Loop: Header=BB6_804 Depth=4
	s_or_b64 exec, exec, s[66:67]
.LBB6_881:                              ;   in Loop: Header=BB6_804 Depth=4
	s_or_b64 exec, exec, s[64:65]
.LBB6_882:                              ;   in Loop: Header=BB6_804 Depth=4
	s_or_b64 exec, exec, s[28:29]
	v_cmp_lt_u32_e32 vcc, s43, v16
	s_and_saveexec_b64 s[28:29], vcc
	s_cbranch_execz .LBB6_888
; %bb.883:                              ;   in Loop: Header=BB6_804 Depth=4
	v_lshrrev_b32_e32 v26, 24, v16
	v_cmp_ne_u32_e32 vcc, s91, v26
	v_bfrev_b32_e32 v1, 1
	s_and_saveexec_b64 s[64:65], vcc
	s_cbranch_execz .LBB6_887
; %bb.884:                              ;   in Loop: Header=BB6_804 Depth=4
	v_bfe_u32 v24, v16, 24, 7
	v_cmp_ne_u32_e32 vcc, s92, v24
	v_mov_b32_e32 v1, 0x7f800001
	s_and_saveexec_b64 s[66:67], vcc
	s_cbranch_execz .LBB6_886
; %bb.885:                              ;   in Loop: Header=BB6_804 Depth=4
	v_and_b32_e32 v1, 7, v26
	v_ffbh_u32_e32 v28, v1
	v_min_u32_e32 v32, 32, v28
	v_subrev_u32_e32 v28, 28, v32
	v_lshlrev_b64 v[28:29], v28, v[26:27]
	v_lshrrev_b32_e32 v25, 3, v24
	v_sub_u32_e32 v29, 29, v32
	v_and_b32_e32 v28, 7, v28
	v_cmp_gt_u32_e32 vcc, 8, v24
	v_cndmask_b32_e32 v24, v25, v29, vcc
	v_cndmask_b32_e32 v1, v1, v28, vcc
	v_lshlrev_b32_e32 v25, 24, v26
	v_lshlrev_b32_e32 v1, 20, v1
	v_and_b32_e32 v25, 0x80000000, v25
	v_lshl_add_u32 v24, v24, 23, v31
	v_or3_b32 v1, v25, v24, v1
.LBB6_886:                              ;   in Loop: Header=BB6_804 Depth=4
	s_or_b64 exec, exec, s[66:67]
.LBB6_887:                              ;   in Loop: Header=BB6_804 Depth=4
	s_or_b64 exec, exec, s[64:65]
.LBB6_888:                              ;   in Loop: Header=BB6_804 Depth=4
	s_or_b64 exec, exec, s[28:29]
	v_add_f32_e32 v3, v3, v1
	v_and_b32_sdwa v1, v3, s91 dst_sel:DWORD dst_unused:UNUSED_PAD src0_sel:BYTE_3 src1_sel:DWORD
	v_and_b32_e32 v24, 0x7f800000, v3
	v_mov_b32_e32 v25, v27
	v_and_b32_e32 v26, 0x7fffff, v3
	v_or_b32_e32 v39, 0x7e, v1
	v_cmp_ne_u64_e32 vcc, s[52:53], v[24:25]
	s_and_saveexec_b64 s[28:29], vcc
	s_xor_b64 s[64:65], exec, s[28:29]
	s_cbranch_execz .LBB6_898
; %bb.889:                              ;   in Loop: Header=BB6_804 Depth=4
	v_and_b32_e32 v24, 0x7fffffff, v3
	v_mov_b32_e32 v25, v27
	v_cmp_gt_u64_e32 vcc, s[54:55], v[24:25]
	s_and_saveexec_b64 s[66:67], vcc
	s_cbranch_execz .LBB6_897
; %bb.890:                              ;   in Loop: Header=BB6_804 Depth=4
	v_cmp_ne_u32_e32 vcc, 0, v3
	v_mov_b32_e32 v39, 0
	s_and_saveexec_b64 s[68:69], vcc
	s_cbranch_execz .LBB6_896
; %bb.891:                              ;   in Loop: Header=BB6_804 Depth=4
	v_bfe_u32 v3, v3, 23, 8
	v_sub_u32_e32 v25, 0x79, v3
	v_cmp_gt_u32_e32 vcc, s93, v3
	v_add_u32_e32 v24, 0xffffff81, v3
	v_cndmask_b32_e32 v25, 0, v25, vcc
	v_cmp_eq_u32_e32 vcc, 0, v3
	v_mov_b32_e32 v0, 0xffffff82
	v_cndmask_b32_e32 v3, v24, v0, vcc
	v_mov_b32_e32 v0, 0x78
	v_cndmask_b32_e32 v32, v25, v0, vcc
	v_add_u32_e32 v24, 20, v32
	v_or_b32_e32 v28, 0x800000, v26
	v_lshlrev_b64 v[24:25], v24, -1
	v_cndmask_b32_e32 v26, v28, v26, vcc
	v_not_b32_e32 v24, v24
	v_and_b32_e32 v28, v26, v24
	v_add_u32_e32 v24, 19, v32
	v_lshrrev_b64 v[50:51], v32, v[26:27]
	v_not_b32_e32 v25, v25
	v_lshlrev_b64 v[36:37], v24, 1
	v_lshrrev_b32_e32 v24, 23, v50
	v_and_b32_e32 v29, 0, v25
	v_add3_u32 v25, v32, v3, v24
	v_bfe_u32 v3, v50, 20, 1
	v_add_u32_e32 v3, -1, v3
	v_cmp_eq_u64_e32 vcc, v[28:29], v[36:37]
	v_cndmask_b32_e32 v3, 0, v3, vcc
	v_add_u32_e32 v3, v3, v50
	v_and_b32_e32 v3, 0xfffff, v3
	v_add_co_u32_e32 v52, vcc, v3, v50
	v_add_u32_e32 v24, 6, v25
	v_addc_co_u32_e32 v53, vcc, 0, v51, vcc
	v_cmp_ne_u32_e32 vcc, 0, v24
                                        ; implicit-def: $vgpr3
	s_and_saveexec_b64 s[28:29], vcc
	s_xor_b64 s[28:29], exec, s[28:29]
; %bb.892:                              ;   in Loop: Header=BB6_804 Depth=4
	v_add_u32_e32 v3, 7, v25
	v_cmp_lt_u64_e32 vcc, s[56:57], v[52:53]
	v_cndmask_b32_e32 v3, v24, v3, vcc
	v_cndmask_b32_e64 v24, 0, 1, vcc
	v_lshrrev_b64 v[52:53], v24, v[52:53]
; %bb.893:                              ;   in Loop: Header=BB6_804 Depth=4
	s_andn2_saveexec_b64 s[28:29], s[28:29]
; %bb.894:                              ;   in Loop: Header=BB6_804 Depth=4
	v_bfe_u32 v3, v52, 23, 1
; %bb.895:                              ;   in Loop: Header=BB6_804 Depth=4
	s_or_b64 exec, exec, s[28:29]
	v_lshrrev_b64 v[24:25], 20, v[52:53]
	v_cmp_gt_i32_e32 vcc, 16, v3
	v_cndmask_b32_e32 v25, 0, v25, vcc
	v_cndmask_b32_e32 v24, 7, v24, vcc
	v_cmp_eq_u32_e32 vcc, 0, v3
	v_min_i32_e32 v3, 15, v3
	v_cmp_eq_u64_e64 s[28:29], 0, v[24:25]
	v_lshlrev_b32_e32 v3, 3, v3
	v_and_or_b32 v3, v24, 7, v3
	s_and_b64 s[28:29], vcc, s[28:29]
	v_cndmask_b32_e64 v3, v3, 0, s[28:29]
	v_or_b32_e32 v39, v3, v1
.LBB6_896:                              ;   in Loop: Header=BB6_804 Depth=4
	s_or_b64 exec, exec, s[68:69]
.LBB6_897:                              ;   in Loop: Header=BB6_804 Depth=4
	s_or_b64 exec, exec, s[66:67]
                                        ; implicit-def: $vgpr3
.LBB6_898:                              ;   in Loop: Header=BB6_804 Depth=4
	s_andn2_saveexec_b64 s[28:29], s[64:65]
; %bb.899:                              ;   in Loop: Header=BB6_804 Depth=4
	v_or_b32_sdwa v1, v3, s92 dst_sel:DWORD dst_unused:UNUSED_PAD src0_sel:BYTE_3 src1_sel:DWORD
	v_cmp_eq_u64_e32 vcc, 0, v[26:27]
	v_cndmask_b32_e32 v39, v1, v39, vcc
; %bb.900:                              ;   in Loop: Header=BB6_804 Depth=4
	s_or_b64 exec, exec, s[28:29]
	v_mov_b32_e32 v26, v21
	v_cmp_ne_u16_sdwa vcc, v21, v27 src0_sel:BYTE_0 src1_sel:DWORD
	v_mov_b32_e32 v3, 0
	v_mov_b32_e32 v1, 0
	s_and_saveexec_b64 s[28:29], vcc
	s_cbranch_execz .LBB6_906
; %bb.901:                              ;   in Loop: Header=BB6_804 Depth=4
	v_cmp_ne_u16_sdwa vcc, v21, s91 src0_sel:BYTE_0 src1_sel:DWORD
	v_bfrev_b32_e32 v1, 1
	s_and_saveexec_b64 s[64:65], vcc
	s_cbranch_execz .LBB6_905
; %bb.902:                              ;   in Loop: Header=BB6_804 Depth=4
	v_and_b32_e32 v24, 0x7f, v21
	v_cmp_ne_u32_e32 vcc, s92, v24
	v_mov_b32_e32 v1, 0x7f800001
	s_and_saveexec_b64 s[66:67], vcc
	s_cbranch_execz .LBB6_904
; %bb.903:                              ;   in Loop: Header=BB6_804 Depth=4
	v_and_b32_e32 v1, 7, v21
	v_ffbh_u32_e32 v1, v1
	v_min_u32_e32 v1, 32, v1
	v_subrev_u32_e32 v28, 28, v1
	v_cmp_gt_u32_e32 vcc, 8, v24
	v_lshrrev_b32_e32 v25, 3, v24
	v_sub_u32_e32 v1, 29, v1
	v_cndmask_b32_e32 v24, 0, v28, vcc
	v_cndmask_b32_e32 v1, v25, v1, vcc
	v_lshlrev_b64 v[24:25], v24, v[26:27]
	v_lshlrev_b32_e32 v24, 20, v24
	v_lshlrev_b32_e32 v25, 24, v26
	v_and_b32_e32 v24, 0x700000, v24
	v_and_b32_e32 v25, 0x80000000, v25
	v_lshl_add_u32 v1, v1, 23, v31
	v_or3_b32 v1, v25, v1, v24
.LBB6_904:                              ;   in Loop: Header=BB6_804 Depth=4
	s_or_b64 exec, exec, s[66:67]
.LBB6_905:                              ;   in Loop: Header=BB6_804 Depth=4
	s_or_b64 exec, exec, s[64:65]
.LBB6_906:                              ;   in Loop: Header=BB6_804 Depth=4
	s_or_b64 exec, exec, s[28:29]
	v_cmp_ne_u16_sdwa vcc, v17, v27 src0_sel:BYTE_0 src1_sel:DWORD
	s_and_saveexec_b64 s[28:29], vcc
	s_cbranch_execz .LBB6_912
; %bb.907:                              ;   in Loop: Header=BB6_804 Depth=4
	v_cmp_ne_u16_sdwa vcc, v17, s91 src0_sel:BYTE_0 src1_sel:DWORD
	v_bfrev_b32_e32 v3, 1
	s_and_saveexec_b64 s[64:65], vcc
	s_cbranch_execz .LBB6_911
; %bb.908:                              ;   in Loop: Header=BB6_804 Depth=4
	v_and_b32_e32 v24, 0x7f, v17
	v_cmp_ne_u32_e32 vcc, s92, v24
	v_mov_b32_e32 v3, 0x7f800001
	s_and_saveexec_b64 s[66:67], vcc
	s_cbranch_execz .LBB6_910
; %bb.909:                              ;   in Loop: Header=BB6_804 Depth=4
	v_and_b32_e32 v3, 7, v17
	v_ffbh_u32_e32 v3, v3
	v_min_u32_e32 v3, 32, v3
	v_subrev_u32_e32 v32, 28, v3
	v_cmp_gt_u32_e32 vcc, 8, v24
	v_mov_b32_e32 v28, v17
	v_mov_b32_e32 v29, v27
	v_lshrrev_b32_e32 v25, 3, v24
	v_sub_u32_e32 v3, 29, v3
	v_cndmask_b32_e32 v24, 0, v32, vcc
	v_cndmask_b32_e32 v3, v25, v3, vcc
	v_lshlrev_b64 v[24:25], v24, v[28:29]
	v_lshlrev_b32_e32 v24, 20, v24
	v_lshlrev_b32_e32 v25, 24, v28
	v_and_b32_e32 v24, 0x700000, v24
	v_and_b32_e32 v25, 0x80000000, v25
	v_lshl_add_u32 v3, v3, 23, v31
	v_or3_b32 v3, v25, v3, v24
.LBB6_910:                              ;   in Loop: Header=BB6_804 Depth=4
	s_or_b64 exec, exec, s[66:67]
.LBB6_911:                              ;   in Loop: Header=BB6_804 Depth=4
	s_or_b64 exec, exec, s[64:65]
.LBB6_912:                              ;   in Loop: Header=BB6_804 Depth=4
	s_or_b64 exec, exec, s[28:29]
	v_add_f32_e32 v3, v1, v3
	v_and_b32_sdwa v1, v3, s91 dst_sel:DWORD dst_unused:UNUSED_PAD src0_sel:BYTE_3 src1_sel:DWORD
	v_and_b32_e32 v24, 0x7f800000, v3
	v_mov_b32_e32 v25, v27
	v_and_b32_e32 v52, 0x7fffff, v3
	v_mov_b32_e32 v53, v27
	v_or_b32_e32 v28, 0x7e, v1
	v_cmp_ne_u64_e32 vcc, s[52:53], v[24:25]
	s_and_saveexec_b64 s[28:29], vcc
	s_xor_b64 s[64:65], exec, s[28:29]
	s_cbranch_execz .LBB6_922
; %bb.913:                              ;   in Loop: Header=BB6_804 Depth=4
	v_and_b32_e32 v24, 0x7fffffff, v3
	v_mov_b32_e32 v25, v27
	v_cmp_gt_u64_e32 vcc, s[54:55], v[24:25]
	s_and_saveexec_b64 s[66:67], vcc
	s_cbranch_execz .LBB6_921
; %bb.914:                              ;   in Loop: Header=BB6_804 Depth=4
	v_cmp_ne_u32_e32 vcc, 0, v3
	v_mov_b32_e32 v28, 0
	s_and_saveexec_b64 s[68:69], vcc
	s_cbranch_execz .LBB6_920
; %bb.915:                              ;   in Loop: Header=BB6_804 Depth=4
	v_bfe_u32 v3, v3, 23, 8
	v_sub_u32_e32 v25, 0x79, v3
	v_cmp_gt_u32_e32 vcc, s93, v3
	v_add_u32_e32 v24, 0xffffff81, v3
	v_cndmask_b32_e32 v25, 0, v25, vcc
	v_cmp_eq_u32_e32 vcc, 0, v3
	v_mov_b32_e32 v0, 0xffffff82
	v_cndmask_b32_e32 v3, v24, v0, vcc
	v_mov_b32_e32 v0, 0x78
	v_cndmask_b32_e32 v32, v25, v0, vcc
	v_add_u32_e32 v24, 20, v32
	v_or_b32_e32 v28, 0x800000, v52
	v_lshlrev_b64 v[24:25], v24, -1
	v_cndmask_b32_e32 v52, v28, v52, vcc
	v_not_b32_e32 v24, v24
	v_and_b32_e32 v28, v52, v24
	v_add_u32_e32 v24, 19, v32
	v_lshrrev_b64 v[50:51], v32, v[52:53]
	v_not_b32_e32 v25, v25
	v_lshlrev_b64 v[36:37], v24, 1
	v_lshrrev_b32_e32 v24, 23, v50
	v_and_b32_e32 v29, 0, v25
	v_add3_u32 v25, v32, v3, v24
	v_bfe_u32 v3, v50, 20, 1
	v_add_u32_e32 v3, -1, v3
	v_cmp_eq_u64_e32 vcc, v[28:29], v[36:37]
	v_cndmask_b32_e32 v3, 0, v3, vcc
	v_add_u32_e32 v3, v3, v50
	v_and_b32_e32 v3, 0xfffff, v3
	v_add_co_u32_e32 v52, vcc, v3, v50
	v_add_u32_e32 v24, 6, v25
	v_addc_co_u32_e32 v53, vcc, 0, v51, vcc
	v_cmp_ne_u32_e32 vcc, 0, v24
                                        ; implicit-def: $vgpr3
	s_and_saveexec_b64 s[28:29], vcc
	s_xor_b64 s[28:29], exec, s[28:29]
; %bb.916:                              ;   in Loop: Header=BB6_804 Depth=4
	v_add_u32_e32 v3, 7, v25
	v_cmp_lt_u64_e32 vcc, s[56:57], v[52:53]
	v_cndmask_b32_e32 v3, v24, v3, vcc
	v_cndmask_b32_e64 v24, 0, 1, vcc
	v_lshrrev_b64 v[52:53], v24, v[52:53]
; %bb.917:                              ;   in Loop: Header=BB6_804 Depth=4
	s_andn2_saveexec_b64 s[28:29], s[28:29]
; %bb.918:                              ;   in Loop: Header=BB6_804 Depth=4
	v_bfe_u32 v3, v52, 23, 1
; %bb.919:                              ;   in Loop: Header=BB6_804 Depth=4
	s_or_b64 exec, exec, s[28:29]
	v_lshrrev_b64 v[24:25], 20, v[52:53]
	v_cmp_gt_i32_e32 vcc, 16, v3
	v_cndmask_b32_e32 v25, 0, v25, vcc
	v_cndmask_b32_e32 v24, 7, v24, vcc
	v_cmp_eq_u32_e32 vcc, 0, v3
	v_min_i32_e32 v3, 15, v3
	v_cmp_eq_u64_e64 s[28:29], 0, v[24:25]
	v_lshlrev_b32_e32 v3, 3, v3
	v_and_or_b32 v3, v24, 7, v3
	s_and_b64 s[28:29], vcc, s[28:29]
	v_cndmask_b32_e64 v3, v3, 0, s[28:29]
	v_or_b32_e32 v28, v3, v1
.LBB6_920:                              ;   in Loop: Header=BB6_804 Depth=4
	s_or_b64 exec, exec, s[68:69]
.LBB6_921:                              ;   in Loop: Header=BB6_804 Depth=4
	s_or_b64 exec, exec, s[66:67]
                                        ; implicit-def: $vgpr3
                                        ; implicit-def: $vgpr52_vgpr53
.LBB6_922:                              ;   in Loop: Header=BB6_804 Depth=4
	s_andn2_saveexec_b64 s[28:29], s[64:65]
; %bb.923:                              ;   in Loop: Header=BB6_804 Depth=4
	v_or_b32_sdwa v1, v3, s92 dst_sel:DWORD dst_unused:UNUSED_PAD src0_sel:BYTE_3 src1_sel:DWORD
	v_cmp_eq_u64_e32 vcc, 0, v[52:53]
	v_cndmask_b32_e32 v28, v1, v28, vcc
; %bb.924:                              ;   in Loop: Header=BB6_804 Depth=4
	s_or_b64 exec, exec, s[28:29]
	v_lshrrev_b16_e32 v52, 8, v26
	v_cmp_ne_u16_e32 vcc, 0, v52
	v_mov_b32_e32 v1, 0
	v_mov_b32_e32 v3, 0
	s_and_saveexec_b64 s[28:29], vcc
	s_cbranch_execz .LBB6_930
; %bb.925:                              ;   in Loop: Header=BB6_804 Depth=4
	v_cmp_ne_u16_e32 vcc, s91, v52
	v_bfrev_b32_e32 v3, 1
	s_and_saveexec_b64 s[64:65], vcc
	s_cbranch_execz .LBB6_929
; %bb.926:                              ;   in Loop: Header=BB6_804 Depth=4
	v_and_b32_e32 v24, 0x7f, v52
	v_cmp_ne_u32_e32 vcc, s92, v24
	v_mov_b32_e32 v3, 0x7f800001
	s_and_saveexec_b64 s[66:67], vcc
	s_cbranch_execz .LBB6_928
; %bb.927:                              ;   in Loop: Header=BB6_804 Depth=4
	v_and_b32_e32 v3, 7, v52
	v_ffbh_u32_e32 v29, v3
	v_min_u32_e32 v29, 32, v29
	v_subrev_u32_e32 v32, 28, v29
	v_lshlrev_b64 v[36:37], v32, v[52:53]
	v_lshrrev_b32_e32 v25, 3, v24
	v_sub_u32_e32 v29, 29, v29
	v_and_b32_e32 v32, 7, v36
	v_cmp_gt_u32_e32 vcc, 8, v24
	v_cndmask_b32_e32 v24, v25, v29, vcc
	v_cndmask_b32_e32 v3, v3, v32, vcc
	v_lshlrev_b32_e32 v25, 16, v26
	v_lshlrev_b32_e32 v3, 20, v3
	v_and_b32_e32 v25, 0x80000000, v25
	v_lshl_add_u32 v24, v24, 23, v31
	v_or3_b32 v3, v25, v24, v3
.LBB6_928:                              ;   in Loop: Header=BB6_804 Depth=4
	s_or_b64 exec, exec, s[66:67]
.LBB6_929:                              ;   in Loop: Header=BB6_804 Depth=4
	s_or_b64 exec, exec, s[64:65]
.LBB6_930:                              ;   in Loop: Header=BB6_804 Depth=4
	s_or_b64 exec, exec, s[28:29]
	v_mov_b32_e32 v26, v17
	v_lshrrev_b16_e32 v52, 8, v26
	v_cmp_ne_u16_e32 vcc, 0, v52
	s_and_saveexec_b64 s[28:29], vcc
	s_cbranch_execz .LBB6_936
; %bb.931:                              ;   in Loop: Header=BB6_804 Depth=4
	v_cmp_ne_u16_e32 vcc, s91, v52
	v_bfrev_b32_e32 v1, 1
	s_and_saveexec_b64 s[64:65], vcc
	s_cbranch_execz .LBB6_935
; %bb.932:                              ;   in Loop: Header=BB6_804 Depth=4
	v_and_b32_e32 v24, 0x7f, v52
	v_cmp_ne_u32_e32 vcc, s92, v24
	v_mov_b32_e32 v1, 0x7f800001
	s_and_saveexec_b64 s[66:67], vcc
	s_cbranch_execz .LBB6_934
; %bb.933:                              ;   in Loop: Header=BB6_804 Depth=4
	v_and_b32_e32 v1, 7, v52
	v_ffbh_u32_e32 v29, v1
	v_min_u32_e32 v29, 32, v29
	v_subrev_u32_e32 v32, 28, v29
	v_lshlrev_b64 v[36:37], v32, v[52:53]
	v_lshrrev_b32_e32 v25, 3, v24
	v_sub_u32_e32 v29, 29, v29
	v_and_b32_e32 v32, 7, v36
	v_cmp_gt_u32_e32 vcc, 8, v24
	v_cndmask_b32_e32 v24, v25, v29, vcc
	v_cndmask_b32_e32 v1, v1, v32, vcc
	v_lshlrev_b32_e32 v25, 16, v26
	v_lshlrev_b32_e32 v1, 20, v1
	v_and_b32_e32 v25, 0x80000000, v25
	v_lshl_add_u32 v24, v24, 23, v31
	v_or3_b32 v1, v25, v24, v1
.LBB6_934:                              ;   in Loop: Header=BB6_804 Depth=4
	s_or_b64 exec, exec, s[66:67]
.LBB6_935:                              ;   in Loop: Header=BB6_804 Depth=4
	s_or_b64 exec, exec, s[64:65]
.LBB6_936:                              ;   in Loop: Header=BB6_804 Depth=4
	s_or_b64 exec, exec, s[28:29]
	v_add_f32_e32 v3, v3, v1
	v_and_b32_sdwa v1, v3, s91 dst_sel:DWORD dst_unused:UNUSED_PAD src0_sel:BYTE_3 src1_sel:DWORD
	v_and_b32_e32 v24, 0x7f800000, v3
	v_mov_b32_e32 v25, v27
	v_and_b32_e32 v26, 0x7fffff, v3
	v_or_b32_e32 v36, 0x7e, v1
	v_cmp_ne_u64_e32 vcc, s[52:53], v[24:25]
	s_and_saveexec_b64 s[28:29], vcc
	s_xor_b64 s[64:65], exec, s[28:29]
	s_cbranch_execz .LBB6_946
; %bb.937:                              ;   in Loop: Header=BB6_804 Depth=4
	v_and_b32_e32 v24, 0x7fffffff, v3
	v_mov_b32_e32 v25, v27
	v_cmp_gt_u64_e32 vcc, s[54:55], v[24:25]
	s_and_saveexec_b64 s[66:67], vcc
	s_cbranch_execz .LBB6_945
; %bb.938:                              ;   in Loop: Header=BB6_804 Depth=4
	v_cmp_ne_u32_e32 vcc, 0, v3
	v_mov_b32_e32 v36, 0
	s_and_saveexec_b64 s[68:69], vcc
	s_cbranch_execz .LBB6_944
; %bb.939:                              ;   in Loop: Header=BB6_804 Depth=4
	v_bfe_u32 v3, v3, 23, 8
	v_sub_u32_e32 v25, 0x79, v3
	v_cmp_gt_u32_e32 vcc, s93, v3
	v_add_u32_e32 v24, 0xffffff81, v3
	v_cndmask_b32_e32 v25, 0, v25, vcc
	v_cmp_eq_u32_e32 vcc, 0, v3
	v_mov_b32_e32 v0, 0xffffff82
	v_cndmask_b32_e32 v3, v24, v0, vcc
	v_mov_b32_e32 v0, 0x78
	v_cndmask_b32_e32 v32, v25, v0, vcc
	v_add_u32_e32 v24, 20, v32
	v_or_b32_e32 v29, 0x800000, v26
	v_lshlrev_b64 v[24:25], v24, -1
	v_cndmask_b32_e32 v26, v29, v26, vcc
	v_not_b32_e32 v24, v24
	v_and_b32_e32 v36, v26, v24
	v_add_u32_e32 v24, 19, v32
	v_lshrrev_b64 v[52:53], v32, v[26:27]
	v_not_b32_e32 v25, v25
	v_lshlrev_b64 v[50:51], v24, 1
	v_lshrrev_b32_e32 v24, 23, v52
	v_and_b32_e32 v37, 0, v25
	v_add3_u32 v25, v32, v3, v24
	v_bfe_u32 v3, v52, 20, 1
	v_add_u32_e32 v3, -1, v3
	v_cmp_eq_u64_e32 vcc, v[36:37], v[50:51]
	v_cndmask_b32_e32 v3, 0, v3, vcc
	v_add_u32_e32 v3, v3, v52
	v_and_b32_e32 v3, 0xfffff, v3
	v_add_co_u32_e32 v52, vcc, v3, v52
	v_add_u32_e32 v24, 6, v25
	v_addc_co_u32_e32 v53, vcc, 0, v53, vcc
	v_cmp_ne_u32_e32 vcc, 0, v24
                                        ; implicit-def: $vgpr3
	s_and_saveexec_b64 s[28:29], vcc
	s_xor_b64 s[28:29], exec, s[28:29]
; %bb.940:                              ;   in Loop: Header=BB6_804 Depth=4
	v_add_u32_e32 v3, 7, v25
	v_cmp_lt_u64_e32 vcc, s[56:57], v[52:53]
	v_cndmask_b32_e32 v3, v24, v3, vcc
	v_cndmask_b32_e64 v24, 0, 1, vcc
	v_lshrrev_b64 v[52:53], v24, v[52:53]
; %bb.941:                              ;   in Loop: Header=BB6_804 Depth=4
	s_andn2_saveexec_b64 s[28:29], s[28:29]
; %bb.942:                              ;   in Loop: Header=BB6_804 Depth=4
	v_bfe_u32 v3, v52, 23, 1
; %bb.943:                              ;   in Loop: Header=BB6_804 Depth=4
	s_or_b64 exec, exec, s[28:29]
	v_lshrrev_b64 v[24:25], 20, v[52:53]
	v_cmp_gt_i32_e32 vcc, 16, v3
	v_cndmask_b32_e32 v25, 0, v25, vcc
	v_cndmask_b32_e32 v24, 7, v24, vcc
	v_cmp_eq_u32_e32 vcc, 0, v3
	v_min_i32_e32 v3, 15, v3
	v_cmp_eq_u64_e64 s[28:29], 0, v[24:25]
	v_lshlrev_b32_e32 v3, 3, v3
	v_and_or_b32 v3, v24, 7, v3
	s_and_b64 s[28:29], vcc, s[28:29]
	v_cndmask_b32_e64 v3, v3, 0, s[28:29]
	v_or_b32_e32 v36, v3, v1
.LBB6_944:                              ;   in Loop: Header=BB6_804 Depth=4
	s_or_b64 exec, exec, s[68:69]
.LBB6_945:                              ;   in Loop: Header=BB6_804 Depth=4
	s_or_b64 exec, exec, s[66:67]
                                        ; implicit-def: $vgpr3
.LBB6_946:                              ;   in Loop: Header=BB6_804 Depth=4
	s_andn2_saveexec_b64 s[28:29], s[64:65]
; %bb.947:                              ;   in Loop: Header=BB6_804 Depth=4
	v_or_b32_sdwa v1, v3, s92 dst_sel:DWORD dst_unused:UNUSED_PAD src0_sel:BYTE_3 src1_sel:DWORD
	v_cmp_eq_u64_e32 vcc, 0, v[26:27]
	v_cndmask_b32_e32 v36, v1, v36, vcc
; %bb.948:                              ;   in Loop: Header=BB6_804 Depth=4
	s_or_b64 exec, exec, s[28:29]
	v_lshrrev_b32_e32 v26, 16, v21
	v_cmp_ne_u16_sdwa vcc, v26, v27 src0_sel:BYTE_0 src1_sel:DWORD
	v_mov_b32_e32 v1, 0
	v_mov_b32_e32 v3, 0
	s_and_saveexec_b64 s[28:29], vcc
	s_cbranch_execz .LBB6_954
; %bb.949:                              ;   in Loop: Header=BB6_804 Depth=4
	v_cmp_ne_u16_sdwa vcc, v26, s91 src0_sel:BYTE_0 src1_sel:DWORD
	v_bfrev_b32_e32 v3, 1
	s_and_saveexec_b64 s[64:65], vcc
	s_cbranch_execz .LBB6_953
; %bb.950:                              ;   in Loop: Header=BB6_804 Depth=4
	v_bfe_u32 v24, v21, 16, 7
	v_cmp_ne_u32_e32 vcc, s92, v24
	v_mov_b32_e32 v3, 0x7f800001
	s_and_saveexec_b64 s[66:67], vcc
	s_cbranch_execz .LBB6_952
; %bb.951:                              ;   in Loop: Header=BB6_804 Depth=4
	v_and_b32_e32 v3, 7, v26
	v_ffbh_u32_e32 v29, v3
	v_min_u32_e32 v29, 32, v29
	v_subrev_u32_e32 v32, 28, v29
	v_lshlrev_b64 v[50:51], v32, v[26:27]
	v_lshrrev_b32_e32 v25, 3, v24
	v_sub_u32_e32 v29, 29, v29
	v_and_b32_e32 v32, 7, v50
	v_cmp_gt_u32_e32 vcc, 8, v24
	v_cndmask_b32_e32 v24, v25, v29, vcc
	v_cndmask_b32_e32 v3, v3, v32, vcc
	v_lshlrev_b32_e32 v25, 24, v26
	v_lshlrev_b32_e32 v3, 20, v3
	v_and_b32_e32 v25, 0x80000000, v25
	v_lshl_add_u32 v24, v24, 23, v31
	v_or3_b32 v3, v25, v24, v3
.LBB6_952:                              ;   in Loop: Header=BB6_804 Depth=4
	s_or_b64 exec, exec, s[66:67]
.LBB6_953:                              ;   in Loop: Header=BB6_804 Depth=4
	s_or_b64 exec, exec, s[64:65]
.LBB6_954:                              ;   in Loop: Header=BB6_804 Depth=4
	s_or_b64 exec, exec, s[28:29]
	v_lshrrev_b32_e32 v26, 16, v17
	v_cmp_ne_u16_sdwa vcc, v26, v27 src0_sel:BYTE_0 src1_sel:DWORD
	s_and_saveexec_b64 s[28:29], vcc
	s_cbranch_execz .LBB6_960
; %bb.955:                              ;   in Loop: Header=BB6_804 Depth=4
	v_cmp_ne_u16_sdwa vcc, v26, s91 src0_sel:BYTE_0 src1_sel:DWORD
	v_bfrev_b32_e32 v1, 1
	s_and_saveexec_b64 s[64:65], vcc
	s_cbranch_execz .LBB6_959
; %bb.956:                              ;   in Loop: Header=BB6_804 Depth=4
	v_bfe_u32 v24, v17, 16, 7
	v_cmp_ne_u32_e32 vcc, s92, v24
	v_mov_b32_e32 v1, 0x7f800001
	s_and_saveexec_b64 s[66:67], vcc
	s_cbranch_execz .LBB6_958
; %bb.957:                              ;   in Loop: Header=BB6_804 Depth=4
	v_and_b32_e32 v1, 7, v26
	v_ffbh_u32_e32 v29, v1
	v_min_u32_e32 v29, 32, v29
	v_subrev_u32_e32 v32, 28, v29
	v_lshlrev_b64 v[50:51], v32, v[26:27]
	v_lshrrev_b32_e32 v25, 3, v24
	v_sub_u32_e32 v26, 29, v29
	v_and_b32_e32 v29, 7, v50
	v_cmp_gt_u32_e32 vcc, 8, v24
	v_cndmask_b32_e32 v24, v25, v26, vcc
	v_cndmask_b32_e32 v1, v1, v29, vcc
	v_lshlrev_b32_e32 v25, 8, v17
	v_lshlrev_b32_e32 v1, 20, v1
	v_and_b32_e32 v25, 0x80000000, v25
	v_lshl_add_u32 v24, v24, 23, v31
	v_or3_b32 v1, v25, v24, v1
.LBB6_958:                              ;   in Loop: Header=BB6_804 Depth=4
	s_or_b64 exec, exec, s[66:67]
.LBB6_959:                              ;   in Loop: Header=BB6_804 Depth=4
	s_or_b64 exec, exec, s[64:65]
.LBB6_960:                              ;   in Loop: Header=BB6_804 Depth=4
	s_or_b64 exec, exec, s[28:29]
	v_add_f32_e32 v3, v3, v1
	v_and_b32_sdwa v1, v3, s91 dst_sel:DWORD dst_unused:UNUSED_PAD src0_sel:BYTE_3 src1_sel:DWORD
	v_and_b32_e32 v24, 0x7f800000, v3
	v_mov_b32_e32 v25, v27
	v_and_b32_e32 v26, 0x7fffff, v3
	v_or_b32_e32 v37, 0x7e, v1
	v_cmp_ne_u64_e32 vcc, s[52:53], v[24:25]
	s_and_saveexec_b64 s[28:29], vcc
	s_xor_b64 s[64:65], exec, s[28:29]
	s_cbranch_execz .LBB6_970
; %bb.961:                              ;   in Loop: Header=BB6_804 Depth=4
	v_and_b32_e32 v24, 0x7fffffff, v3
	v_mov_b32_e32 v25, v27
	v_cmp_gt_u64_e32 vcc, s[54:55], v[24:25]
	s_and_saveexec_b64 s[66:67], vcc
	s_cbranch_execz .LBB6_969
; %bb.962:                              ;   in Loop: Header=BB6_804 Depth=4
	v_cmp_ne_u32_e32 vcc, 0, v3
	v_mov_b32_e32 v37, 0
	s_and_saveexec_b64 s[68:69], vcc
	s_cbranch_execz .LBB6_968
; %bb.963:                              ;   in Loop: Header=BB6_804 Depth=4
	v_bfe_u32 v3, v3, 23, 8
	v_sub_u32_e32 v25, 0x79, v3
	v_cmp_gt_u32_e32 vcc, s93, v3
	v_add_u32_e32 v24, 0xffffff81, v3
	v_cndmask_b32_e32 v25, 0, v25, vcc
	v_cmp_eq_u32_e32 vcc, 0, v3
	v_mov_b32_e32 v0, 0xffffff82
	v_cndmask_b32_e32 v3, v24, v0, vcc
	v_mov_b32_e32 v0, 0x78
	v_cndmask_b32_e32 v32, v25, v0, vcc
	v_add_u32_e32 v24, 20, v32
	v_or_b32_e32 v29, 0x800000, v26
	v_lshlrev_b64 v[24:25], v24, -1
	v_cndmask_b32_e32 v26, v29, v26, vcc
	v_not_b32_e32 v24, v24
	v_and_b32_e32 v50, v26, v24
	v_add_u32_e32 v24, 19, v32
	v_lshrrev_b64 v[42:43], v32, v[26:27]
	v_not_b32_e32 v25, v25
	v_lshlrev_b64 v[52:53], v24, 1
	v_lshrrev_b32_e32 v24, 23, v42
	v_and_b32_e32 v51, 0, v25
	v_add3_u32 v25, v32, v3, v24
	v_bfe_u32 v3, v42, 20, 1
	v_add_u32_e32 v3, -1, v3
	v_cmp_eq_u64_e32 vcc, v[50:51], v[52:53]
	v_cndmask_b32_e32 v3, 0, v3, vcc
	v_add_u32_e32 v3, v3, v42
	v_and_b32_e32 v3, 0xfffff, v3
	v_add_co_u32_e32 v52, vcc, v3, v42
	v_add_u32_e32 v24, 6, v25
	v_addc_co_u32_e32 v53, vcc, 0, v43, vcc
	v_cmp_ne_u32_e32 vcc, 0, v24
                                        ; implicit-def: $vgpr3
	s_and_saveexec_b64 s[28:29], vcc
	s_xor_b64 s[28:29], exec, s[28:29]
; %bb.964:                              ;   in Loop: Header=BB6_804 Depth=4
	v_add_u32_e32 v3, 7, v25
	v_cmp_lt_u64_e32 vcc, s[56:57], v[52:53]
	v_cndmask_b32_e32 v3, v24, v3, vcc
	v_cndmask_b32_e64 v24, 0, 1, vcc
	v_lshrrev_b64 v[52:53], v24, v[52:53]
; %bb.965:                              ;   in Loop: Header=BB6_804 Depth=4
	s_andn2_saveexec_b64 s[28:29], s[28:29]
; %bb.966:                              ;   in Loop: Header=BB6_804 Depth=4
	v_bfe_u32 v3, v52, 23, 1
; %bb.967:                              ;   in Loop: Header=BB6_804 Depth=4
	s_or_b64 exec, exec, s[28:29]
	v_lshrrev_b64 v[24:25], 20, v[52:53]
	v_cmp_gt_i32_e32 vcc, 16, v3
	v_cndmask_b32_e32 v25, 0, v25, vcc
	v_cndmask_b32_e32 v24, 7, v24, vcc
	v_cmp_eq_u32_e32 vcc, 0, v3
	v_min_i32_e32 v3, 15, v3
	v_lshlrev_b32_e32 v3, 3, v3
	v_cmp_eq_u64_e64 s[28:29], 0, v[24:25]
	v_and_b32_e32 v3, 0xf8, v3
	v_and_or_b32 v3, v24, 7, v3
	s_and_b64 s[28:29], vcc, s[28:29]
	v_cndmask_b32_e64 v3, v3, 0, s[28:29]
	v_or_b32_e32 v37, v3, v1
.LBB6_968:                              ;   in Loop: Header=BB6_804 Depth=4
	s_or_b64 exec, exec, s[68:69]
.LBB6_969:                              ;   in Loop: Header=BB6_804 Depth=4
	s_or_b64 exec, exec, s[66:67]
                                        ; implicit-def: $vgpr3
.LBB6_970:                              ;   in Loop: Header=BB6_804 Depth=4
	s_andn2_saveexec_b64 s[28:29], s[64:65]
; %bb.971:                              ;   in Loop: Header=BB6_804 Depth=4
	v_or_b32_sdwa v1, v3, s92 dst_sel:DWORD dst_unused:UNUSED_PAD src0_sel:BYTE_3 src1_sel:DWORD
	v_cmp_eq_u64_e32 vcc, 0, v[26:27]
	v_cndmask_b32_e32 v37, v1, v37, vcc
; %bb.972:                              ;   in Loop: Header=BB6_804 Depth=4
	s_or_b64 exec, exec, s[28:29]
	v_cmp_lt_u64_e32 vcc, s[42:43], v[20:21]
	v_mov_b32_e32 v1, 0
	v_mov_b32_e32 v3, 0
	s_and_saveexec_b64 s[28:29], vcc
	s_cbranch_execz .LBB6_978
; %bb.973:                              ;   in Loop: Header=BB6_804 Depth=4
	v_lshrrev_b32_e32 v20, 24, v21
	v_cmp_ne_u32_e32 vcc, s91, v20
	v_bfrev_b32_e32 v3, 1
	s_and_saveexec_b64 s[64:65], vcc
	s_cbranch_execz .LBB6_977
; %bb.974:                              ;   in Loop: Header=BB6_804 Depth=4
	v_bfe_u32 v21, v21, 24, 7
	v_cmp_ne_u32_e32 vcc, s92, v21
	v_mov_b32_e32 v3, 0x7f800001
	s_and_saveexec_b64 s[66:67], vcc
	s_cbranch_execz .LBB6_976
; %bb.975:                              ;   in Loop: Header=BB6_804 Depth=4
	v_and_b32_e32 v3, 7, v20
	v_ffbh_u32_e32 v24, v3
	v_min_u32_e32 v29, 32, v24
	v_subrev_u32_e32 v24, 28, v29
	v_lshlrev_b64 v[24:25], v24, v[20:21]
	v_lshrrev_b32_e32 v26, 3, v21
	v_sub_u32_e32 v25, 29, v29
	v_and_b32_e32 v24, 7, v24
	v_cmp_gt_u32_e32 vcc, 8, v21
	v_cndmask_b32_e32 v21, v26, v25, vcc
	v_cndmask_b32_e32 v3, v3, v24, vcc
	v_lshlrev_b32_e32 v20, 24, v20
	v_lshlrev_b32_e32 v3, 20, v3
	v_and_b32_e32 v20, 0x80000000, v20
	v_lshl_add_u32 v21, v21, 23, v31
	v_or3_b32 v3, v20, v21, v3
.LBB6_976:                              ;   in Loop: Header=BB6_804 Depth=4
	s_or_b64 exec, exec, s[66:67]
.LBB6_977:                              ;   in Loop: Header=BB6_804 Depth=4
	s_or_b64 exec, exec, s[64:65]
.LBB6_978:                              ;   in Loop: Header=BB6_804 Depth=4
	s_or_b64 exec, exec, s[28:29]
	v_cmp_lt_u64_e32 vcc, s[42:43], v[16:17]
	s_and_saveexec_b64 s[28:29], vcc
	s_cbranch_execz .LBB6_984
; %bb.979:                              ;   in Loop: Header=BB6_804 Depth=4
	v_lshrrev_b32_e32 v16, 24, v17
	v_cmp_ne_u32_e32 vcc, s91, v16
	v_bfrev_b32_e32 v1, 1
	s_and_saveexec_b64 s[64:65], vcc
	s_cbranch_execz .LBB6_983
; %bb.980:                              ;   in Loop: Header=BB6_804 Depth=4
	v_bfe_u32 v17, v17, 24, 7
	v_cmp_ne_u32_e32 vcc, s92, v17
	v_mov_b32_e32 v1, 0x7f800001
	s_and_saveexec_b64 s[66:67], vcc
	s_cbranch_execz .LBB6_982
; %bb.981:                              ;   in Loop: Header=BB6_804 Depth=4
	v_and_b32_e32 v1, 7, v16
	v_ffbh_u32_e32 v20, v1
	v_min_u32_e32 v25, 32, v20
	v_subrev_u32_e32 v20, 28, v25
	v_lshlrev_b64 v[20:21], v20, v[16:17]
	v_lshrrev_b32_e32 v24, 3, v17
	v_sub_u32_e32 v21, 29, v25
	v_and_b32_e32 v20, 7, v20
	v_cmp_gt_u32_e32 vcc, 8, v17
	v_cndmask_b32_e32 v17, v24, v21, vcc
	v_cndmask_b32_e32 v1, v1, v20, vcc
	v_lshlrev_b32_e32 v16, 24, v16
	v_lshlrev_b32_e32 v1, 20, v1
	v_and_b32_e32 v16, 0x80000000, v16
	v_lshl_add_u32 v17, v17, 23, v31
	v_or3_b32 v1, v16, v17, v1
.LBB6_982:                              ;   in Loop: Header=BB6_804 Depth=4
	s_or_b64 exec, exec, s[66:67]
.LBB6_983:                              ;   in Loop: Header=BB6_804 Depth=4
	s_or_b64 exec, exec, s[64:65]
.LBB6_984:                              ;   in Loop: Header=BB6_804 Depth=4
	s_or_b64 exec, exec, s[28:29]
	v_add_f32_e32 v3, v3, v1
	v_and_b32_sdwa v1, v3, s91 dst_sel:DWORD dst_unused:UNUSED_PAD src0_sel:BYTE_3 src1_sel:DWORD
	v_and_b32_e32 v16, 0x7f800000, v3
	v_mov_b32_e32 v17, v27
	v_and_b32_e32 v26, 0x7fffff, v3
	v_or_b32_e32 v21, 0x7e, v1
	v_cmp_ne_u64_e32 vcc, s[52:53], v[16:17]
	s_and_saveexec_b64 s[28:29], vcc
	s_xor_b64 s[64:65], exec, s[28:29]
	s_cbranch_execz .LBB6_994
; %bb.985:                              ;   in Loop: Header=BB6_804 Depth=4
	v_and_b32_e32 v16, 0x7fffffff, v3
	v_mov_b32_e32 v17, v27
	v_cmp_gt_u64_e32 vcc, s[54:55], v[16:17]
	s_and_saveexec_b64 s[66:67], vcc
	s_cbranch_execz .LBB6_993
; %bb.986:                              ;   in Loop: Header=BB6_804 Depth=4
	v_cmp_ne_u32_e32 vcc, 0, v3
	v_mov_b32_e32 v21, 0
	s_and_saveexec_b64 s[68:69], vcc
	s_cbranch_execz .LBB6_992
; %bb.987:                              ;   in Loop: Header=BB6_804 Depth=4
	v_bfe_u32 v3, v3, 23, 8
	v_sub_u32_e32 v17, 0x79, v3
	v_cmp_gt_u32_e32 vcc, s93, v3
	v_add_u32_e32 v16, 0xffffff81, v3
	v_cndmask_b32_e32 v17, 0, v17, vcc
	v_cmp_eq_u32_e32 vcc, 0, v3
	v_mov_b32_e32 v0, 0xffffff82
	v_cndmask_b32_e32 v3, v16, v0, vcc
	v_mov_b32_e32 v0, 0x78
	v_or_b32_e32 v20, 0x800000, v26
	v_cndmask_b32_e32 v21, v17, v0, vcc
	v_cndmask_b32_e32 v26, v20, v26, vcc
	v_add_u32_e32 v16, 20, v21
	v_lshlrev_b64 v[16:17], v16, -1
	v_add_u32_e32 v20, 19, v21
	v_lshrrev_b64 v[50:51], v21, v[26:27]
	v_not_b32_e32 v17, v17
	v_not_b32_e32 v16, v16
	v_lshlrev_b64 v[24:25], v20, 1
	v_lshrrev_b32_e32 v20, 23, v50
	v_and_b32_e32 v17, 0, v17
	v_and_b32_e32 v16, v26, v16
	v_add3_u32 v21, v21, v3, v20
	v_bfe_u32 v3, v50, 20, 1
	v_add_u32_e32 v3, -1, v3
	v_cmp_eq_u64_e32 vcc, v[16:17], v[24:25]
	v_cndmask_b32_e32 v3, 0, v3, vcc
	v_add_u32_e32 v3, v3, v50
	v_and_b32_e32 v3, 0xfffff, v3
	v_add_co_u32_e32 v16, vcc, v3, v50
	v_add_u32_e32 v20, 6, v21
	v_addc_co_u32_e32 v17, vcc, 0, v51, vcc
	v_cmp_ne_u32_e32 vcc, 0, v20
                                        ; implicit-def: $vgpr3
	s_and_saveexec_b64 s[28:29], vcc
	s_xor_b64 s[28:29], exec, s[28:29]
; %bb.988:                              ;   in Loop: Header=BB6_804 Depth=4
	v_add_u32_e32 v3, 7, v21
	v_cmp_lt_u64_e32 vcc, s[56:57], v[16:17]
	v_cndmask_b32_e32 v3, v20, v3, vcc
	v_cndmask_b32_e64 v20, 0, 1, vcc
	v_lshrrev_b64 v[16:17], v20, v[16:17]
; %bb.989:                              ;   in Loop: Header=BB6_804 Depth=4
	s_andn2_saveexec_b64 s[28:29], s[28:29]
; %bb.990:                              ;   in Loop: Header=BB6_804 Depth=4
	v_bfe_u32 v3, v16, 23, 1
; %bb.991:                              ;   in Loop: Header=BB6_804 Depth=4
	s_or_b64 exec, exec, s[28:29]
	v_lshrrev_b64 v[16:17], 20, v[16:17]
	v_cmp_gt_i32_e32 vcc, 16, v3
	v_cndmask_b32_e32 v17, 0, v17, vcc
	v_cndmask_b32_e32 v16, 7, v16, vcc
	v_cmp_eq_u32_e32 vcc, 0, v3
	v_min_i32_e32 v3, 15, v3
	v_lshlrev_b32_e32 v3, 3, v3
	v_cmp_eq_u64_e64 s[28:29], 0, v[16:17]
	v_and_b32_e32 v3, 0xf8, v3
	v_and_or_b32 v3, v16, 7, v3
	s_and_b64 s[28:29], vcc, s[28:29]
	v_cndmask_b32_e64 v3, v3, 0, s[28:29]
	v_or_b32_e32 v21, v3, v1
.LBB6_992:                              ;   in Loop: Header=BB6_804 Depth=4
	s_or_b64 exec, exec, s[68:69]
.LBB6_993:                              ;   in Loop: Header=BB6_804 Depth=4
	s_or_b64 exec, exec, s[66:67]
                                        ; implicit-def: $vgpr3
.LBB6_994:                              ;   in Loop: Header=BB6_804 Depth=4
	s_andn2_saveexec_b64 s[28:29], s[64:65]
; %bb.995:                              ;   in Loop: Header=BB6_804 Depth=4
	v_or_b32_sdwa v1, v3, s92 dst_sel:DWORD dst_unused:UNUSED_PAD src0_sel:BYTE_3 src1_sel:DWORD
	v_cmp_eq_u64_e32 vcc, 0, v[26:27]
	v_cndmask_b32_e32 v21, v1, v21, vcc
; %bb.996:                              ;   in Loop: Header=BB6_804 Depth=4
	s_or_b64 exec, exec, s[28:29]
	v_cmp_ne_u16_sdwa vcc, v22, v27 src0_sel:BYTE_0 src1_sel:DWORD
	v_mov_b32_e32 v1, 0
	v_mov_b32_e32 v3, 0
	s_and_saveexec_b64 s[28:29], vcc
	s_cbranch_execz .LBB6_1002
; %bb.997:                              ;   in Loop: Header=BB6_804 Depth=4
	v_cmp_ne_u16_sdwa vcc, v22, s91 src0_sel:BYTE_0 src1_sel:DWORD
	v_bfrev_b32_e32 v3, 1
	s_and_saveexec_b64 s[64:65], vcc
	s_cbranch_execz .LBB6_1001
; %bb.998:                              ;   in Loop: Header=BB6_804 Depth=4
	v_and_b32_e32 v16, 0x7f, v22
	v_cmp_ne_u32_e32 vcc, s92, v16
	v_mov_b32_e32 v3, 0x7f800001
	s_and_saveexec_b64 s[66:67], vcc
	s_cbranch_execz .LBB6_1000
; %bb.999:                              ;   in Loop: Header=BB6_804 Depth=4
	v_and_b32_e32 v3, 7, v22
	v_ffbh_u32_e32 v3, v3
	v_min_u32_e32 v3, 32, v3
	v_subrev_u32_e32 v20, 28, v3
	v_cmp_gt_u32_e32 vcc, 8, v16
	v_lshrrev_b32_e32 v17, 3, v16
	v_sub_u32_e32 v3, 29, v3
	v_cndmask_b32_e32 v16, 0, v20, vcc
	v_cndmask_b32_e32 v3, v17, v3, vcc
	v_lshlrev_b64 v[16:17], v16, v[22:23]
	v_lshlrev_b32_e32 v16, 20, v16
	v_lshlrev_b32_e32 v17, 24, v22
	v_and_b32_e32 v16, 0x700000, v16
	v_and_b32_e32 v17, 0x80000000, v17
	v_lshl_add_u32 v3, v3, 23, v31
	v_or3_b32 v3, v17, v3, v16
.LBB6_1000:                             ;   in Loop: Header=BB6_804 Depth=4
	s_or_b64 exec, exec, s[66:67]
.LBB6_1001:                             ;   in Loop: Header=BB6_804 Depth=4
	s_or_b64 exec, exec, s[64:65]
.LBB6_1002:                             ;   in Loop: Header=BB6_804 Depth=4
	s_or_b64 exec, exec, s[28:29]
	v_cmp_ne_u16_sdwa vcc, v18, v27 src0_sel:BYTE_0 src1_sel:DWORD
	s_and_saveexec_b64 s[28:29], vcc
	s_cbranch_execz .LBB6_1008
; %bb.1003:                             ;   in Loop: Header=BB6_804 Depth=4
	v_cmp_ne_u16_sdwa vcc, v18, s91 src0_sel:BYTE_0 src1_sel:DWORD
	v_bfrev_b32_e32 v1, 1
	s_and_saveexec_b64 s[64:65], vcc
	s_cbranch_execz .LBB6_1007
; %bb.1004:                             ;   in Loop: Header=BB6_804 Depth=4
	v_and_b32_e32 v16, 0x7f, v18
	v_cmp_ne_u32_e32 vcc, s92, v16
	v_mov_b32_e32 v1, 0x7f800001
	s_and_saveexec_b64 s[66:67], vcc
	s_cbranch_execz .LBB6_1006
; %bb.1005:                             ;   in Loop: Header=BB6_804 Depth=4
	v_and_b32_e32 v1, 7, v18
	v_ffbh_u32_e32 v1, v1
	v_min_u32_e32 v1, 32, v1
	v_subrev_u32_e32 v20, 28, v1
	v_cmp_gt_u32_e32 vcc, 8, v16
	v_lshrrev_b32_e32 v17, 3, v16
	v_sub_u32_e32 v1, 29, v1
	v_cndmask_b32_e32 v16, 0, v20, vcc
	v_cndmask_b32_e32 v1, v17, v1, vcc
	v_lshlrev_b64 v[16:17], v16, v[18:19]
	v_lshlrev_b32_e32 v16, 20, v16
	v_lshlrev_b32_e32 v17, 24, v18
	v_and_b32_e32 v16, 0x700000, v16
	v_and_b32_e32 v17, 0x80000000, v17
	v_lshl_add_u32 v1, v1, 23, v31
	v_or3_b32 v1, v17, v1, v16
.LBB6_1006:                             ;   in Loop: Header=BB6_804 Depth=4
	s_or_b64 exec, exec, s[66:67]
.LBB6_1007:                             ;   in Loop: Header=BB6_804 Depth=4
	s_or_b64 exec, exec, s[64:65]
.LBB6_1008:                             ;   in Loop: Header=BB6_804 Depth=4
	s_or_b64 exec, exec, s[28:29]
	v_add_f32_e32 v3, v3, v1
	v_and_b32_sdwa v1, v3, s91 dst_sel:DWORD dst_unused:UNUSED_PAD src0_sel:BYTE_3 src1_sel:DWORD
	v_and_b32_e32 v16, 0x7f800000, v3
	v_mov_b32_e32 v17, v27
	v_and_b32_e32 v26, 0x7fffff, v3
	v_or_b32_e32 v52, 0x7e, v1
	v_cmp_ne_u64_e32 vcc, s[52:53], v[16:17]
	s_and_saveexec_b64 s[28:29], vcc
	s_xor_b64 s[64:65], exec, s[28:29]
	s_cbranch_execz .LBB6_1018
; %bb.1009:                             ;   in Loop: Header=BB6_804 Depth=4
	v_and_b32_e32 v16, 0x7fffffff, v3
	v_mov_b32_e32 v17, v27
	v_cmp_gt_u64_e32 vcc, s[54:55], v[16:17]
	s_and_saveexec_b64 s[66:67], vcc
	s_cbranch_execz .LBB6_1017
; %bb.1010:                             ;   in Loop: Header=BB6_804 Depth=4
	v_cmp_ne_u32_e32 vcc, 0, v3
	v_mov_b32_e32 v52, 0
	s_and_saveexec_b64 s[68:69], vcc
	s_cbranch_execz .LBB6_1016
; %bb.1011:                             ;   in Loop: Header=BB6_804 Depth=4
	v_bfe_u32 v3, v3, 23, 8
	v_sub_u32_e32 v17, 0x79, v3
	v_cmp_gt_u32_e32 vcc, s93, v3
	v_add_u32_e32 v16, 0xffffff81, v3
	v_cndmask_b32_e32 v17, 0, v17, vcc
	v_cmp_eq_u32_e32 vcc, 0, v3
	v_mov_b32_e32 v0, 0xffffff82
	v_cndmask_b32_e32 v3, v16, v0, vcc
	v_mov_b32_e32 v0, 0x78
	v_or_b32_e32 v20, 0x800000, v26
	v_cndmask_b32_e32 v24, v17, v0, vcc
	v_cndmask_b32_e32 v26, v20, v26, vcc
	v_add_u32_e32 v16, 20, v24
	v_lshlrev_b64 v[16:17], v16, -1
	v_add_u32_e32 v20, 19, v24
	v_lshrrev_b64 v[52:53], v24, v[26:27]
	v_not_b32_e32 v17, v17
	v_not_b32_e32 v16, v16
	v_lshlrev_b64 v[50:51], v20, 1
	v_lshrrev_b32_e32 v20, 23, v52
	v_and_b32_e32 v17, 0, v17
	v_and_b32_e32 v16, v26, v16
	v_add3_u32 v24, v24, v3, v20
	v_bfe_u32 v3, v52, 20, 1
	v_add_u32_e32 v3, -1, v3
	v_cmp_eq_u64_e32 vcc, v[16:17], v[50:51]
	v_cndmask_b32_e32 v3, 0, v3, vcc
	v_add_u32_e32 v3, v3, v52
	v_and_b32_e32 v3, 0xfffff, v3
	v_add_co_u32_e32 v16, vcc, v3, v52
	v_add_u32_e32 v20, 6, v24
	v_addc_co_u32_e32 v17, vcc, 0, v53, vcc
	v_cmp_ne_u32_e32 vcc, 0, v20
                                        ; implicit-def: $vgpr3
	s_and_saveexec_b64 s[28:29], vcc
	s_xor_b64 s[28:29], exec, s[28:29]
; %bb.1012:                             ;   in Loop: Header=BB6_804 Depth=4
	v_add_u32_e32 v3, 7, v24
	v_cmp_lt_u64_e32 vcc, s[56:57], v[16:17]
	v_cndmask_b32_e32 v3, v20, v3, vcc
	v_cndmask_b32_e64 v20, 0, 1, vcc
	v_lshrrev_b64 v[16:17], v20, v[16:17]
; %bb.1013:                             ;   in Loop: Header=BB6_804 Depth=4
	s_andn2_saveexec_b64 s[28:29], s[28:29]
; %bb.1014:                             ;   in Loop: Header=BB6_804 Depth=4
	v_bfe_u32 v3, v16, 23, 1
; %bb.1015:                             ;   in Loop: Header=BB6_804 Depth=4
	s_or_b64 exec, exec, s[28:29]
	v_lshrrev_b64 v[16:17], 20, v[16:17]
	v_cmp_gt_i32_e32 vcc, 16, v3
	v_cndmask_b32_e32 v17, 0, v17, vcc
	v_cndmask_b32_e32 v16, 7, v16, vcc
	v_cmp_eq_u32_e32 vcc, 0, v3
	v_min_i32_e32 v3, 15, v3
	v_cmp_eq_u64_e64 s[28:29], 0, v[16:17]
	v_lshlrev_b32_e32 v3, 3, v3
	v_and_or_b32 v3, v16, 7, v3
	s_and_b64 s[28:29], vcc, s[28:29]
	v_cndmask_b32_e64 v3, v3, 0, s[28:29]
	v_or_b32_e32 v52, v3, v1
.LBB6_1016:                             ;   in Loop: Header=BB6_804 Depth=4
	s_or_b64 exec, exec, s[68:69]
.LBB6_1017:                             ;   in Loop: Header=BB6_804 Depth=4
	s_or_b64 exec, exec, s[66:67]
                                        ; implicit-def: $vgpr3
.LBB6_1018:                             ;   in Loop: Header=BB6_804 Depth=4
	s_andn2_saveexec_b64 s[28:29], s[64:65]
; %bb.1019:                             ;   in Loop: Header=BB6_804 Depth=4
	v_or_b32_sdwa v1, v3, s92 dst_sel:DWORD dst_unused:UNUSED_PAD src0_sel:BYTE_3 src1_sel:DWORD
	v_cmp_eq_u64_e32 vcc, 0, v[26:27]
	v_cndmask_b32_e32 v52, v1, v52, vcc
; %bb.1020:                             ;   in Loop: Header=BB6_804 Depth=4
	s_or_b64 exec, exec, s[28:29]
	v_lshrrev_b16_e32 v16, 8, v22
	v_cmp_ne_u16_e32 vcc, 0, v16
	v_mov_b32_e32 v1, 0
	v_mov_b32_e32 v3, 0
	s_and_saveexec_b64 s[28:29], vcc
	s_cbranch_execz .LBB6_1026
; %bb.1021:                             ;   in Loop: Header=BB6_804 Depth=4
	v_cmp_ne_u16_e32 vcc, s91, v16
	v_bfrev_b32_e32 v3, 1
	s_and_saveexec_b64 s[64:65], vcc
	s_cbranch_execz .LBB6_1025
; %bb.1022:                             ;   in Loop: Header=BB6_804 Depth=4
	v_and_b32_e32 v17, 0x7f, v16
	v_cmp_ne_u32_e32 vcc, s92, v17
	v_mov_b32_e32 v3, 0x7f800001
	s_and_saveexec_b64 s[66:67], vcc
	s_cbranch_execz .LBB6_1024
; %bb.1023:                             ;   in Loop: Header=BB6_804 Depth=4
	v_and_b32_e32 v3, 7, v16
	v_ffbh_u32_e32 v24, v3
	v_min_u32_e32 v26, 32, v24
	v_subrev_u32_e32 v24, 28, v26
	v_lshlrev_b64 v[24:25], v24, v[16:17]
	v_lshrrev_b32_e32 v20, 3, v17
	v_sub_u32_e32 v16, 29, v26
	v_and_b32_e32 v24, 7, v24
	v_cmp_gt_u32_e32 vcc, 8, v17
	v_cndmask_b32_e32 v16, v20, v16, vcc
	v_cndmask_b32_e32 v3, v3, v24, vcc
	v_lshlrev_b32_e32 v17, 16, v22
	v_lshlrev_b32_e32 v3, 20, v3
	v_and_b32_e32 v17, 0x80000000, v17
	v_lshl_add_u32 v16, v16, 23, v31
	v_or3_b32 v3, v17, v16, v3
.LBB6_1024:                             ;   in Loop: Header=BB6_804 Depth=4
	s_or_b64 exec, exec, s[66:67]
.LBB6_1025:                             ;   in Loop: Header=BB6_804 Depth=4
	s_or_b64 exec, exec, s[64:65]
.LBB6_1026:                             ;   in Loop: Header=BB6_804 Depth=4
	s_or_b64 exec, exec, s[28:29]
	v_lshrrev_b16_e32 v16, 8, v18
	v_cmp_ne_u16_e32 vcc, 0, v16
	s_and_saveexec_b64 s[28:29], vcc
	s_cbranch_execz .LBB6_1032
; %bb.1027:                             ;   in Loop: Header=BB6_804 Depth=4
	v_cmp_ne_u16_e32 vcc, s91, v16
	v_bfrev_b32_e32 v1, 1
	s_and_saveexec_b64 s[64:65], vcc
	s_cbranch_execz .LBB6_1031
; %bb.1028:                             ;   in Loop: Header=BB6_804 Depth=4
	v_and_b32_e32 v17, 0x7f, v16
	v_cmp_ne_u32_e32 vcc, s92, v17
	v_mov_b32_e32 v1, 0x7f800001
	s_and_saveexec_b64 s[66:67], vcc
	s_cbranch_execz .LBB6_1030
; %bb.1029:                             ;   in Loop: Header=BB6_804 Depth=4
	v_and_b32_e32 v1, 7, v16
	v_ffbh_u32_e32 v24, v1
	v_min_u32_e32 v26, 32, v24
	v_subrev_u32_e32 v24, 28, v26
	v_lshlrev_b64 v[24:25], v24, v[16:17]
	v_lshrrev_b32_e32 v20, 3, v17
	v_sub_u32_e32 v16, 29, v26
	v_and_b32_e32 v24, 7, v24
	v_cmp_gt_u32_e32 vcc, 8, v17
	v_cndmask_b32_e32 v16, v20, v16, vcc
	v_cndmask_b32_e32 v1, v1, v24, vcc
	v_lshlrev_b32_e32 v17, 16, v18
	v_lshlrev_b32_e32 v1, 20, v1
	v_and_b32_e32 v17, 0x80000000, v17
	v_lshl_add_u32 v16, v16, 23, v31
	v_or3_b32 v1, v17, v16, v1
.LBB6_1030:                             ;   in Loop: Header=BB6_804 Depth=4
	s_or_b64 exec, exec, s[66:67]
.LBB6_1031:                             ;   in Loop: Header=BB6_804 Depth=4
	s_or_b64 exec, exec, s[64:65]
.LBB6_1032:                             ;   in Loop: Header=BB6_804 Depth=4
	s_or_b64 exec, exec, s[28:29]
	v_add_f32_e32 v3, v3, v1
	v_and_b32_sdwa v1, v3, s91 dst_sel:DWORD dst_unused:UNUSED_PAD src0_sel:BYTE_3 src1_sel:DWORD
	v_and_b32_e32 v16, 0x7f800000, v3
	v_mov_b32_e32 v17, v27
	v_and_b32_e32 v26, 0x7fffff, v3
	v_or_b32_e32 v53, 0x7e, v1
	v_cmp_ne_u64_e32 vcc, s[52:53], v[16:17]
	s_and_saveexec_b64 s[28:29], vcc
	s_xor_b64 s[64:65], exec, s[28:29]
	s_cbranch_execz .LBB6_1042
; %bb.1033:                             ;   in Loop: Header=BB6_804 Depth=4
	v_and_b32_e32 v16, 0x7fffffff, v3
	v_mov_b32_e32 v17, v27
	v_cmp_gt_u64_e32 vcc, s[54:55], v[16:17]
	s_and_saveexec_b64 s[66:67], vcc
	s_cbranch_execz .LBB6_1041
; %bb.1034:                             ;   in Loop: Header=BB6_804 Depth=4
	v_cmp_ne_u32_e32 vcc, 0, v3
	v_mov_b32_e32 v53, 0
	s_and_saveexec_b64 s[68:69], vcc
	s_cbranch_execz .LBB6_1040
; %bb.1035:                             ;   in Loop: Header=BB6_804 Depth=4
	v_bfe_u32 v3, v3, 23, 8
	v_sub_u32_e32 v17, 0x79, v3
	v_cmp_gt_u32_e32 vcc, s93, v3
	v_add_u32_e32 v16, 0xffffff81, v3
	v_cndmask_b32_e32 v17, 0, v17, vcc
	v_cmp_eq_u32_e32 vcc, 0, v3
	v_mov_b32_e32 v0, 0xffffff82
	v_cndmask_b32_e32 v3, v16, v0, vcc
	v_mov_b32_e32 v0, 0x78
	v_or_b32_e32 v20, 0x800000, v26
	v_cndmask_b32_e32 v24, v17, v0, vcc
	v_cndmask_b32_e32 v26, v20, v26, vcc
	v_add_u32_e32 v16, 20, v24
	v_lshlrev_b64 v[16:17], v16, -1
	v_add_u32_e32 v20, 19, v24
	v_lshrrev_b64 v[42:43], v24, v[26:27]
	v_not_b32_e32 v17, v17
	v_not_b32_e32 v16, v16
	v_lshlrev_b64 v[50:51], v20, 1
	v_lshrrev_b32_e32 v20, 23, v42
	v_and_b32_e32 v17, 0, v17
	v_and_b32_e32 v16, v26, v16
	v_add3_u32 v24, v24, v3, v20
	v_bfe_u32 v3, v42, 20, 1
	v_add_u32_e32 v3, -1, v3
	v_cmp_eq_u64_e32 vcc, v[16:17], v[50:51]
	v_cndmask_b32_e32 v3, 0, v3, vcc
	v_add_u32_e32 v3, v3, v42
	v_and_b32_e32 v3, 0xfffff, v3
	v_add_co_u32_e32 v16, vcc, v3, v42
	v_add_u32_e32 v20, 6, v24
	v_addc_co_u32_e32 v17, vcc, 0, v43, vcc
	v_cmp_ne_u32_e32 vcc, 0, v20
                                        ; implicit-def: $vgpr3
	s_and_saveexec_b64 s[28:29], vcc
	s_xor_b64 s[28:29], exec, s[28:29]
; %bb.1036:                             ;   in Loop: Header=BB6_804 Depth=4
	v_add_u32_e32 v3, 7, v24
	v_cmp_lt_u64_e32 vcc, s[56:57], v[16:17]
	v_cndmask_b32_e32 v3, v20, v3, vcc
	v_cndmask_b32_e64 v20, 0, 1, vcc
	v_lshrrev_b64 v[16:17], v20, v[16:17]
; %bb.1037:                             ;   in Loop: Header=BB6_804 Depth=4
	s_andn2_saveexec_b64 s[28:29], s[28:29]
; %bb.1038:                             ;   in Loop: Header=BB6_804 Depth=4
	v_bfe_u32 v3, v16, 23, 1
; %bb.1039:                             ;   in Loop: Header=BB6_804 Depth=4
	s_or_b64 exec, exec, s[28:29]
	v_lshrrev_b64 v[16:17], 20, v[16:17]
	v_cmp_gt_i32_e32 vcc, 16, v3
	v_cndmask_b32_e32 v17, 0, v17, vcc
	v_cndmask_b32_e32 v16, 7, v16, vcc
	v_cmp_eq_u32_e32 vcc, 0, v3
	v_min_i32_e32 v3, 15, v3
	v_cmp_eq_u64_e64 s[28:29], 0, v[16:17]
	v_lshlrev_b32_e32 v3, 3, v3
	v_and_or_b32 v3, v16, 7, v3
	s_and_b64 s[28:29], vcc, s[28:29]
	v_cndmask_b32_e64 v3, v3, 0, s[28:29]
	v_or_b32_e32 v53, v3, v1
.LBB6_1040:                             ;   in Loop: Header=BB6_804 Depth=4
	s_or_b64 exec, exec, s[68:69]
.LBB6_1041:                             ;   in Loop: Header=BB6_804 Depth=4
	s_or_b64 exec, exec, s[66:67]
                                        ; implicit-def: $vgpr3
.LBB6_1042:                             ;   in Loop: Header=BB6_804 Depth=4
	s_andn2_saveexec_b64 s[28:29], s[64:65]
; %bb.1043:                             ;   in Loop: Header=BB6_804 Depth=4
	v_or_b32_sdwa v1, v3, s92 dst_sel:DWORD dst_unused:UNUSED_PAD src0_sel:BYTE_3 src1_sel:DWORD
	v_cmp_eq_u64_e32 vcc, 0, v[26:27]
	v_cndmask_b32_e32 v53, v1, v53, vcc
; %bb.1044:                             ;   in Loop: Header=BB6_804 Depth=4
	s_or_b64 exec, exec, s[28:29]
	v_lshrrev_b32_e32 v16, 16, v22
	v_cmp_ne_u16_sdwa vcc, v16, v27 src0_sel:BYTE_0 src1_sel:DWORD
	v_mov_b32_e32 v1, 0
	v_mov_b32_e32 v3, 0
	s_and_saveexec_b64 s[28:29], vcc
	s_cbranch_execz .LBB6_1050
; %bb.1045:                             ;   in Loop: Header=BB6_804 Depth=4
	v_cmp_ne_u16_sdwa vcc, v16, s91 src0_sel:BYTE_0 src1_sel:DWORD
	v_bfrev_b32_e32 v3, 1
	s_and_saveexec_b64 s[64:65], vcc
	s_cbranch_execz .LBB6_1049
; %bb.1046:                             ;   in Loop: Header=BB6_804 Depth=4
	v_bfe_u32 v17, v22, 16, 7
	v_cmp_ne_u32_e32 vcc, s92, v17
	v_mov_b32_e32 v3, 0x7f800001
	s_and_saveexec_b64 s[66:67], vcc
	s_cbranch_execz .LBB6_1048
; %bb.1047:                             ;   in Loop: Header=BB6_804 Depth=4
	v_and_b32_e32 v3, 7, v16
	v_ffbh_u32_e32 v24, v3
	v_min_u32_e32 v26, 32, v24
	v_subrev_u32_e32 v24, 28, v26
	v_lshlrev_b64 v[24:25], v24, v[16:17]
	v_lshrrev_b32_e32 v20, 3, v17
	v_sub_u32_e32 v25, 29, v26
	v_and_b32_e32 v24, 7, v24
	v_cmp_gt_u32_e32 vcc, 8, v17
	v_cndmask_b32_e32 v17, v20, v25, vcc
	v_cndmask_b32_e32 v3, v3, v24, vcc
	v_lshlrev_b32_e32 v16, 24, v16
	v_lshlrev_b32_e32 v3, 20, v3
	v_and_b32_e32 v16, 0x80000000, v16
	v_lshl_add_u32 v17, v17, 23, v31
	v_or3_b32 v3, v16, v17, v3
.LBB6_1048:                             ;   in Loop: Header=BB6_804 Depth=4
	s_or_b64 exec, exec, s[66:67]
.LBB6_1049:                             ;   in Loop: Header=BB6_804 Depth=4
	s_or_b64 exec, exec, s[64:65]
.LBB6_1050:                             ;   in Loop: Header=BB6_804 Depth=4
	s_or_b64 exec, exec, s[28:29]
	v_lshrrev_b32_e32 v16, 16, v18
	v_cmp_ne_u16_sdwa vcc, v16, v27 src0_sel:BYTE_0 src1_sel:DWORD
	s_and_saveexec_b64 s[28:29], vcc
	s_cbranch_execz .LBB6_1056
; %bb.1051:                             ;   in Loop: Header=BB6_804 Depth=4
	v_cmp_ne_u16_sdwa vcc, v16, s91 src0_sel:BYTE_0 src1_sel:DWORD
	v_bfrev_b32_e32 v1, 1
	s_and_saveexec_b64 s[64:65], vcc
	s_cbranch_execz .LBB6_1055
; %bb.1052:                             ;   in Loop: Header=BB6_804 Depth=4
	v_bfe_u32 v17, v18, 16, 7
	v_cmp_ne_u32_e32 vcc, s92, v17
	v_mov_b32_e32 v1, 0x7f800001
	s_and_saveexec_b64 s[66:67], vcc
	s_cbranch_execz .LBB6_1054
; %bb.1053:                             ;   in Loop: Header=BB6_804 Depth=4
	v_and_b32_e32 v1, 7, v16
	v_ffbh_u32_e32 v24, v1
	v_min_u32_e32 v26, 32, v24
	v_subrev_u32_e32 v24, 28, v26
	v_lshlrev_b64 v[24:25], v24, v[16:17]
	v_lshrrev_b32_e32 v20, 3, v17
	v_sub_u32_e32 v16, 29, v26
	v_and_b32_e32 v24, 7, v24
	v_cmp_gt_u32_e32 vcc, 8, v17
	v_cndmask_b32_e32 v16, v20, v16, vcc
	v_cndmask_b32_e32 v1, v1, v24, vcc
	v_lshlrev_b32_e32 v17, 8, v18
	v_lshlrev_b32_e32 v1, 20, v1
	v_and_b32_e32 v17, 0x80000000, v17
	v_lshl_add_u32 v16, v16, 23, v31
	v_or3_b32 v1, v17, v16, v1
.LBB6_1054:                             ;   in Loop: Header=BB6_804 Depth=4
	s_or_b64 exec, exec, s[66:67]
.LBB6_1055:                             ;   in Loop: Header=BB6_804 Depth=4
	s_or_b64 exec, exec, s[64:65]
.LBB6_1056:                             ;   in Loop: Header=BB6_804 Depth=4
	s_or_b64 exec, exec, s[28:29]
	v_add_f32_e32 v3, v3, v1
	v_and_b32_sdwa v1, v3, s91 dst_sel:DWORD dst_unused:UNUSED_PAD src0_sel:BYTE_3 src1_sel:DWORD
	v_and_b32_e32 v16, 0x7f800000, v3
	v_mov_b32_e32 v17, v27
	v_and_b32_e32 v26, 0x7fffff, v3
	v_or_b32_e32 v24, 0x7e, v1
	v_cmp_ne_u64_e32 vcc, s[52:53], v[16:17]
	s_and_saveexec_b64 s[28:29], vcc
	s_xor_b64 s[64:65], exec, s[28:29]
	s_cbranch_execz .LBB6_1066
; %bb.1057:                             ;   in Loop: Header=BB6_804 Depth=4
	v_and_b32_e32 v16, 0x7fffffff, v3
	v_mov_b32_e32 v17, v27
	v_cmp_gt_u64_e32 vcc, s[54:55], v[16:17]
	s_and_saveexec_b64 s[66:67], vcc
	s_cbranch_execz .LBB6_1065
; %bb.1058:                             ;   in Loop: Header=BB6_804 Depth=4
	v_cmp_ne_u32_e32 vcc, 0, v3
	v_mov_b32_e32 v24, 0
	s_and_saveexec_b64 s[68:69], vcc
	s_cbranch_execz .LBB6_1064
; %bb.1059:                             ;   in Loop: Header=BB6_804 Depth=4
	v_bfe_u32 v3, v3, 23, 8
	v_sub_u32_e32 v17, 0x79, v3
	v_cmp_gt_u32_e32 vcc, s93, v3
	v_add_u32_e32 v16, 0xffffff81, v3
	v_cndmask_b32_e32 v17, 0, v17, vcc
	v_cmp_eq_u32_e32 vcc, 0, v3
	v_mov_b32_e32 v0, 0xffffff82
	v_cndmask_b32_e32 v3, v16, v0, vcc
	v_mov_b32_e32 v0, 0x78
	v_or_b32_e32 v20, 0x800000, v26
	v_cndmask_b32_e32 v24, v17, v0, vcc
	v_cndmask_b32_e32 v26, v20, v26, vcc
	v_add_u32_e32 v16, 20, v24
	v_lshlrev_b64 v[16:17], v16, -1
	v_add_u32_e32 v20, 19, v24
	v_lshrrev_b64 v[42:43], v24, v[26:27]
	v_not_b32_e32 v17, v17
	v_not_b32_e32 v16, v16
	v_lshlrev_b64 v[50:51], v20, 1
	v_lshrrev_b32_e32 v20, 23, v42
	v_and_b32_e32 v17, 0, v17
	v_and_b32_e32 v16, v26, v16
	v_add3_u32 v24, v24, v3, v20
	v_bfe_u32 v3, v42, 20, 1
	v_add_u32_e32 v3, -1, v3
	v_cmp_eq_u64_e32 vcc, v[16:17], v[50:51]
	v_cndmask_b32_e32 v3, 0, v3, vcc
	v_add_u32_e32 v3, v3, v42
	v_and_b32_e32 v3, 0xfffff, v3
	v_add_co_u32_e32 v16, vcc, v3, v42
	v_add_u32_e32 v20, 6, v24
	v_addc_co_u32_e32 v17, vcc, 0, v43, vcc
	v_cmp_ne_u32_e32 vcc, 0, v20
                                        ; implicit-def: $vgpr3
	s_and_saveexec_b64 s[28:29], vcc
	s_xor_b64 s[28:29], exec, s[28:29]
; %bb.1060:                             ;   in Loop: Header=BB6_804 Depth=4
	v_add_u32_e32 v3, 7, v24
	v_cmp_lt_u64_e32 vcc, s[56:57], v[16:17]
	v_cndmask_b32_e32 v3, v20, v3, vcc
	v_cndmask_b32_e64 v20, 0, 1, vcc
	v_lshrrev_b64 v[16:17], v20, v[16:17]
; %bb.1061:                             ;   in Loop: Header=BB6_804 Depth=4
	s_andn2_saveexec_b64 s[28:29], s[28:29]
; %bb.1062:                             ;   in Loop: Header=BB6_804 Depth=4
	v_bfe_u32 v3, v16, 23, 1
; %bb.1063:                             ;   in Loop: Header=BB6_804 Depth=4
	s_or_b64 exec, exec, s[28:29]
	v_lshrrev_b64 v[16:17], 20, v[16:17]
	v_cmp_gt_i32_e32 vcc, 16, v3
	v_cndmask_b32_e32 v17, 0, v17, vcc
	v_cndmask_b32_e32 v16, 7, v16, vcc
	v_cmp_eq_u32_e32 vcc, 0, v3
	v_min_i32_e32 v3, 15, v3
	v_cmp_eq_u64_e64 s[28:29], 0, v[16:17]
	v_lshlrev_b32_e32 v3, 3, v3
	v_and_or_b32 v3, v16, 7, v3
	s_and_b64 s[28:29], vcc, s[28:29]
	v_cndmask_b32_e64 v3, v3, 0, s[28:29]
	v_or_b32_e32 v24, v3, v1
.LBB6_1064:                             ;   in Loop: Header=BB6_804 Depth=4
	s_or_b64 exec, exec, s[68:69]
.LBB6_1065:                             ;   in Loop: Header=BB6_804 Depth=4
	s_or_b64 exec, exec, s[66:67]
                                        ; implicit-def: $vgpr3
.LBB6_1066:                             ;   in Loop: Header=BB6_804 Depth=4
	s_andn2_saveexec_b64 s[28:29], s[64:65]
; %bb.1067:                             ;   in Loop: Header=BB6_804 Depth=4
	v_or_b32_sdwa v1, v3, s92 dst_sel:DWORD dst_unused:UNUSED_PAD src0_sel:BYTE_3 src1_sel:DWORD
	v_cmp_eq_u64_e32 vcc, 0, v[26:27]
	v_cndmask_b32_e32 v24, v1, v24, vcc
; %bb.1068:                             ;   in Loop: Header=BB6_804 Depth=4
	s_or_b64 exec, exec, s[28:29]
	v_cmp_lt_u32_e32 vcc, s43, v22
	v_mov_b32_e32 v1, 0
	v_mov_b32_e32 v3, 0
	s_and_saveexec_b64 s[28:29], vcc
	s_cbranch_execz .LBB6_1074
; %bb.1069:                             ;   in Loop: Header=BB6_804 Depth=4
	v_lshrrev_b32_e32 v16, 24, v22
	v_cmp_ne_u32_e32 vcc, s91, v16
	v_bfrev_b32_e32 v3, 1
	s_and_saveexec_b64 s[64:65], vcc
	s_cbranch_execz .LBB6_1073
; %bb.1070:                             ;   in Loop: Header=BB6_804 Depth=4
	v_bfe_u32 v17, v22, 24, 7
	v_cmp_ne_u32_e32 vcc, s92, v17
	v_mov_b32_e32 v3, 0x7f800001
	s_and_saveexec_b64 s[66:67], vcc
	s_cbranch_execz .LBB6_1072
; %bb.1071:                             ;   in Loop: Header=BB6_804 Depth=4
	v_and_b32_e32 v3, 7, v16
	v_ffbh_u32_e32 v25, v3
	v_min_u32_e32 v25, 32, v25
	v_subrev_u32_e32 v26, 28, v25
	v_lshlrev_b64 v[50:51], v26, v[16:17]
	v_lshrrev_b32_e32 v20, 3, v17
	v_sub_u32_e32 v25, 29, v25
	v_and_b32_e32 v26, 7, v50
	v_cmp_gt_u32_e32 vcc, 8, v17
	v_cndmask_b32_e32 v17, v20, v25, vcc
	v_cndmask_b32_e32 v3, v3, v26, vcc
	v_lshlrev_b32_e32 v16, 24, v16
	v_lshlrev_b32_e32 v3, 20, v3
	v_and_b32_e32 v16, 0x80000000, v16
	v_lshl_add_u32 v17, v17, 23, v31
	v_or3_b32 v3, v16, v17, v3
.LBB6_1072:                             ;   in Loop: Header=BB6_804 Depth=4
	s_or_b64 exec, exec, s[66:67]
.LBB6_1073:                             ;   in Loop: Header=BB6_804 Depth=4
	s_or_b64 exec, exec, s[64:65]
.LBB6_1074:                             ;   in Loop: Header=BB6_804 Depth=4
	s_or_b64 exec, exec, s[28:29]
	v_cmp_lt_u32_e32 vcc, s43, v18
	s_and_saveexec_b64 s[28:29], vcc
	s_cbranch_execz .LBB6_1080
; %bb.1075:                             ;   in Loop: Header=BB6_804 Depth=4
	v_lshrrev_b32_e32 v16, 24, v18
	v_cmp_ne_u32_e32 vcc, s91, v16
	v_bfrev_b32_e32 v1, 1
	s_and_saveexec_b64 s[64:65], vcc
	s_cbranch_execz .LBB6_1079
; %bb.1076:                             ;   in Loop: Header=BB6_804 Depth=4
	v_bfe_u32 v17, v18, 24, 7
	v_cmp_ne_u32_e32 vcc, s92, v17
	v_mov_b32_e32 v1, 0x7f800001
	s_and_saveexec_b64 s[66:67], vcc
	s_cbranch_execz .LBB6_1078
; %bb.1077:                             ;   in Loop: Header=BB6_804 Depth=4
	v_and_b32_e32 v1, 7, v16
	v_ffbh_u32_e32 v25, v1
	v_min_u32_e32 v25, 32, v25
	v_subrev_u32_e32 v26, 28, v25
	v_lshlrev_b64 v[50:51], v26, v[16:17]
	v_lshrrev_b32_e32 v20, 3, v17
	v_sub_u32_e32 v25, 29, v25
	v_and_b32_e32 v26, 7, v50
	v_cmp_gt_u32_e32 vcc, 8, v17
	v_cndmask_b32_e32 v17, v20, v25, vcc
	v_cndmask_b32_e32 v1, v1, v26, vcc
	v_lshlrev_b32_e32 v16, 24, v16
	v_lshlrev_b32_e32 v1, 20, v1
	v_and_b32_e32 v16, 0x80000000, v16
	v_lshl_add_u32 v17, v17, 23, v31
	v_or3_b32 v1, v16, v17, v1
.LBB6_1078:                             ;   in Loop: Header=BB6_804 Depth=4
	s_or_b64 exec, exec, s[66:67]
.LBB6_1079:                             ;   in Loop: Header=BB6_804 Depth=4
	s_or_b64 exec, exec, s[64:65]
.LBB6_1080:                             ;   in Loop: Header=BB6_804 Depth=4
	s_or_b64 exec, exec, s[28:29]
	v_add_f32_e32 v3, v3, v1
	v_and_b32_sdwa v1, v3, s91 dst_sel:DWORD dst_unused:UNUSED_PAD src0_sel:BYTE_3 src1_sel:DWORD
	v_and_b32_e32 v16, 0x7f800000, v3
	v_mov_b32_e32 v17, v27
	v_and_b32_e32 v26, 0x7fffff, v3
	v_or_b32_e32 v25, 0x7e, v1
	v_cmp_ne_u64_e32 vcc, s[52:53], v[16:17]
	s_and_saveexec_b64 s[28:29], vcc
	s_xor_b64 s[64:65], exec, s[28:29]
	s_cbranch_execz .LBB6_1090
; %bb.1081:                             ;   in Loop: Header=BB6_804 Depth=4
	v_and_b32_e32 v16, 0x7fffffff, v3
	v_mov_b32_e32 v17, v27
	v_cmp_gt_u64_e32 vcc, s[54:55], v[16:17]
	s_and_saveexec_b64 s[66:67], vcc
	s_cbranch_execz .LBB6_1089
; %bb.1082:                             ;   in Loop: Header=BB6_804 Depth=4
	v_cmp_ne_u32_e32 vcc, 0, v3
	v_mov_b32_e32 v25, 0
	s_and_saveexec_b64 s[68:69], vcc
	s_cbranch_execz .LBB6_1088
; %bb.1083:                             ;   in Loop: Header=BB6_804 Depth=4
	v_bfe_u32 v3, v3, 23, 8
	v_sub_u32_e32 v17, 0x79, v3
	v_cmp_gt_u32_e32 vcc, s93, v3
	v_add_u32_e32 v16, 0xffffff81, v3
	v_cndmask_b32_e32 v17, 0, v17, vcc
	v_cmp_eq_u32_e32 vcc, 0, v3
	v_mov_b32_e32 v0, 0xffffff82
	v_cndmask_b32_e32 v3, v16, v0, vcc
	v_mov_b32_e32 v0, 0x78
	v_or_b32_e32 v20, 0x800000, v26
	v_cndmask_b32_e32 v25, v17, v0, vcc
	v_cndmask_b32_e32 v26, v20, v26, vcc
	v_add_u32_e32 v16, 20, v25
	v_lshlrev_b64 v[16:17], v16, -1
	v_add_u32_e32 v20, 19, v25
	v_lshrrev_b64 v[42:43], v25, v[26:27]
	v_not_b32_e32 v17, v17
	v_not_b32_e32 v16, v16
	v_lshlrev_b64 v[50:51], v20, 1
	v_lshrrev_b32_e32 v20, 23, v42
	v_and_b32_e32 v17, 0, v17
	v_and_b32_e32 v16, v26, v16
	v_add3_u32 v25, v25, v3, v20
	v_bfe_u32 v3, v42, 20, 1
	v_add_u32_e32 v3, -1, v3
	v_cmp_eq_u64_e32 vcc, v[16:17], v[50:51]
	v_cndmask_b32_e32 v3, 0, v3, vcc
	v_add_u32_e32 v3, v3, v42
	v_and_b32_e32 v3, 0xfffff, v3
	v_add_co_u32_e32 v16, vcc, v3, v42
	v_add_u32_e32 v20, 6, v25
	v_addc_co_u32_e32 v17, vcc, 0, v43, vcc
	v_cmp_ne_u32_e32 vcc, 0, v20
                                        ; implicit-def: $vgpr3
	s_and_saveexec_b64 s[28:29], vcc
	s_xor_b64 s[28:29], exec, s[28:29]
; %bb.1084:                             ;   in Loop: Header=BB6_804 Depth=4
	v_add_u32_e32 v3, 7, v25
	v_cmp_lt_u64_e32 vcc, s[56:57], v[16:17]
	v_cndmask_b32_e32 v3, v20, v3, vcc
	v_cndmask_b32_e64 v20, 0, 1, vcc
	v_lshrrev_b64 v[16:17], v20, v[16:17]
; %bb.1085:                             ;   in Loop: Header=BB6_804 Depth=4
	s_andn2_saveexec_b64 s[28:29], s[28:29]
; %bb.1086:                             ;   in Loop: Header=BB6_804 Depth=4
	v_bfe_u32 v3, v16, 23, 1
; %bb.1087:                             ;   in Loop: Header=BB6_804 Depth=4
	s_or_b64 exec, exec, s[28:29]
	v_lshrrev_b64 v[16:17], 20, v[16:17]
	v_cmp_gt_i32_e32 vcc, 16, v3
	v_cndmask_b32_e32 v17, 0, v17, vcc
	v_cndmask_b32_e32 v16, 7, v16, vcc
	v_cmp_eq_u32_e32 vcc, 0, v3
	v_min_i32_e32 v3, 15, v3
	v_cmp_eq_u64_e64 s[28:29], 0, v[16:17]
	v_lshlrev_b32_e32 v3, 3, v3
	v_and_or_b32 v3, v16, 7, v3
	s_and_b64 s[28:29], vcc, s[28:29]
	v_cndmask_b32_e64 v3, v3, 0, s[28:29]
	v_or_b32_e32 v25, v3, v1
.LBB6_1088:                             ;   in Loop: Header=BB6_804 Depth=4
	s_or_b64 exec, exec, s[68:69]
.LBB6_1089:                             ;   in Loop: Header=BB6_804 Depth=4
	s_or_b64 exec, exec, s[66:67]
                                        ; implicit-def: $vgpr3
.LBB6_1090:                             ;   in Loop: Header=BB6_804 Depth=4
	s_andn2_saveexec_b64 s[28:29], s[64:65]
; %bb.1091:                             ;   in Loop: Header=BB6_804 Depth=4
	v_or_b32_sdwa v1, v3, s92 dst_sel:DWORD dst_unused:UNUSED_PAD src0_sel:BYTE_3 src1_sel:DWORD
	v_cmp_eq_u64_e32 vcc, 0, v[26:27]
	v_cndmask_b32_e32 v25, v1, v25, vcc
; %bb.1092:                             ;   in Loop: Header=BB6_804 Depth=4
	s_or_b64 exec, exec, s[28:29]
	v_mov_b32_e32 v26, v23
	v_cmp_ne_u16_sdwa vcc, v23, v27 src0_sel:BYTE_0 src1_sel:DWORD
	v_mov_b32_e32 v3, 0
	v_mov_b32_e32 v1, 0
	s_and_saveexec_b64 s[28:29], vcc
	s_cbranch_execz .LBB6_1098
; %bb.1093:                             ;   in Loop: Header=BB6_804 Depth=4
	v_cmp_ne_u16_sdwa vcc, v23, s91 src0_sel:BYTE_0 src1_sel:DWORD
	v_bfrev_b32_e32 v1, 1
	s_and_saveexec_b64 s[64:65], vcc
	s_cbranch_execz .LBB6_1097
; %bb.1094:                             ;   in Loop: Header=BB6_804 Depth=4
	v_and_b32_e32 v16, 0x7f, v23
	v_cmp_ne_u32_e32 vcc, s92, v16
	v_mov_b32_e32 v1, 0x7f800001
	s_and_saveexec_b64 s[66:67], vcc
	s_cbranch_execz .LBB6_1096
; %bb.1095:                             ;   in Loop: Header=BB6_804 Depth=4
	v_and_b32_e32 v1, 7, v23
	v_ffbh_u32_e32 v1, v1
	v_min_u32_e32 v1, 32, v1
	v_subrev_u32_e32 v20, 28, v1
	v_cmp_gt_u32_e32 vcc, 8, v16
	v_lshrrev_b32_e32 v17, 3, v16
	v_sub_u32_e32 v1, 29, v1
	v_cndmask_b32_e32 v16, 0, v20, vcc
	v_cndmask_b32_e32 v1, v17, v1, vcc
	v_lshlrev_b64 v[16:17], v16, v[26:27]
	v_lshlrev_b32_e32 v16, 20, v16
	v_lshlrev_b32_e32 v17, 24, v26
	v_and_b32_e32 v16, 0x700000, v16
	v_and_b32_e32 v17, 0x80000000, v17
	v_lshl_add_u32 v1, v1, 23, v31
	v_or3_b32 v1, v17, v1, v16
.LBB6_1096:                             ;   in Loop: Header=BB6_804 Depth=4
	s_or_b64 exec, exec, s[66:67]
.LBB6_1097:                             ;   in Loop: Header=BB6_804 Depth=4
	s_or_b64 exec, exec, s[64:65]
.LBB6_1098:                             ;   in Loop: Header=BB6_804 Depth=4
	s_or_b64 exec, exec, s[28:29]
	v_cmp_ne_u16_sdwa vcc, v19, v27 src0_sel:BYTE_0 src1_sel:DWORD
	s_and_saveexec_b64 s[28:29], vcc
	s_cbranch_execz .LBB6_1104
; %bb.1099:                             ;   in Loop: Header=BB6_804 Depth=4
	v_cmp_ne_u16_sdwa vcc, v19, s91 src0_sel:BYTE_0 src1_sel:DWORD
	v_bfrev_b32_e32 v3, 1
	s_and_saveexec_b64 s[64:65], vcc
	s_cbranch_execz .LBB6_1103
; %bb.1100:                             ;   in Loop: Header=BB6_804 Depth=4
	v_and_b32_e32 v16, 0x7f, v19
	v_cmp_ne_u32_e32 vcc, s92, v16
	v_mov_b32_e32 v3, 0x7f800001
	s_and_saveexec_b64 s[66:67], vcc
	s_cbranch_execz .LBB6_1102
; %bb.1101:                             ;   in Loop: Header=BB6_804 Depth=4
	v_and_b32_e32 v3, 7, v19
	v_ffbh_u32_e32 v3, v3
	v_min_u32_e32 v3, 32, v3
	v_subrev_u32_e32 v20, 28, v3
	v_cmp_gt_u32_e32 vcc, 8, v16
	v_mov_b32_e32 v50, v19
	v_mov_b32_e32 v51, v27
	v_lshrrev_b32_e32 v17, 3, v16
	v_sub_u32_e32 v3, 29, v3
	v_cndmask_b32_e32 v16, 0, v20, vcc
	v_cndmask_b32_e32 v3, v17, v3, vcc
	v_lshlrev_b64 v[16:17], v16, v[50:51]
	v_lshlrev_b32_e32 v16, 20, v16
	v_lshlrev_b32_e32 v17, 24, v50
	v_and_b32_e32 v16, 0x700000, v16
	v_and_b32_e32 v17, 0x80000000, v17
	v_lshl_add_u32 v3, v3, 23, v31
	v_or3_b32 v3, v17, v3, v16
.LBB6_1102:                             ;   in Loop: Header=BB6_804 Depth=4
	s_or_b64 exec, exec, s[66:67]
.LBB6_1103:                             ;   in Loop: Header=BB6_804 Depth=4
	s_or_b64 exec, exec, s[64:65]
.LBB6_1104:                             ;   in Loop: Header=BB6_804 Depth=4
	s_or_b64 exec, exec, s[28:29]
	v_add_f32_e32 v3, v1, v3
	v_and_b32_sdwa v1, v3, s91 dst_sel:DWORD dst_unused:UNUSED_PAD src0_sel:BYTE_3 src1_sel:DWORD
	v_and_b32_e32 v50, 0x7f800000, v3
	v_mov_b32_e32 v51, v27
	v_and_b32_e32 v16, 0x7fffff, v3
	v_mov_b32_e32 v17, v27
	v_or_b32_e32 v46, 0x7e, v1
	v_cmp_ne_u64_e32 vcc, s[52:53], v[50:51]
	s_and_saveexec_b64 s[28:29], vcc
	s_xor_b64 s[64:65], exec, s[28:29]
	s_cbranch_execz .LBB6_1114
; %bb.1105:                             ;   in Loop: Header=BB6_804 Depth=4
	v_and_b32_e32 v50, 0x7fffffff, v3
	v_mov_b32_e32 v51, v27
	v_cmp_gt_u64_e32 vcc, s[54:55], v[50:51]
	s_and_saveexec_b64 s[66:67], vcc
	s_cbranch_execz .LBB6_1113
; %bb.1106:                             ;   in Loop: Header=BB6_804 Depth=4
	v_cmp_ne_u32_e32 vcc, 0, v3
	v_mov_b32_e32 v46, 0
	s_and_saveexec_b64 s[68:69], vcc
	s_cbranch_execz .LBB6_1112
; %bb.1107:                             ;   in Loop: Header=BB6_804 Depth=4
	v_bfe_u32 v3, v3, 23, 8
	v_sub_u32_e32 v29, 0x79, v3
	v_cmp_gt_u32_e32 vcc, s93, v3
	v_add_u32_e32 v20, 0xffffff81, v3
	v_cndmask_b32_e32 v29, 0, v29, vcc
	v_cmp_eq_u32_e32 vcc, 0, v3
	v_mov_b32_e32 v0, 0xffffff82
	v_cndmask_b32_e32 v3, v20, v0, vcc
	v_mov_b32_e32 v0, 0x78
	v_cndmask_b32_e32 v20, v29, v0, vcc
	v_add_u32_e32 v29, 20, v20
	v_or_b32_e32 v32, 0x800000, v16
	v_lshlrev_b64 v[50:51], v29, -1
	v_cndmask_b32_e32 v16, v32, v16, vcc
	v_not_b32_e32 v29, v51
	v_not_b32_e32 v32, v50
	v_and_b32_e32 v51, 0, v29
	v_and_b32_e32 v50, v16, v32
	v_add_u32_e32 v29, 19, v20
	v_lshrrev_b64 v[16:17], v20, v[16:17]
	v_lshlrev_b64 v[42:43], v29, 1
	v_lshrrev_b32_e32 v29, 23, v16
	v_add3_u32 v29, v20, v3, v29
	v_bfe_u32 v3, v16, 20, 1
	v_add_u32_e32 v3, -1, v3
	v_cmp_eq_u64_e32 vcc, v[50:51], v[42:43]
	v_cndmask_b32_e32 v3, 0, v3, vcc
	v_add_u32_e32 v3, v3, v16
	v_and_b32_e32 v3, 0xfffff, v3
	v_add_co_u32_e32 v16, vcc, v3, v16
	v_add_u32_e32 v20, 6, v29
	v_addc_co_u32_e32 v17, vcc, 0, v17, vcc
	v_cmp_ne_u32_e32 vcc, 0, v20
                                        ; implicit-def: $vgpr3
	s_and_saveexec_b64 s[28:29], vcc
	s_xor_b64 s[28:29], exec, s[28:29]
; %bb.1108:                             ;   in Loop: Header=BB6_804 Depth=4
	v_add_u32_e32 v3, 7, v29
	v_cmp_lt_u64_e32 vcc, s[56:57], v[16:17]
	v_cndmask_b32_e32 v3, v20, v3, vcc
	v_cndmask_b32_e64 v20, 0, 1, vcc
	v_lshrrev_b64 v[16:17], v20, v[16:17]
; %bb.1109:                             ;   in Loop: Header=BB6_804 Depth=4
	s_andn2_saveexec_b64 s[28:29], s[28:29]
; %bb.1110:                             ;   in Loop: Header=BB6_804 Depth=4
	v_bfe_u32 v3, v16, 23, 1
; %bb.1111:                             ;   in Loop: Header=BB6_804 Depth=4
	s_or_b64 exec, exec, s[28:29]
	v_lshrrev_b64 v[16:17], 20, v[16:17]
	v_cmp_gt_i32_e32 vcc, 16, v3
	v_cndmask_b32_e32 v17, 0, v17, vcc
	v_cndmask_b32_e32 v16, 7, v16, vcc
	v_cmp_eq_u32_e32 vcc, 0, v3
	v_min_i32_e32 v3, 15, v3
	v_cmp_eq_u64_e64 s[28:29], 0, v[16:17]
	v_lshlrev_b32_e32 v3, 3, v3
	v_and_or_b32 v3, v16, 7, v3
	s_and_b64 s[28:29], vcc, s[28:29]
	v_cndmask_b32_e64 v3, v3, 0, s[28:29]
	v_or_b32_e32 v46, v3, v1
.LBB6_1112:                             ;   in Loop: Header=BB6_804 Depth=4
	s_or_b64 exec, exec, s[68:69]
.LBB6_1113:                             ;   in Loop: Header=BB6_804 Depth=4
	s_or_b64 exec, exec, s[66:67]
                                        ; implicit-def: $vgpr3
                                        ; implicit-def: $vgpr16_vgpr17
.LBB6_1114:                             ;   in Loop: Header=BB6_804 Depth=4
	s_andn2_saveexec_b64 s[28:29], s[64:65]
; %bb.1115:                             ;   in Loop: Header=BB6_804 Depth=4
	v_or_b32_sdwa v1, v3, s92 dst_sel:DWORD dst_unused:UNUSED_PAD src0_sel:BYTE_3 src1_sel:DWORD
	v_cmp_eq_u64_e32 vcc, 0, v[16:17]
	v_cndmask_b32_e32 v46, v1, v46, vcc
; %bb.1116:                             ;   in Loop: Header=BB6_804 Depth=4
	s_or_b64 exec, exec, s[28:29]
	v_lshrrev_b16_e32 v16, 8, v26
	v_cmp_ne_u16_e32 vcc, 0, v16
	v_mov_b32_e32 v1, 0
	v_mov_b32_e32 v3, 0
	s_and_saveexec_b64 s[28:29], vcc
	s_cbranch_execz .LBB6_1122
; %bb.1117:                             ;   in Loop: Header=BB6_804 Depth=4
	v_cmp_ne_u16_e32 vcc, s91, v16
	v_bfrev_b32_e32 v3, 1
	s_and_saveexec_b64 s[64:65], vcc
	s_cbranch_execz .LBB6_1121
; %bb.1118:                             ;   in Loop: Header=BB6_804 Depth=4
	v_and_b32_e32 v17, 0x7f, v16
	v_cmp_ne_u32_e32 vcc, s92, v17
	v_mov_b32_e32 v3, 0x7f800001
	s_and_saveexec_b64 s[66:67], vcc
	s_cbranch_execz .LBB6_1120
; %bb.1119:                             ;   in Loop: Header=BB6_804 Depth=4
	v_and_b32_e32 v3, 7, v16
	v_ffbh_u32_e32 v29, v3
	v_min_u32_e32 v29, 32, v29
	v_subrev_u32_e32 v32, 28, v29
	v_lshlrev_b64 v[50:51], v32, v[16:17]
	v_lshrrev_b32_e32 v20, 3, v17
	v_sub_u32_e32 v16, 29, v29
	v_and_b32_e32 v29, 7, v50
	v_cmp_gt_u32_e32 vcc, 8, v17
	v_cndmask_b32_e32 v16, v20, v16, vcc
	v_cndmask_b32_e32 v3, v3, v29, vcc
	v_lshlrev_b32_e32 v17, 16, v26
	v_lshlrev_b32_e32 v3, 20, v3
	v_and_b32_e32 v17, 0x80000000, v17
	v_lshl_add_u32 v16, v16, 23, v31
	v_or3_b32 v3, v17, v16, v3
.LBB6_1120:                             ;   in Loop: Header=BB6_804 Depth=4
	s_or_b64 exec, exec, s[66:67]
.LBB6_1121:                             ;   in Loop: Header=BB6_804 Depth=4
	s_or_b64 exec, exec, s[64:65]
.LBB6_1122:                             ;   in Loop: Header=BB6_804 Depth=4
	s_or_b64 exec, exec, s[28:29]
	v_mov_b32_e32 v16, v19
	v_lshrrev_b16_e32 v20, 8, v16
	v_cmp_ne_u16_e32 vcc, 0, v20
	s_and_saveexec_b64 s[28:29], vcc
	s_cbranch_execz .LBB6_1128
; %bb.1123:                             ;   in Loop: Header=BB6_804 Depth=4
	v_cmp_ne_u16_e32 vcc, s91, v20
	v_bfrev_b32_e32 v1, 1
	s_and_saveexec_b64 s[64:65], vcc
	s_cbranch_execz .LBB6_1127
; %bb.1124:                             ;   in Loop: Header=BB6_804 Depth=4
	v_and_b32_e32 v17, 0x7f, v20
	v_cmp_ne_u32_e32 vcc, s92, v17
	v_mov_b32_e32 v1, 0x7f800001
	s_and_saveexec_b64 s[66:67], vcc
	s_cbranch_execz .LBB6_1126
; %bb.1125:                             ;   in Loop: Header=BB6_804 Depth=4
	v_and_b32_e32 v1, 7, v20
	v_ffbh_u32_e32 v29, v1
	v_min_u32_e32 v29, 32, v29
	v_subrev_u32_e32 v32, 28, v29
	v_lshlrev_b64 v[50:51], v32, v[20:21]
	v_lshrrev_b32_e32 v26, 3, v17
	v_sub_u32_e32 v20, 29, v29
	v_and_b32_e32 v29, 7, v50
	v_cmp_gt_u32_e32 vcc, 8, v17
	v_cndmask_b32_e32 v17, v26, v20, vcc
	v_cndmask_b32_e32 v1, v1, v29, vcc
	v_lshlrev_b32_e32 v16, 16, v16
	v_lshlrev_b32_e32 v1, 20, v1
	v_and_b32_e32 v16, 0x80000000, v16
	v_lshl_add_u32 v17, v17, 23, v31
	v_or3_b32 v1, v16, v17, v1
.LBB6_1126:                             ;   in Loop: Header=BB6_804 Depth=4
	s_or_b64 exec, exec, s[66:67]
.LBB6_1127:                             ;   in Loop: Header=BB6_804 Depth=4
	s_or_b64 exec, exec, s[64:65]
.LBB6_1128:                             ;   in Loop: Header=BB6_804 Depth=4
	s_or_b64 exec, exec, s[28:29]
	v_add_f32_e32 v3, v3, v1
	v_and_b32_sdwa v1, v3, s91 dst_sel:DWORD dst_unused:UNUSED_PAD src0_sel:BYTE_3 src1_sel:DWORD
	v_and_b32_e32 v16, 0x7f800000, v3
	v_mov_b32_e32 v17, v27
	v_and_b32_e32 v26, 0x7fffff, v3
	v_or_b32_e32 v20, 0x7e, v1
	v_cmp_ne_u64_e32 vcc, s[52:53], v[16:17]
	s_and_saveexec_b64 s[28:29], vcc
	s_xor_b64 s[64:65], exec, s[28:29]
	s_cbranch_execz .LBB6_1138
; %bb.1129:                             ;   in Loop: Header=BB6_804 Depth=4
	v_and_b32_e32 v16, 0x7fffffff, v3
	v_mov_b32_e32 v17, v27
	v_cmp_gt_u64_e32 vcc, s[54:55], v[16:17]
	s_and_saveexec_b64 s[66:67], vcc
	s_cbranch_execz .LBB6_1137
; %bb.1130:                             ;   in Loop: Header=BB6_804 Depth=4
	v_cmp_ne_u32_e32 vcc, 0, v3
	v_mov_b32_e32 v20, 0
	s_and_saveexec_b64 s[68:69], vcc
	s_cbranch_execz .LBB6_1136
; %bb.1131:                             ;   in Loop: Header=BB6_804 Depth=4
	v_bfe_u32 v3, v3, 23, 8
	v_sub_u32_e32 v17, 0x79, v3
	v_cmp_gt_u32_e32 vcc, s93, v3
	v_add_u32_e32 v16, 0xffffff81, v3
	v_cndmask_b32_e32 v17, 0, v17, vcc
	v_cmp_eq_u32_e32 vcc, 0, v3
	v_mov_b32_e32 v0, 0xffffff82
	v_cndmask_b32_e32 v3, v16, v0, vcc
	v_mov_b32_e32 v0, 0x78
	v_or_b32_e32 v20, 0x800000, v26
	v_cndmask_b32_e32 v29, v17, v0, vcc
	v_cndmask_b32_e32 v26, v20, v26, vcc
	v_add_u32_e32 v16, 20, v29
	v_lshlrev_b64 v[16:17], v16, -1
	v_add_u32_e32 v20, 19, v29
	v_lshrrev_b64 v[42:43], v29, v[26:27]
	v_not_b32_e32 v17, v17
	v_not_b32_e32 v16, v16
	v_lshlrev_b64 v[50:51], v20, 1
	v_lshrrev_b32_e32 v20, 23, v42
	v_and_b32_e32 v17, 0, v17
	v_and_b32_e32 v16, v26, v16
	v_add3_u32 v26, v29, v3, v20
	v_bfe_u32 v3, v42, 20, 1
	v_add_u32_e32 v3, -1, v3
	v_cmp_eq_u64_e32 vcc, v[16:17], v[50:51]
	v_cndmask_b32_e32 v3, 0, v3, vcc
	v_add_u32_e32 v3, v3, v42
	v_and_b32_e32 v3, 0xfffff, v3
	v_add_co_u32_e32 v16, vcc, v3, v42
	v_add_u32_e32 v20, 6, v26
	v_addc_co_u32_e32 v17, vcc, 0, v43, vcc
	v_cmp_ne_u32_e32 vcc, 0, v20
                                        ; implicit-def: $vgpr3
	s_and_saveexec_b64 s[28:29], vcc
	s_xor_b64 s[28:29], exec, s[28:29]
; %bb.1132:                             ;   in Loop: Header=BB6_804 Depth=4
	v_add_u32_e32 v3, 7, v26
	v_cmp_lt_u64_e32 vcc, s[56:57], v[16:17]
	v_cndmask_b32_e32 v3, v20, v3, vcc
	v_cndmask_b32_e64 v20, 0, 1, vcc
	v_lshrrev_b64 v[16:17], v20, v[16:17]
; %bb.1133:                             ;   in Loop: Header=BB6_804 Depth=4
	s_andn2_saveexec_b64 s[28:29], s[28:29]
; %bb.1134:                             ;   in Loop: Header=BB6_804 Depth=4
	v_bfe_u32 v3, v16, 23, 1
; %bb.1135:                             ;   in Loop: Header=BB6_804 Depth=4
	s_or_b64 exec, exec, s[28:29]
	v_lshrrev_b64 v[16:17], 20, v[16:17]
	v_cmp_gt_i32_e32 vcc, 16, v3
	v_cndmask_b32_e32 v17, 0, v17, vcc
	v_cndmask_b32_e32 v16, 7, v16, vcc
	v_cmp_eq_u32_e32 vcc, 0, v3
	v_min_i32_e32 v3, 15, v3
	v_cmp_eq_u64_e64 s[28:29], 0, v[16:17]
	v_lshlrev_b32_e32 v3, 3, v3
	v_and_or_b32 v3, v16, 7, v3
	s_and_b64 s[28:29], vcc, s[28:29]
	v_cndmask_b32_e64 v3, v3, 0, s[28:29]
	v_or_b32_e32 v20, v3, v1
.LBB6_1136:                             ;   in Loop: Header=BB6_804 Depth=4
	s_or_b64 exec, exec, s[68:69]
.LBB6_1137:                             ;   in Loop: Header=BB6_804 Depth=4
	s_or_b64 exec, exec, s[66:67]
                                        ; implicit-def: $vgpr3
.LBB6_1138:                             ;   in Loop: Header=BB6_804 Depth=4
	s_andn2_saveexec_b64 s[28:29], s[64:65]
; %bb.1139:                             ;   in Loop: Header=BB6_804 Depth=4
	v_or_b32_sdwa v1, v3, s92 dst_sel:DWORD dst_unused:UNUSED_PAD src0_sel:BYTE_3 src1_sel:DWORD
	v_cmp_eq_u64_e32 vcc, 0, v[26:27]
	v_cndmask_b32_e32 v20, v1, v20, vcc
; %bb.1140:                             ;   in Loop: Header=BB6_804 Depth=4
	s_or_b64 exec, exec, s[28:29]
	v_lshrrev_b32_e32 v16, 16, v23
	v_cmp_ne_u16_sdwa vcc, v16, v27 src0_sel:BYTE_0 src1_sel:DWORD
	v_mov_b32_e32 v1, 0
	v_mov_b32_e32 v3, 0
	s_and_saveexec_b64 s[28:29], vcc
	s_cbranch_execz .LBB6_1146
; %bb.1141:                             ;   in Loop: Header=BB6_804 Depth=4
	v_cmp_ne_u16_sdwa vcc, v16, s91 src0_sel:BYTE_0 src1_sel:DWORD
	v_bfrev_b32_e32 v3, 1
	s_and_saveexec_b64 s[64:65], vcc
	s_cbranch_execz .LBB6_1145
; %bb.1142:                             ;   in Loop: Header=BB6_804 Depth=4
	v_bfe_u32 v17, v23, 16, 7
	v_cmp_ne_u32_e32 vcc, s92, v17
	v_mov_b32_e32 v3, 0x7f800001
	s_and_saveexec_b64 s[66:67], vcc
	s_cbranch_execz .LBB6_1144
; %bb.1143:                             ;   in Loop: Header=BB6_804 Depth=4
	v_and_b32_e32 v3, 7, v16
	v_ffbh_u32_e32 v29, v3
	v_min_u32_e32 v29, 32, v29
	v_subrev_u32_e32 v32, 28, v29
	v_lshlrev_b64 v[50:51], v32, v[16:17]
	v_lshrrev_b32_e32 v26, 3, v17
	v_sub_u32_e32 v29, 29, v29
	v_and_b32_e32 v32, 7, v50
	v_cmp_gt_u32_e32 vcc, 8, v17
	v_cndmask_b32_e32 v17, v26, v29, vcc
	v_cndmask_b32_e32 v3, v3, v32, vcc
	v_lshlrev_b32_e32 v16, 24, v16
	v_lshlrev_b32_e32 v3, 20, v3
	v_and_b32_e32 v16, 0x80000000, v16
	v_lshl_add_u32 v17, v17, 23, v31
	v_or3_b32 v3, v16, v17, v3
.LBB6_1144:                             ;   in Loop: Header=BB6_804 Depth=4
	s_or_b64 exec, exec, s[66:67]
.LBB6_1145:                             ;   in Loop: Header=BB6_804 Depth=4
	s_or_b64 exec, exec, s[64:65]
.LBB6_1146:                             ;   in Loop: Header=BB6_804 Depth=4
	s_or_b64 exec, exec, s[28:29]
	v_lshrrev_b32_e32 v16, 16, v19
	v_cmp_ne_u16_sdwa vcc, v16, v27 src0_sel:BYTE_0 src1_sel:DWORD
	s_and_saveexec_b64 s[28:29], vcc
	s_cbranch_execz .LBB6_1152
; %bb.1147:                             ;   in Loop: Header=BB6_804 Depth=4
	v_cmp_ne_u16_sdwa vcc, v16, s91 src0_sel:BYTE_0 src1_sel:DWORD
	v_bfrev_b32_e32 v1, 1
	s_and_saveexec_b64 s[64:65], vcc
	s_cbranch_execz .LBB6_1151
; %bb.1148:                             ;   in Loop: Header=BB6_804 Depth=4
	v_bfe_u32 v17, v19, 16, 7
	v_cmp_ne_u32_e32 vcc, s92, v17
	v_mov_b32_e32 v1, 0x7f800001
	s_and_saveexec_b64 s[66:67], vcc
	s_cbranch_execz .LBB6_1150
; %bb.1149:                             ;   in Loop: Header=BB6_804 Depth=4
	v_and_b32_e32 v1, 7, v16
	v_ffbh_u32_e32 v29, v1
	v_min_u32_e32 v29, 32, v29
	v_subrev_u32_e32 v32, 28, v29
	v_lshlrev_b64 v[50:51], v32, v[16:17]
	v_lshrrev_b32_e32 v26, 3, v17
	v_sub_u32_e32 v16, 29, v29
	v_and_b32_e32 v29, 7, v50
	v_cmp_gt_u32_e32 vcc, 8, v17
	v_cndmask_b32_e32 v16, v26, v16, vcc
	v_cndmask_b32_e32 v1, v1, v29, vcc
	v_lshlrev_b32_e32 v17, 8, v19
	v_lshlrev_b32_e32 v1, 20, v1
	v_and_b32_e32 v17, 0x80000000, v17
	v_lshl_add_u32 v16, v16, 23, v31
	v_or3_b32 v1, v17, v16, v1
.LBB6_1150:                             ;   in Loop: Header=BB6_804 Depth=4
	s_or_b64 exec, exec, s[66:67]
.LBB6_1151:                             ;   in Loop: Header=BB6_804 Depth=4
	s_or_b64 exec, exec, s[64:65]
.LBB6_1152:                             ;   in Loop: Header=BB6_804 Depth=4
	s_or_b64 exec, exec, s[28:29]
	v_add_f32_e32 v16, v3, v1
	v_and_b32_sdwa v3, v16, s91 dst_sel:DWORD dst_unused:UNUSED_PAD src0_sel:BYTE_3 src1_sel:DWORD
	v_and_b32_e32 v50, 0x7f800000, v16
	v_mov_b32_e32 v51, v27
	v_and_b32_e32 v26, 0x7fffff, v16
	v_or_b32_e32 v1, 0x7e, v3
	v_cmp_ne_u64_e32 vcc, s[52:53], v[50:51]
	s_and_saveexec_b64 s[28:29], vcc
	s_xor_b64 s[64:65], exec, s[28:29]
	s_cbranch_execz .LBB6_1162
; %bb.1153:                             ;   in Loop: Header=BB6_804 Depth=4
	v_and_b32_e32 v50, 0x7fffffff, v16
	v_mov_b32_e32 v51, v27
	v_cmp_gt_u64_e32 vcc, s[54:55], v[50:51]
	s_and_saveexec_b64 s[66:67], vcc
	s_cbranch_execz .LBB6_1161
; %bb.1154:                             ;   in Loop: Header=BB6_804 Depth=4
	v_cmp_ne_u32_e32 vcc, 0, v16
	v_mov_b32_e32 v1, 0
	s_and_saveexec_b64 s[68:69], vcc
	s_cbranch_execz .LBB6_1160
; %bb.1155:                             ;   in Loop: Header=BB6_804 Depth=4
	v_bfe_u32 v1, v16, 23, 8
	v_sub_u32_e32 v17, 0x79, v1
	v_cmp_gt_u32_e32 vcc, s93, v1
	v_add_u32_e32 v16, 0xffffff81, v1
	v_cndmask_b32_e32 v17, 0, v17, vcc
	v_cmp_eq_u32_e32 vcc, 0, v1
	v_mov_b32_e32 v0, 0xffffff82
	v_cndmask_b32_e32 v1, v16, v0, vcc
	v_mov_b32_e32 v0, 0x78
	v_cndmask_b32_e32 v32, v17, v0, vcc
	v_or_b32_e32 v29, 0x800000, v26
	v_add_u32_e32 v16, 20, v32
	v_cndmask_b32_e32 v26, v29, v26, vcc
	v_lshlrev_b64 v[16:17], v16, -1
	v_not_b32_e32 v16, v16
	v_lshrrev_b64 v[42:43], v32, v[26:27]
	v_not_b32_e32 v17, v17
	v_and_b32_e32 v16, v26, v16
	v_add_u32_e32 v29, 19, v32
	v_lshrrev_b32_e32 v26, 23, v42
	v_and_b32_e32 v17, 0, v17
	v_lshlrev_b64 v[50:51], v29, 1
	v_add3_u32 v29, v32, v1, v26
	v_bfe_u32 v1, v42, 20, 1
	v_add_u32_e32 v1, -1, v1
	v_cmp_eq_u64_e32 vcc, v[16:17], v[50:51]
	v_cndmask_b32_e32 v1, 0, v1, vcc
	v_add_u32_e32 v1, v1, v42
	v_and_b32_e32 v1, 0xfffff, v1
	v_add_co_u32_e32 v16, vcc, v1, v42
	v_add_u32_e32 v26, 6, v29
	v_addc_co_u32_e32 v17, vcc, 0, v43, vcc
	v_cmp_ne_u32_e32 vcc, 0, v26
                                        ; implicit-def: $vgpr1
	s_and_saveexec_b64 s[28:29], vcc
	s_xor_b64 s[28:29], exec, s[28:29]
; %bb.1156:                             ;   in Loop: Header=BB6_804 Depth=4
	v_add_u32_e32 v1, 7, v29
	v_cmp_lt_u64_e32 vcc, s[56:57], v[16:17]
	v_cndmask_b32_e32 v1, v26, v1, vcc
	v_cndmask_b32_e64 v26, 0, 1, vcc
	v_lshrrev_b64 v[16:17], v26, v[16:17]
; %bb.1157:                             ;   in Loop: Header=BB6_804 Depth=4
	s_andn2_saveexec_b64 s[28:29], s[28:29]
; %bb.1158:                             ;   in Loop: Header=BB6_804 Depth=4
	v_bfe_u32 v1, v16, 23, 1
; %bb.1159:                             ;   in Loop: Header=BB6_804 Depth=4
	s_or_b64 exec, exec, s[28:29]
	v_lshrrev_b64 v[16:17], 20, v[16:17]
	v_cmp_gt_i32_e32 vcc, 16, v1
	v_cndmask_b32_e32 v17, 0, v17, vcc
	v_cndmask_b32_e32 v16, 7, v16, vcc
	v_cmp_eq_u32_e32 vcc, 0, v1
	v_min_i32_e32 v1, 15, v1
	v_lshlrev_b32_e32 v1, 3, v1
	v_cmp_eq_u64_e64 s[28:29], 0, v[16:17]
	v_and_b32_e32 v1, 0xf8, v1
	v_and_or_b32 v1, v16, 7, v1
	s_and_b64 s[28:29], vcc, s[28:29]
	v_cndmask_b32_e64 v1, v1, 0, s[28:29]
	v_or_b32_e32 v1, v1, v3
.LBB6_1160:                             ;   in Loop: Header=BB6_804 Depth=4
	s_or_b64 exec, exec, s[68:69]
.LBB6_1161:                             ;   in Loop: Header=BB6_804 Depth=4
	s_or_b64 exec, exec, s[66:67]
                                        ; implicit-def: $vgpr16
.LBB6_1162:                             ;   in Loop: Header=BB6_804 Depth=4
	s_andn2_saveexec_b64 s[28:29], s[64:65]
; %bb.1163:                             ;   in Loop: Header=BB6_804 Depth=4
	v_or_b32_sdwa v3, v16, s92 dst_sel:DWORD dst_unused:UNUSED_PAD src0_sel:BYTE_3 src1_sel:DWORD
	v_cmp_eq_u64_e32 vcc, 0, v[26:27]
	v_cndmask_b32_e32 v1, v3, v1, vcc
; %bb.1164:                             ;   in Loop: Header=BB6_804 Depth=4
	s_or_b64 exec, exec, s[28:29]
	v_cmp_lt_u64_e32 vcc, s[42:43], v[22:23]
	v_mov_b32_e32 v3, 0
	v_mov_b32_e32 v17, 0
	s_and_saveexec_b64 s[28:29], vcc
	s_cbranch_execz .LBB6_1170
; %bb.1165:                             ;   in Loop: Header=BB6_804 Depth=4
	v_lshrrev_b32_e32 v16, 24, v23
	v_cmp_ne_u32_e32 vcc, s91, v16
	v_bfrev_b32_e32 v17, 1
	s_and_saveexec_b64 s[64:65], vcc
	s_cbranch_execz .LBB6_1169
; %bb.1166:                             ;   in Loop: Header=BB6_804 Depth=4
	v_bfe_u32 v22, v23, 24, 7
	v_cmp_ne_u32_e32 vcc, s92, v22
	v_mov_b32_e32 v17, 0x7f800001
	s_and_saveexec_b64 s[66:67], vcc
	s_cbranch_execz .LBB6_1168
; %bb.1167:                             ;   in Loop: Header=BB6_804 Depth=4
	v_and_b32_e32 v17, 7, v16
	v_ffbh_u32_e32 v26, v17
	v_min_u32_e32 v26, 32, v26
	v_subrev_u32_e32 v29, 28, v26
	v_lshlrev_b64 v[50:51], v29, v[16:17]
	v_lshrrev_b32_e32 v23, 3, v22
	v_sub_u32_e32 v26, 29, v26
	v_and_b32_e32 v29, 7, v50
	v_cmp_gt_u32_e32 vcc, 8, v22
	v_cndmask_b32_e32 v22, v23, v26, vcc
	v_cndmask_b32_e32 v17, v17, v29, vcc
	v_lshlrev_b32_e32 v16, 24, v16
	v_lshlrev_b32_e32 v17, 20, v17
	v_and_b32_e32 v16, 0x80000000, v16
	v_lshl_add_u32 v22, v22, 23, v31
	v_or3_b32 v17, v16, v22, v17
.LBB6_1168:                             ;   in Loop: Header=BB6_804 Depth=4
	s_or_b64 exec, exec, s[66:67]
.LBB6_1169:                             ;   in Loop: Header=BB6_804 Depth=4
	s_or_b64 exec, exec, s[64:65]
.LBB6_1170:                             ;   in Loop: Header=BB6_804 Depth=4
	s_or_b64 exec, exec, s[28:29]
	v_cmp_lt_u64_e32 vcc, s[42:43], v[18:19]
	s_and_saveexec_b64 s[28:29], vcc
	s_cbranch_execz .LBB6_1176
; %bb.1171:                             ;   in Loop: Header=BB6_804 Depth=4
	v_lshrrev_b32_e32 v16, 24, v19
	v_cmp_ne_u32_e32 vcc, s91, v16
	v_bfrev_b32_e32 v3, 1
	s_and_saveexec_b64 s[64:65], vcc
	s_cbranch_execz .LBB6_1175
; %bb.1172:                             ;   in Loop: Header=BB6_804 Depth=4
	v_bfe_u32 v18, v19, 24, 7
	v_cmp_ne_u32_e32 vcc, s92, v18
	v_mov_b32_e32 v3, 0x7f800001
	s_and_saveexec_b64 s[66:67], vcc
	s_cbranch_execz .LBB6_1174
; %bb.1173:                             ;   in Loop: Header=BB6_804 Depth=4
	v_and_b32_e32 v3, 7, v16
	v_ffbh_u32_e32 v22, v3
	v_min_u32_e32 v26, 32, v22
	v_subrev_u32_e32 v22, 28, v26
	v_lshlrev_b64 v[22:23], v22, v[16:17]
	v_lshrrev_b32_e32 v19, 3, v18
	v_sub_u32_e32 v23, 29, v26
	v_and_b32_e32 v22, 7, v22
	v_cmp_gt_u32_e32 vcc, 8, v18
	v_cndmask_b32_e32 v18, v19, v23, vcc
	v_cndmask_b32_e32 v3, v3, v22, vcc
	v_lshlrev_b32_e32 v16, 24, v16
	v_lshlrev_b32_e32 v3, 20, v3
	v_and_b32_e32 v16, 0x80000000, v16
	v_lshl_add_u32 v18, v18, 23, v31
	v_or3_b32 v3, v16, v18, v3
.LBB6_1174:                             ;   in Loop: Header=BB6_804 Depth=4
	s_or_b64 exec, exec, s[66:67]
.LBB6_1175:                             ;   in Loop: Header=BB6_804 Depth=4
	s_or_b64 exec, exec, s[64:65]
.LBB6_1176:                             ;   in Loop: Header=BB6_804 Depth=4
	s_or_b64 exec, exec, s[28:29]
	v_add_f32_e32 v16, v17, v3
	v_and_b32_sdwa v3, v16, s91 dst_sel:DWORD dst_unused:UNUSED_PAD src0_sel:BYTE_3 src1_sel:DWORD
	v_and_b32_e32 v22, 0x7f800000, v16
	v_mov_b32_e32 v23, v27
	v_and_b32_e32 v26, 0x7fffff, v16
	v_or_b32_e32 v19, 0x7e, v3
	v_cmp_ne_u64_e32 vcc, s[52:53], v[22:23]
	s_and_saveexec_b64 s[28:29], vcc
	s_xor_b64 s[64:65], exec, s[28:29]
	s_cbranch_execz .LBB6_1186
; %bb.1177:                             ;   in Loop: Header=BB6_804 Depth=4
	v_and_b32_e32 v22, 0x7fffffff, v16
	v_mov_b32_e32 v23, v27
	v_cmp_gt_u64_e32 vcc, s[54:55], v[22:23]
	s_and_saveexec_b64 s[66:67], vcc
	s_cbranch_execz .LBB6_1185
; %bb.1178:                             ;   in Loop: Header=BB6_804 Depth=4
	v_cmp_ne_u32_e32 vcc, 0, v16
	v_mov_b32_e32 v19, 0
	s_and_saveexec_b64 s[68:69], vcc
	s_cbranch_execz .LBB6_1184
; %bb.1179:                             ;   in Loop: Header=BB6_804 Depth=4
	v_bfe_u32 v16, v16, 23, 8
	v_sub_u32_e32 v18, 0x79, v16
	v_cmp_gt_u32_e32 vcc, s93, v16
	v_add_u32_e32 v17, 0xffffff81, v16
	v_cndmask_b32_e32 v18, 0, v18, vcc
	v_cmp_eq_u32_e32 vcc, 0, v16
	v_mov_b32_e32 v0, 0xffffff82
	v_cndmask_b32_e32 v22, v17, v0, vcc
	v_mov_b32_e32 v0, 0x78
	v_or_b32_e32 v19, 0x800000, v26
	v_cndmask_b32_e32 v18, v18, v0, vcc
	v_cndmask_b32_e32 v26, v19, v26, vcc
	v_add_u32_e32 v16, 20, v18
	v_lshlrev_b64 v[16:17], v16, -1
	v_add_u32_e32 v19, 19, v18
	v_lshrrev_b64 v[42:43], v18, v[26:27]
	v_not_b32_e32 v17, v17
	v_not_b32_e32 v16, v16
	v_lshlrev_b64 v[50:51], v19, 1
	v_lshrrev_b32_e32 v19, 23, v42
	v_and_b32_e32 v17, 0, v17
	v_and_b32_e32 v16, v26, v16
	v_add3_u32 v22, v18, v22, v19
	v_bfe_u32 v18, v42, 20, 1
	v_add_u32_e32 v18, -1, v18
	v_cmp_eq_u64_e32 vcc, v[16:17], v[50:51]
	v_cndmask_b32_e32 v16, 0, v18, vcc
	v_add_u32_e32 v16, v16, v42
	v_and_b32_e32 v16, 0xfffff, v16
	v_add_co_u32_e32 v16, vcc, v16, v42
	v_add_u32_e32 v19, 6, v22
	v_addc_co_u32_e32 v17, vcc, 0, v43, vcc
	v_cmp_ne_u32_e32 vcc, 0, v19
                                        ; implicit-def: $vgpr18
	s_and_saveexec_b64 s[28:29], vcc
	s_xor_b64 s[28:29], exec, s[28:29]
; %bb.1180:                             ;   in Loop: Header=BB6_804 Depth=4
	v_add_u32_e32 v18, 7, v22
	v_cmp_lt_u64_e32 vcc, s[56:57], v[16:17]
	v_cndmask_b32_e32 v18, v19, v18, vcc
	v_cndmask_b32_e64 v19, 0, 1, vcc
	v_lshrrev_b64 v[16:17], v19, v[16:17]
; %bb.1181:                             ;   in Loop: Header=BB6_804 Depth=4
	s_andn2_saveexec_b64 s[28:29], s[28:29]
; %bb.1182:                             ;   in Loop: Header=BB6_804 Depth=4
	v_bfe_u32 v18, v16, 23, 1
; %bb.1183:                             ;   in Loop: Header=BB6_804 Depth=4
	s_or_b64 exec, exec, s[28:29]
	v_lshrrev_b64 v[16:17], 20, v[16:17]
	v_cmp_gt_i32_e32 vcc, 16, v18
	v_cndmask_b32_e32 v17, 0, v17, vcc
	v_cndmask_b32_e32 v16, 7, v16, vcc
	v_cmp_eq_u64_e64 s[28:29], 0, v[16:17]
	v_min_i32_e32 v17, 15, v18
	v_lshlrev_b32_e32 v17, 3, v17
	v_cmp_eq_u32_e32 vcc, 0, v18
	v_and_b32_e32 v17, 0xf8, v17
	v_and_or_b32 v16, v16, 7, v17
	s_and_b64 s[28:29], vcc, s[28:29]
	v_cndmask_b32_e64 v16, v16, 0, s[28:29]
	v_or_b32_e32 v19, v16, v3
.LBB6_1184:                             ;   in Loop: Header=BB6_804 Depth=4
	s_or_b64 exec, exec, s[68:69]
.LBB6_1185:                             ;   in Loop: Header=BB6_804 Depth=4
	s_or_b64 exec, exec, s[66:67]
                                        ; implicit-def: $vgpr16
.LBB6_1186:                             ;   in Loop: Header=BB6_804 Depth=4
	s_andn2_saveexec_b64 s[28:29], s[64:65]
; %bb.1187:                             ;   in Loop: Header=BB6_804 Depth=4
	v_or_b32_sdwa v3, v16, s92 dst_sel:DWORD dst_unused:UNUSED_PAD src0_sel:BYTE_3 src1_sel:DWORD
	v_cmp_eq_u64_e32 vcc, 0, v[26:27]
	v_cndmask_b32_e32 v19, v3, v19, vcc
; %bb.1188:                             ;   in Loop: Header=BB6_804 Depth=4
	s_or_b64 exec, exec, s[28:29]
	v_cmp_ne_u16_sdwa vcc, v12, v27 src0_sel:BYTE_0 src1_sel:DWORD
	v_mov_b32_e32 v3, 0
	v_mov_b32_e32 v16, 0
	s_and_saveexec_b64 s[28:29], vcc
	s_cbranch_execz .LBB6_1194
; %bb.1189:                             ;   in Loop: Header=BB6_804 Depth=4
	v_cmp_ne_u16_sdwa vcc, v12, s91 src0_sel:BYTE_0 src1_sel:DWORD
	v_bfrev_b32_e32 v16, 1
	s_and_saveexec_b64 s[64:65], vcc
	s_cbranch_execz .LBB6_1193
; %bb.1190:                             ;   in Loop: Header=BB6_804 Depth=4
	v_and_b32_e32 v17, 0x7f, v12
	v_cmp_ne_u32_e32 vcc, s92, v17
	v_mov_b32_e32 v16, 0x7f800001
	s_and_saveexec_b64 s[66:67], vcc
	s_cbranch_execz .LBB6_1192
; %bb.1191:                             ;   in Loop: Header=BB6_804 Depth=4
	v_and_b32_e32 v16, 7, v12
	v_ffbh_u32_e32 v16, v16
	v_min_u32_e32 v16, 32, v16
	v_lshrrev_b32_e32 v18, 3, v17
	v_subrev_u32_e32 v22, 28, v16
	v_sub_u32_e32 v16, 29, v16
	v_cmp_gt_u32_e32 vcc, 8, v17
	v_cndmask_b32_e32 v18, v18, v16, vcc
	v_cndmask_b32_e32 v16, 0, v22, vcc
	v_lshlrev_b64 v[16:17], v16, v[12:13]
	v_lshlrev_b32_e32 v16, 20, v16
	v_lshlrev_b32_e32 v17, 24, v12
	v_and_b32_e32 v16, 0x700000, v16
	v_and_b32_e32 v17, 0x80000000, v17
	v_lshl_add_u32 v18, v18, 23, v31
	v_or3_b32 v16, v17, v18, v16
.LBB6_1192:                             ;   in Loop: Header=BB6_804 Depth=4
	s_or_b64 exec, exec, s[66:67]
.LBB6_1193:                             ;   in Loop: Header=BB6_804 Depth=4
	s_or_b64 exec, exec, s[64:65]
.LBB6_1194:                             ;   in Loop: Header=BB6_804 Depth=4
	s_or_b64 exec, exec, s[28:29]
	v_cmp_ne_u16_sdwa vcc, v8, v27 src0_sel:BYTE_0 src1_sel:DWORD
	s_and_saveexec_b64 s[28:29], vcc
	s_cbranch_execz .LBB6_1200
; %bb.1195:                             ;   in Loop: Header=BB6_804 Depth=4
	v_cmp_ne_u16_sdwa vcc, v8, s91 src0_sel:BYTE_0 src1_sel:DWORD
	v_bfrev_b32_e32 v3, 1
	s_and_saveexec_b64 s[64:65], vcc
	s_cbranch_execz .LBB6_1199
; %bb.1196:                             ;   in Loop: Header=BB6_804 Depth=4
	v_and_b32_e32 v17, 0x7f, v8
	v_cmp_ne_u32_e32 vcc, s92, v17
	v_mov_b32_e32 v3, 0x7f800001
	s_and_saveexec_b64 s[66:67], vcc
	s_cbranch_execz .LBB6_1198
; %bb.1197:                             ;   in Loop: Header=BB6_804 Depth=4
	v_and_b32_e32 v3, 7, v8
	v_ffbh_u32_e32 v3, v3
	v_min_u32_e32 v3, 32, v3
	v_subrev_u32_e32 v22, 28, v3
	v_cmp_gt_u32_e32 vcc, 8, v17
	v_lshrrev_b32_e32 v18, 3, v17
	v_cndmask_b32_e32 v17, 0, v22, vcc
	v_sub_u32_e32 v3, 29, v3
	v_lshlrev_b64 v[22:23], v17, v[8:9]
	v_cndmask_b32_e32 v3, v18, v3, vcc
	v_lshlrev_b32_e32 v17, 20, v22
	v_lshlrev_b32_e32 v18, 24, v8
	v_and_b32_e32 v17, 0x700000, v17
	v_and_b32_e32 v18, 0x80000000, v18
	v_lshl_add_u32 v3, v3, 23, v31
	v_or3_b32 v3, v18, v3, v17
.LBB6_1198:                             ;   in Loop: Header=BB6_804 Depth=4
	s_or_b64 exec, exec, s[66:67]
.LBB6_1199:                             ;   in Loop: Header=BB6_804 Depth=4
	s_or_b64 exec, exec, s[64:65]
.LBB6_1200:                             ;   in Loop: Header=BB6_804 Depth=4
	s_or_b64 exec, exec, s[28:29]
	v_add_f32_e32 v16, v16, v3
	v_and_b32_sdwa v3, v16, s91 dst_sel:DWORD dst_unused:UNUSED_PAD src0_sel:BYTE_3 src1_sel:DWORD
	v_and_b32_e32 v50, 0x7f800000, v16
	v_mov_b32_e32 v51, v27
	v_and_b32_e32 v26, 0x7fffff, v16
	v_or_b32_e32 v22, 0x7e, v3
	v_cmp_ne_u64_e32 vcc, s[52:53], v[50:51]
	s_and_saveexec_b64 s[28:29], vcc
	s_xor_b64 s[64:65], exec, s[28:29]
	s_cbranch_execz .LBB6_1210
; %bb.1201:                             ;   in Loop: Header=BB6_804 Depth=4
	v_and_b32_e32 v50, 0x7fffffff, v16
	v_mov_b32_e32 v51, v27
	v_cmp_gt_u64_e32 vcc, s[54:55], v[50:51]
	s_and_saveexec_b64 s[66:67], vcc
	s_cbranch_execz .LBB6_1209
; %bb.1202:                             ;   in Loop: Header=BB6_804 Depth=4
	v_cmp_ne_u32_e32 vcc, 0, v16
	v_mov_b32_e32 v22, 0
	s_and_saveexec_b64 s[68:69], vcc
	s_cbranch_execz .LBB6_1208
; %bb.1203:                             ;   in Loop: Header=BB6_804 Depth=4
	v_bfe_u32 v16, v16, 23, 8
	v_sub_u32_e32 v18, 0x79, v16
	v_cmp_gt_u32_e32 vcc, s93, v16
	v_add_u32_e32 v17, 0xffffff81, v16
	v_cndmask_b32_e32 v18, 0, v18, vcc
	v_cmp_eq_u32_e32 vcc, 0, v16
	v_mov_b32_e32 v0, 0xffffff82
	v_cndmask_b32_e32 v23, v17, v0, vcc
	v_mov_b32_e32 v0, 0x78
	v_or_b32_e32 v22, 0x800000, v26
	v_cndmask_b32_e32 v18, v18, v0, vcc
	v_cndmask_b32_e32 v26, v22, v26, vcc
	v_add_u32_e32 v16, 20, v18
	v_lshlrev_b64 v[16:17], v16, -1
	v_add_u32_e32 v22, 19, v18
	v_lshrrev_b64 v[42:43], v18, v[26:27]
	v_not_b32_e32 v17, v17
	v_not_b32_e32 v16, v16
	v_lshlrev_b64 v[50:51], v22, 1
	v_lshrrev_b32_e32 v22, 23, v42
	v_and_b32_e32 v17, 0, v17
	v_and_b32_e32 v16, v26, v16
	v_add3_u32 v23, v18, v23, v22
	v_bfe_u32 v18, v42, 20, 1
	v_add_u32_e32 v18, -1, v18
	v_cmp_eq_u64_e32 vcc, v[16:17], v[50:51]
	v_cndmask_b32_e32 v16, 0, v18, vcc
	v_add_u32_e32 v16, v16, v42
	v_and_b32_e32 v16, 0xfffff, v16
	v_add_co_u32_e32 v16, vcc, v16, v42
	v_add_u32_e32 v22, 6, v23
	v_addc_co_u32_e32 v17, vcc, 0, v43, vcc
	v_cmp_ne_u32_e32 vcc, 0, v22
                                        ; implicit-def: $vgpr18
	s_and_saveexec_b64 s[28:29], vcc
	s_xor_b64 s[28:29], exec, s[28:29]
; %bb.1204:                             ;   in Loop: Header=BB6_804 Depth=4
	v_add_u32_e32 v18, 7, v23
	v_cmp_lt_u64_e32 vcc, s[56:57], v[16:17]
	v_cndmask_b32_e32 v18, v22, v18, vcc
	v_cndmask_b32_e64 v22, 0, 1, vcc
	v_lshrrev_b64 v[16:17], v22, v[16:17]
; %bb.1205:                             ;   in Loop: Header=BB6_804 Depth=4
	s_andn2_saveexec_b64 s[28:29], s[28:29]
; %bb.1206:                             ;   in Loop: Header=BB6_804 Depth=4
	v_bfe_u32 v18, v16, 23, 1
; %bb.1207:                             ;   in Loop: Header=BB6_804 Depth=4
	s_or_b64 exec, exec, s[28:29]
	v_lshrrev_b64 v[16:17], 20, v[16:17]
	v_cmp_gt_i32_e32 vcc, 16, v18
	v_cndmask_b32_e32 v17, 0, v17, vcc
	v_cndmask_b32_e32 v16, 7, v16, vcc
	v_cmp_eq_u64_e64 s[28:29], 0, v[16:17]
	v_min_i32_e32 v17, 15, v18
	v_cmp_eq_u32_e32 vcc, 0, v18
	v_lshlrev_b32_e32 v17, 3, v17
	v_and_or_b32 v16, v16, 7, v17
	s_and_b64 s[28:29], vcc, s[28:29]
	v_cndmask_b32_e64 v16, v16, 0, s[28:29]
	v_or_b32_e32 v22, v16, v3
.LBB6_1208:                             ;   in Loop: Header=BB6_804 Depth=4
	s_or_b64 exec, exec, s[68:69]
.LBB6_1209:                             ;   in Loop: Header=BB6_804 Depth=4
	s_or_b64 exec, exec, s[66:67]
                                        ; implicit-def: $vgpr16
.LBB6_1210:                             ;   in Loop: Header=BB6_804 Depth=4
	s_andn2_saveexec_b64 s[28:29], s[64:65]
; %bb.1211:                             ;   in Loop: Header=BB6_804 Depth=4
	v_or_b32_sdwa v3, v16, s92 dst_sel:DWORD dst_unused:UNUSED_PAD src0_sel:BYTE_3 src1_sel:DWORD
	v_cmp_eq_u64_e32 vcc, 0, v[26:27]
	v_cndmask_b32_e32 v22, v3, v22, vcc
; %bb.1212:                             ;   in Loop: Header=BB6_804 Depth=4
	s_or_b64 exec, exec, s[28:29]
	v_lshrrev_b16_e32 v16, 8, v12
	v_cmp_ne_u16_e32 vcc, 0, v16
	v_mov_b32_e32 v3, 0
	v_mov_b32_e32 v17, 0
	s_and_saveexec_b64 s[28:29], vcc
	s_cbranch_execz .LBB6_1218
; %bb.1213:                             ;   in Loop: Header=BB6_804 Depth=4
	v_cmp_ne_u16_e32 vcc, s91, v16
	v_bfrev_b32_e32 v17, 1
	s_and_saveexec_b64 s[64:65], vcc
	s_cbranch_execz .LBB6_1217
; %bb.1214:                             ;   in Loop: Header=BB6_804 Depth=4
	v_and_b32_e32 v18, 0x7f, v16
	v_cmp_ne_u32_e32 vcc, s92, v18
	v_mov_b32_e32 v17, 0x7f800001
	s_and_saveexec_b64 s[66:67], vcc
	s_cbranch_execz .LBB6_1216
; %bb.1215:                             ;   in Loop: Header=BB6_804 Depth=4
	v_and_b32_e32 v23, 7, v16
	v_ffbh_u32_e32 v17, v23
	v_min_u32_e32 v29, 32, v17
	v_subrev_u32_e32 v17, 28, v29
	v_lshlrev_b64 v[16:17], v17, v[16:17]
	v_lshrrev_b32_e32 v26, 3, v18
	v_sub_u32_e32 v17, 29, v29
	v_and_b32_e32 v16, 7, v16
	v_cmp_gt_u32_e32 vcc, 8, v18
	v_cndmask_b32_e32 v17, v26, v17, vcc
	v_cndmask_b32_e32 v16, v23, v16, vcc
	v_lshlrev_b32_e32 v18, 16, v12
	v_lshlrev_b32_e32 v16, 20, v16
	v_and_b32_e32 v18, 0x80000000, v18
	v_lshl_add_u32 v17, v17, 23, v31
	v_or3_b32 v17, v18, v17, v16
.LBB6_1216:                             ;   in Loop: Header=BB6_804 Depth=4
	s_or_b64 exec, exec, s[66:67]
.LBB6_1217:                             ;   in Loop: Header=BB6_804 Depth=4
	s_or_b64 exec, exec, s[64:65]
.LBB6_1218:                             ;   in Loop: Header=BB6_804 Depth=4
	s_or_b64 exec, exec, s[28:29]
	v_lshrrev_b16_e32 v16, 8, v8
	v_cmp_ne_u16_e32 vcc, 0, v16
	s_and_saveexec_b64 s[28:29], vcc
	s_cbranch_execz .LBB6_1224
; %bb.1219:                             ;   in Loop: Header=BB6_804 Depth=4
	v_cmp_ne_u16_e32 vcc, s91, v16
	v_bfrev_b32_e32 v3, 1
	s_and_saveexec_b64 s[64:65], vcc
	s_cbranch_execz .LBB6_1223
; %bb.1220:                             ;   in Loop: Header=BB6_804 Depth=4
	v_and_b32_e32 v18, 0x7f, v16
	v_cmp_ne_u32_e32 vcc, s92, v18
	v_mov_b32_e32 v3, 0x7f800001
	s_and_saveexec_b64 s[66:67], vcc
	s_cbranch_execz .LBB6_1222
; %bb.1221:                             ;   in Loop: Header=BB6_804 Depth=4
	v_and_b32_e32 v3, 7, v16
	v_ffbh_u32_e32 v26, v3
	v_min_u32_e32 v26, 32, v26
	v_subrev_u32_e32 v29, 28, v26
	v_lshlrev_b64 v[50:51], v29, v[16:17]
	v_lshrrev_b32_e32 v23, 3, v18
	v_sub_u32_e32 v16, 29, v26
	v_and_b32_e32 v26, 7, v50
	v_cmp_gt_u32_e32 vcc, 8, v18
	v_cndmask_b32_e32 v16, v23, v16, vcc
	v_cndmask_b32_e32 v3, v3, v26, vcc
	v_lshlrev_b32_e32 v18, 16, v8
	v_lshlrev_b32_e32 v3, 20, v3
	v_and_b32_e32 v18, 0x80000000, v18
	v_lshl_add_u32 v16, v16, 23, v31
	v_or3_b32 v3, v18, v16, v3
.LBB6_1222:                             ;   in Loop: Header=BB6_804 Depth=4
	s_or_b64 exec, exec, s[66:67]
.LBB6_1223:                             ;   in Loop: Header=BB6_804 Depth=4
	s_or_b64 exec, exec, s[64:65]
.LBB6_1224:                             ;   in Loop: Header=BB6_804 Depth=4
	s_or_b64 exec, exec, s[28:29]
	v_add_f32_e32 v16, v17, v3
	v_and_b32_sdwa v3, v16, s91 dst_sel:DWORD dst_unused:UNUSED_PAD src0_sel:BYTE_3 src1_sel:DWORD
	v_and_b32_e32 v50, 0x7f800000, v16
	v_mov_b32_e32 v51, v27
	v_and_b32_e32 v26, 0x7fffff, v16
	v_or_b32_e32 v23, 0x7e, v3
	v_cmp_ne_u64_e32 vcc, s[52:53], v[50:51]
	s_and_saveexec_b64 s[28:29], vcc
	s_xor_b64 s[64:65], exec, s[28:29]
	s_cbranch_execz .LBB6_1234
; %bb.1225:                             ;   in Loop: Header=BB6_804 Depth=4
	v_and_b32_e32 v50, 0x7fffffff, v16
	v_mov_b32_e32 v51, v27
	v_cmp_gt_u64_e32 vcc, s[54:55], v[50:51]
	s_and_saveexec_b64 s[66:67], vcc
	s_cbranch_execz .LBB6_1233
; %bb.1226:                             ;   in Loop: Header=BB6_804 Depth=4
	v_cmp_ne_u32_e32 vcc, 0, v16
	v_mov_b32_e32 v23, 0
	s_and_saveexec_b64 s[68:69], vcc
	s_cbranch_execz .LBB6_1232
; %bb.1227:                             ;   in Loop: Header=BB6_804 Depth=4
	v_bfe_u32 v16, v16, 23, 8
	v_sub_u32_e32 v18, 0x79, v16
	v_cmp_gt_u32_e32 vcc, s93, v16
	v_add_u32_e32 v17, 0xffffff81, v16
	v_cndmask_b32_e32 v18, 0, v18, vcc
	v_cmp_eq_u32_e32 vcc, 0, v16
	v_mov_b32_e32 v0, 0xffffff82
	v_cndmask_b32_e32 v29, v17, v0, vcc
	v_mov_b32_e32 v0, 0x78
	v_or_b32_e32 v23, 0x800000, v26
	v_cndmask_b32_e32 v18, v18, v0, vcc
	v_cndmask_b32_e32 v26, v23, v26, vcc
	v_add_u32_e32 v16, 20, v18
	v_lshlrev_b64 v[16:17], v16, -1
	v_add_u32_e32 v23, 19, v18
	v_lshrrev_b64 v[42:43], v18, v[26:27]
	v_not_b32_e32 v17, v17
	v_not_b32_e32 v16, v16
	v_lshlrev_b64 v[50:51], v23, 1
	v_lshrrev_b32_e32 v23, 23, v42
	v_and_b32_e32 v17, 0, v17
	v_and_b32_e32 v16, v26, v16
	v_add3_u32 v26, v18, v29, v23
	v_bfe_u32 v18, v42, 20, 1
	v_add_u32_e32 v18, -1, v18
	v_cmp_eq_u64_e32 vcc, v[16:17], v[50:51]
	v_cndmask_b32_e32 v16, 0, v18, vcc
	v_add_u32_e32 v16, v16, v42
	v_and_b32_e32 v16, 0xfffff, v16
	v_add_co_u32_e32 v16, vcc, v16, v42
	v_add_u32_e32 v23, 6, v26
	v_addc_co_u32_e32 v17, vcc, 0, v43, vcc
	v_cmp_ne_u32_e32 vcc, 0, v23
                                        ; implicit-def: $vgpr18
	s_and_saveexec_b64 s[28:29], vcc
	s_xor_b64 s[28:29], exec, s[28:29]
; %bb.1228:                             ;   in Loop: Header=BB6_804 Depth=4
	v_add_u32_e32 v18, 7, v26
	v_cmp_lt_u64_e32 vcc, s[56:57], v[16:17]
	v_cndmask_b32_e32 v18, v23, v18, vcc
	v_cndmask_b32_e64 v23, 0, 1, vcc
	v_lshrrev_b64 v[16:17], v23, v[16:17]
; %bb.1229:                             ;   in Loop: Header=BB6_804 Depth=4
	s_andn2_saveexec_b64 s[28:29], s[28:29]
; %bb.1230:                             ;   in Loop: Header=BB6_804 Depth=4
	v_bfe_u32 v18, v16, 23, 1
; %bb.1231:                             ;   in Loop: Header=BB6_804 Depth=4
	s_or_b64 exec, exec, s[28:29]
	v_lshrrev_b64 v[16:17], 20, v[16:17]
	v_cmp_gt_i32_e32 vcc, 16, v18
	v_cndmask_b32_e32 v17, 0, v17, vcc
	v_cndmask_b32_e32 v16, 7, v16, vcc
	v_cmp_eq_u64_e64 s[28:29], 0, v[16:17]
	v_min_i32_e32 v17, 15, v18
	v_cmp_eq_u32_e32 vcc, 0, v18
	v_lshlrev_b32_e32 v17, 3, v17
	v_and_or_b32 v16, v16, 7, v17
	s_and_b64 s[28:29], vcc, s[28:29]
	v_cndmask_b32_e64 v16, v16, 0, s[28:29]
	v_or_b32_e32 v23, v16, v3
.LBB6_1232:                             ;   in Loop: Header=BB6_804 Depth=4
	s_or_b64 exec, exec, s[68:69]
.LBB6_1233:                             ;   in Loop: Header=BB6_804 Depth=4
	s_or_b64 exec, exec, s[66:67]
                                        ; implicit-def: $vgpr16
.LBB6_1234:                             ;   in Loop: Header=BB6_804 Depth=4
	s_andn2_saveexec_b64 s[28:29], s[64:65]
; %bb.1235:                             ;   in Loop: Header=BB6_804 Depth=4
	v_or_b32_sdwa v3, v16, s92 dst_sel:DWORD dst_unused:UNUSED_PAD src0_sel:BYTE_3 src1_sel:DWORD
	v_cmp_eq_u64_e32 vcc, 0, v[26:27]
	v_cndmask_b32_e32 v23, v3, v23, vcc
; %bb.1236:                             ;   in Loop: Header=BB6_804 Depth=4
	s_or_b64 exec, exec, s[28:29]
	v_lshrrev_b32_e32 v16, 16, v12
	v_cmp_ne_u16_sdwa vcc, v16, v27 src0_sel:BYTE_0 src1_sel:DWORD
	v_mov_b32_e32 v3, 0
	v_mov_b32_e32 v17, 0
	s_and_saveexec_b64 s[28:29], vcc
	s_cbranch_execz .LBB6_1242
; %bb.1237:                             ;   in Loop: Header=BB6_804 Depth=4
	v_cmp_ne_u16_sdwa vcc, v16, s91 src0_sel:BYTE_0 src1_sel:DWORD
	v_bfrev_b32_e32 v17, 1
	s_and_saveexec_b64 s[64:65], vcc
	s_cbranch_execz .LBB6_1241
; %bb.1238:                             ;   in Loop: Header=BB6_804 Depth=4
	v_bfe_u32 v18, v12, 16, 7
	v_cmp_ne_u32_e32 vcc, s92, v18
	v_mov_b32_e32 v17, 0x7f800001
	s_and_saveexec_b64 s[66:67], vcc
	s_cbranch_execz .LBB6_1240
; %bb.1239:                             ;   in Loop: Header=BB6_804 Depth=4
	v_and_b32_e32 v17, 7, v16
	v_ffbh_u32_e32 v29, v17
	v_min_u32_e32 v29, 32, v29
	v_subrev_u32_e32 v32, 28, v29
	v_lshlrev_b64 v[50:51], v32, v[16:17]
	v_lshrrev_b32_e32 v26, 3, v18
	v_sub_u32_e32 v29, 29, v29
	v_and_b32_e32 v32, 7, v50
	v_cmp_gt_u32_e32 vcc, 8, v18
	v_cndmask_b32_e32 v18, v26, v29, vcc
	v_cndmask_b32_e32 v17, v17, v32, vcc
	v_lshlrev_b32_e32 v16, 24, v16
	v_lshlrev_b32_e32 v17, 20, v17
	v_and_b32_e32 v16, 0x80000000, v16
	v_lshl_add_u32 v18, v18, 23, v31
	v_or3_b32 v17, v16, v18, v17
.LBB6_1240:                             ;   in Loop: Header=BB6_804 Depth=4
	s_or_b64 exec, exec, s[66:67]
.LBB6_1241:                             ;   in Loop: Header=BB6_804 Depth=4
	s_or_b64 exec, exec, s[64:65]
.LBB6_1242:                             ;   in Loop: Header=BB6_804 Depth=4
	s_or_b64 exec, exec, s[28:29]
	v_lshrrev_b32_e32 v16, 16, v8
	v_cmp_ne_u16_sdwa vcc, v16, v27 src0_sel:BYTE_0 src1_sel:DWORD
	s_and_saveexec_b64 s[28:29], vcc
	s_cbranch_execz .LBB6_1248
; %bb.1243:                             ;   in Loop: Header=BB6_804 Depth=4
	v_cmp_ne_u16_sdwa vcc, v16, s91 src0_sel:BYTE_0 src1_sel:DWORD
	v_bfrev_b32_e32 v3, 1
	s_and_saveexec_b64 s[64:65], vcc
	s_cbranch_execz .LBB6_1247
; %bb.1244:                             ;   in Loop: Header=BB6_804 Depth=4
	v_bfe_u32 v18, v8, 16, 7
	v_cmp_ne_u32_e32 vcc, s92, v18
	v_mov_b32_e32 v3, 0x7f800001
	s_and_saveexec_b64 s[66:67], vcc
	s_cbranch_execz .LBB6_1246
; %bb.1245:                             ;   in Loop: Header=BB6_804 Depth=4
	v_and_b32_e32 v3, 7, v16
	v_ffbh_u32_e32 v29, v3
	v_min_u32_e32 v29, 32, v29
	v_subrev_u32_e32 v32, 28, v29
	v_lshlrev_b64 v[50:51], v32, v[16:17]
	v_lshrrev_b32_e32 v26, 3, v18
	v_sub_u32_e32 v16, 29, v29
	v_and_b32_e32 v29, 7, v50
	v_cmp_gt_u32_e32 vcc, 8, v18
	v_cndmask_b32_e32 v16, v26, v16, vcc
	v_cndmask_b32_e32 v3, v3, v29, vcc
	v_lshlrev_b32_e32 v18, 8, v8
	v_lshlrev_b32_e32 v3, 20, v3
	v_and_b32_e32 v18, 0x80000000, v18
	v_lshl_add_u32 v16, v16, 23, v31
	v_or3_b32 v3, v18, v16, v3
.LBB6_1246:                             ;   in Loop: Header=BB6_804 Depth=4
	s_or_b64 exec, exec, s[66:67]
.LBB6_1247:                             ;   in Loop: Header=BB6_804 Depth=4
	s_or_b64 exec, exec, s[64:65]
.LBB6_1248:                             ;   in Loop: Header=BB6_804 Depth=4
	s_or_b64 exec, exec, s[28:29]
	v_add_f32_e32 v16, v17, v3
	v_and_b32_sdwa v3, v16, s91 dst_sel:DWORD dst_unused:UNUSED_PAD src0_sel:BYTE_3 src1_sel:DWORD
	v_and_b32_e32 v50, 0x7f800000, v16
	v_mov_b32_e32 v51, v27
	v_and_b32_e32 v26, 0x7fffff, v16
	v_or_b32_e32 v44, 0x7e, v3
	v_cmp_ne_u64_e32 vcc, s[52:53], v[50:51]
	s_and_saveexec_b64 s[28:29], vcc
	s_xor_b64 s[64:65], exec, s[28:29]
	s_cbranch_execz .LBB6_1258
; %bb.1249:                             ;   in Loop: Header=BB6_804 Depth=4
	v_and_b32_e32 v50, 0x7fffffff, v16
	v_mov_b32_e32 v51, v27
	v_cmp_gt_u64_e32 vcc, s[54:55], v[50:51]
	s_and_saveexec_b64 s[66:67], vcc
	s_cbranch_execz .LBB6_1257
; %bb.1250:                             ;   in Loop: Header=BB6_804 Depth=4
	v_cmp_ne_u32_e32 vcc, 0, v16
	v_mov_b32_e32 v44, 0
	s_and_saveexec_b64 s[68:69], vcc
	s_cbranch_execz .LBB6_1256
; %bb.1251:                             ;   in Loop: Header=BB6_804 Depth=4
	v_bfe_u32 v16, v16, 23, 8
	v_sub_u32_e32 v18, 0x79, v16
	v_cmp_gt_u32_e32 vcc, s93, v16
	v_add_u32_e32 v17, 0xffffff81, v16
	v_cndmask_b32_e32 v18, 0, v18, vcc
	v_cmp_eq_u32_e32 vcc, 0, v16
	v_mov_b32_e32 v0, 0xffffff82
	v_cndmask_b32_e32 v32, v17, v0, vcc
	v_mov_b32_e32 v0, 0x78
	v_cndmask_b32_e32 v18, v18, v0, vcc
	v_or_b32_e32 v29, 0x800000, v26
	v_add_u32_e32 v16, 20, v18
	v_cndmask_b32_e32 v26, v29, v26, vcc
	v_lshlrev_b64 v[16:17], v16, -1
	v_not_b32_e32 v16, v16
	v_lshrrev_b64 v[42:43], v18, v[26:27]
	v_not_b32_e32 v17, v17
	v_and_b32_e32 v16, v26, v16
	v_add_u32_e32 v29, 19, v18
	v_lshrrev_b32_e32 v26, 23, v42
	v_and_b32_e32 v17, 0, v17
	v_lshlrev_b64 v[50:51], v29, 1
	v_add3_u32 v29, v18, v32, v26
	v_bfe_u32 v18, v42, 20, 1
	v_add_u32_e32 v18, -1, v18
	v_cmp_eq_u64_e32 vcc, v[16:17], v[50:51]
	v_cndmask_b32_e32 v16, 0, v18, vcc
	v_add_u32_e32 v16, v16, v42
	v_and_b32_e32 v16, 0xfffff, v16
	v_add_co_u32_e32 v16, vcc, v16, v42
	v_add_u32_e32 v26, 6, v29
	v_addc_co_u32_e32 v17, vcc, 0, v43, vcc
	v_cmp_ne_u32_e32 vcc, 0, v26
                                        ; implicit-def: $vgpr18
	s_and_saveexec_b64 s[28:29], vcc
	s_xor_b64 s[28:29], exec, s[28:29]
; %bb.1252:                             ;   in Loop: Header=BB6_804 Depth=4
	v_add_u32_e32 v18, 7, v29
	v_cmp_lt_u64_e32 vcc, s[56:57], v[16:17]
	v_cndmask_b32_e32 v18, v26, v18, vcc
	v_cndmask_b32_e64 v26, 0, 1, vcc
	v_lshrrev_b64 v[16:17], v26, v[16:17]
; %bb.1253:                             ;   in Loop: Header=BB6_804 Depth=4
	s_andn2_saveexec_b64 s[28:29], s[28:29]
; %bb.1254:                             ;   in Loop: Header=BB6_804 Depth=4
	v_bfe_u32 v18, v16, 23, 1
; %bb.1255:                             ;   in Loop: Header=BB6_804 Depth=4
	s_or_b64 exec, exec, s[28:29]
	v_lshrrev_b64 v[16:17], 20, v[16:17]
	v_cmp_gt_i32_e32 vcc, 16, v18
	v_cndmask_b32_e32 v17, 0, v17, vcc
	v_cndmask_b32_e32 v16, 7, v16, vcc
	v_cmp_eq_u64_e64 s[28:29], 0, v[16:17]
	v_min_i32_e32 v17, 15, v18
	v_cmp_eq_u32_e32 vcc, 0, v18
	v_lshlrev_b32_e32 v17, 3, v17
	v_and_or_b32 v16, v16, 7, v17
	s_and_b64 s[28:29], vcc, s[28:29]
	v_cndmask_b32_e64 v16, v16, 0, s[28:29]
	v_or_b32_e32 v44, v16, v3
.LBB6_1256:                             ;   in Loop: Header=BB6_804 Depth=4
	s_or_b64 exec, exec, s[68:69]
.LBB6_1257:                             ;   in Loop: Header=BB6_804 Depth=4
	s_or_b64 exec, exec, s[66:67]
                                        ; implicit-def: $vgpr16
.LBB6_1258:                             ;   in Loop: Header=BB6_804 Depth=4
	s_andn2_saveexec_b64 s[28:29], s[64:65]
; %bb.1259:                             ;   in Loop: Header=BB6_804 Depth=4
	v_or_b32_sdwa v3, v16, s92 dst_sel:DWORD dst_unused:UNUSED_PAD src0_sel:BYTE_3 src1_sel:DWORD
	v_cmp_eq_u64_e32 vcc, 0, v[26:27]
	v_cndmask_b32_e32 v44, v3, v44, vcc
; %bb.1260:                             ;   in Loop: Header=BB6_804 Depth=4
	s_or_b64 exec, exec, s[28:29]
	v_cmp_lt_u32_e32 vcc, s43, v12
	v_mov_b32_e32 v3, 0
	v_mov_b32_e32 v17, 0
	s_and_saveexec_b64 s[28:29], vcc
	s_cbranch_execz .LBB6_1266
; %bb.1261:                             ;   in Loop: Header=BB6_804 Depth=4
	v_lshrrev_b32_e32 v16, 24, v12
	v_cmp_ne_u32_e32 vcc, s91, v16
	v_bfrev_b32_e32 v17, 1
	s_and_saveexec_b64 s[64:65], vcc
	s_cbranch_execz .LBB6_1265
; %bb.1262:                             ;   in Loop: Header=BB6_804 Depth=4
	v_bfe_u32 v18, v12, 24, 7
	v_cmp_ne_u32_e32 vcc, s92, v18
	v_mov_b32_e32 v17, 0x7f800001
	s_and_saveexec_b64 s[66:67], vcc
	s_cbranch_execz .LBB6_1264
; %bb.1263:                             ;   in Loop: Header=BB6_804 Depth=4
	v_and_b32_e32 v17, 7, v16
	v_ffbh_u32_e32 v29, v17
	v_min_u32_e32 v29, 32, v29
	v_subrev_u32_e32 v32, 28, v29
	v_lshlrev_b64 v[50:51], v32, v[16:17]
	v_lshrrev_b32_e32 v26, 3, v18
	v_sub_u32_e32 v29, 29, v29
	v_and_b32_e32 v32, 7, v50
	v_cmp_gt_u32_e32 vcc, 8, v18
	v_cndmask_b32_e32 v18, v26, v29, vcc
	v_cndmask_b32_e32 v17, v17, v32, vcc
	v_lshlrev_b32_e32 v16, 24, v16
	v_lshlrev_b32_e32 v17, 20, v17
	v_and_b32_e32 v16, 0x80000000, v16
	v_lshl_add_u32 v18, v18, 23, v31
	v_or3_b32 v17, v16, v18, v17
.LBB6_1264:                             ;   in Loop: Header=BB6_804 Depth=4
	s_or_b64 exec, exec, s[66:67]
.LBB6_1265:                             ;   in Loop: Header=BB6_804 Depth=4
	s_or_b64 exec, exec, s[64:65]
.LBB6_1266:                             ;   in Loop: Header=BB6_804 Depth=4
	s_or_b64 exec, exec, s[28:29]
	v_cmp_lt_u32_e32 vcc, s43, v8
	s_and_saveexec_b64 s[28:29], vcc
	s_cbranch_execz .LBB6_1272
; %bb.1267:                             ;   in Loop: Header=BB6_804 Depth=4
	v_lshrrev_b32_e32 v16, 24, v8
	v_cmp_ne_u32_e32 vcc, s91, v16
	v_bfrev_b32_e32 v3, 1
	s_and_saveexec_b64 s[64:65], vcc
	s_cbranch_execz .LBB6_1271
; %bb.1268:                             ;   in Loop: Header=BB6_804 Depth=4
	v_bfe_u32 v18, v8, 24, 7
	v_cmp_ne_u32_e32 vcc, s92, v18
	v_mov_b32_e32 v3, 0x7f800001
	s_and_saveexec_b64 s[66:67], vcc
	s_cbranch_execz .LBB6_1270
; %bb.1269:                             ;   in Loop: Header=BB6_804 Depth=4
	v_and_b32_e32 v3, 7, v16
	v_ffbh_u32_e32 v29, v3
	v_min_u32_e32 v29, 32, v29
	v_subrev_u32_e32 v32, 28, v29
	v_lshlrev_b64 v[50:51], v32, v[16:17]
	v_lshrrev_b32_e32 v26, 3, v18
	v_sub_u32_e32 v29, 29, v29
	v_and_b32_e32 v32, 7, v50
	v_cmp_gt_u32_e32 vcc, 8, v18
	v_cndmask_b32_e32 v18, v26, v29, vcc
	v_cndmask_b32_e32 v3, v3, v32, vcc
	v_lshlrev_b32_e32 v16, 24, v16
	v_lshlrev_b32_e32 v3, 20, v3
	v_and_b32_e32 v16, 0x80000000, v16
	v_lshl_add_u32 v18, v18, 23, v31
	v_or3_b32 v3, v16, v18, v3
.LBB6_1270:                             ;   in Loop: Header=BB6_804 Depth=4
	s_or_b64 exec, exec, s[66:67]
.LBB6_1271:                             ;   in Loop: Header=BB6_804 Depth=4
	s_or_b64 exec, exec, s[64:65]
.LBB6_1272:                             ;   in Loop: Header=BB6_804 Depth=4
	s_or_b64 exec, exec, s[28:29]
	v_add_f32_e32 v16, v17, v3
	v_and_b32_sdwa v3, v16, s91 dst_sel:DWORD dst_unused:UNUSED_PAD src0_sel:BYTE_3 src1_sel:DWORD
	v_and_b32_e32 v50, 0x7f800000, v16
	v_mov_b32_e32 v51, v27
	v_and_b32_e32 v26, 0x7fffff, v16
	v_or_b32_e32 v56, 0x7e, v3
	v_cmp_ne_u64_e32 vcc, s[52:53], v[50:51]
	s_and_saveexec_b64 s[28:29], vcc
	s_xor_b64 s[64:65], exec, s[28:29]
	s_cbranch_execz .LBB6_1282
; %bb.1273:                             ;   in Loop: Header=BB6_804 Depth=4
	v_and_b32_e32 v50, 0x7fffffff, v16
	v_mov_b32_e32 v51, v27
	v_cmp_gt_u64_e32 vcc, s[54:55], v[50:51]
	s_and_saveexec_b64 s[66:67], vcc
	s_cbranch_execz .LBB6_1281
; %bb.1274:                             ;   in Loop: Header=BB6_804 Depth=4
	v_cmp_ne_u32_e32 vcc, 0, v16
	v_mov_b32_e32 v56, 0
	s_and_saveexec_b64 s[68:69], vcc
	s_cbranch_execz .LBB6_1280
; %bb.1275:                             ;   in Loop: Header=BB6_804 Depth=4
	v_bfe_u32 v16, v16, 23, 8
	v_sub_u32_e32 v18, 0x79, v16
	v_cmp_gt_u32_e32 vcc, s93, v16
	v_add_u32_e32 v17, 0xffffff81, v16
	v_cndmask_b32_e32 v18, 0, v18, vcc
	v_cmp_eq_u32_e32 vcc, 0, v16
	v_mov_b32_e32 v0, 0xffffff82
	v_cndmask_b32_e32 v32, v17, v0, vcc
	v_mov_b32_e32 v0, 0x78
	v_cndmask_b32_e32 v18, v18, v0, vcc
	v_or_b32_e32 v29, 0x800000, v26
	v_add_u32_e32 v16, 20, v18
	v_cndmask_b32_e32 v26, v29, v26, vcc
	v_lshlrev_b64 v[16:17], v16, -1
	v_not_b32_e32 v16, v16
	v_lshrrev_b64 v[42:43], v18, v[26:27]
	v_not_b32_e32 v17, v17
	v_and_b32_e32 v16, v26, v16
	v_add_u32_e32 v29, 19, v18
	v_lshrrev_b32_e32 v26, 23, v42
	v_and_b32_e32 v17, 0, v17
	v_lshlrev_b64 v[50:51], v29, 1
	v_add3_u32 v29, v18, v32, v26
	v_bfe_u32 v18, v42, 20, 1
	v_add_u32_e32 v18, -1, v18
	v_cmp_eq_u64_e32 vcc, v[16:17], v[50:51]
	v_cndmask_b32_e32 v16, 0, v18, vcc
	v_add_u32_e32 v16, v16, v42
	v_and_b32_e32 v16, 0xfffff, v16
	v_add_co_u32_e32 v16, vcc, v16, v42
	v_add_u32_e32 v26, 6, v29
	v_addc_co_u32_e32 v17, vcc, 0, v43, vcc
	v_cmp_ne_u32_e32 vcc, 0, v26
                                        ; implicit-def: $vgpr18
	s_and_saveexec_b64 s[28:29], vcc
	s_xor_b64 s[28:29], exec, s[28:29]
; %bb.1276:                             ;   in Loop: Header=BB6_804 Depth=4
	v_add_u32_e32 v18, 7, v29
	v_cmp_lt_u64_e32 vcc, s[56:57], v[16:17]
	v_cndmask_b32_e32 v18, v26, v18, vcc
	v_cndmask_b32_e64 v26, 0, 1, vcc
	v_lshrrev_b64 v[16:17], v26, v[16:17]
; %bb.1277:                             ;   in Loop: Header=BB6_804 Depth=4
	s_andn2_saveexec_b64 s[28:29], s[28:29]
; %bb.1278:                             ;   in Loop: Header=BB6_804 Depth=4
	v_bfe_u32 v18, v16, 23, 1
; %bb.1279:                             ;   in Loop: Header=BB6_804 Depth=4
	s_or_b64 exec, exec, s[28:29]
	v_lshrrev_b64 v[16:17], 20, v[16:17]
	v_cmp_gt_i32_e32 vcc, 16, v18
	v_cndmask_b32_e32 v17, 0, v17, vcc
	v_cndmask_b32_e32 v16, 7, v16, vcc
	v_cmp_eq_u64_e64 s[28:29], 0, v[16:17]
	v_min_i32_e32 v17, 15, v18
	v_cmp_eq_u32_e32 vcc, 0, v18
	v_lshlrev_b32_e32 v17, 3, v17
	v_and_or_b32 v16, v16, 7, v17
	s_and_b64 s[28:29], vcc, s[28:29]
	v_cndmask_b32_e64 v16, v16, 0, s[28:29]
	v_or_b32_e32 v56, v16, v3
.LBB6_1280:                             ;   in Loop: Header=BB6_804 Depth=4
	s_or_b64 exec, exec, s[68:69]
.LBB6_1281:                             ;   in Loop: Header=BB6_804 Depth=4
	s_or_b64 exec, exec, s[66:67]
                                        ; implicit-def: $vgpr16
.LBB6_1282:                             ;   in Loop: Header=BB6_804 Depth=4
	s_andn2_saveexec_b64 s[28:29], s[64:65]
; %bb.1283:                             ;   in Loop: Header=BB6_804 Depth=4
	v_or_b32_sdwa v3, v16, s92 dst_sel:DWORD dst_unused:UNUSED_PAD src0_sel:BYTE_3 src1_sel:DWORD
	v_cmp_eq_u64_e32 vcc, 0, v[26:27]
	v_cndmask_b32_e32 v56, v3, v56, vcc
; %bb.1284:                             ;   in Loop: Header=BB6_804 Depth=4
	s_or_b64 exec, exec, s[28:29]
	v_mov_b32_e32 v26, v13
	v_cmp_ne_u16_sdwa vcc, v13, v27 src0_sel:BYTE_0 src1_sel:DWORD
	v_mov_b32_e32 v16, 0
	v_mov_b32_e32 v3, 0
	s_and_saveexec_b64 s[28:29], vcc
	s_cbranch_execz .LBB6_1290
; %bb.1285:                             ;   in Loop: Header=BB6_804 Depth=4
	v_cmp_ne_u16_sdwa vcc, v13, s91 src0_sel:BYTE_0 src1_sel:DWORD
	v_bfrev_b32_e32 v3, 1
	s_and_saveexec_b64 s[64:65], vcc
	s_cbranch_execz .LBB6_1289
; %bb.1286:                             ;   in Loop: Header=BB6_804 Depth=4
	v_and_b32_e32 v17, 0x7f, v13
	v_cmp_ne_u32_e32 vcc, s92, v17
	v_mov_b32_e32 v3, 0x7f800001
	s_and_saveexec_b64 s[66:67], vcc
	s_cbranch_execz .LBB6_1288
; %bb.1287:                             ;   in Loop: Header=BB6_804 Depth=4
	v_and_b32_e32 v3, 7, v13
	v_ffbh_u32_e32 v3, v3
	v_min_u32_e32 v3, 32, v3
	v_subrev_u32_e32 v29, 28, v3
	v_cmp_gt_u32_e32 vcc, 8, v17
	v_lshrrev_b32_e32 v18, 3, v17
	v_cndmask_b32_e32 v17, 0, v29, vcc
	v_sub_u32_e32 v3, 29, v3
	v_lshlrev_b64 v[50:51], v17, v[26:27]
	v_cndmask_b32_e32 v3, v18, v3, vcc
	v_lshlrev_b32_e32 v17, 20, v50
	v_lshlrev_b32_e32 v18, 24, v26
	v_and_b32_e32 v17, 0x700000, v17
	v_and_b32_e32 v18, 0x80000000, v18
	v_lshl_add_u32 v3, v3, 23, v31
	v_or3_b32 v3, v18, v3, v17
.LBB6_1288:                             ;   in Loop: Header=BB6_804 Depth=4
	s_or_b64 exec, exec, s[66:67]
.LBB6_1289:                             ;   in Loop: Header=BB6_804 Depth=4
	s_or_b64 exec, exec, s[64:65]
.LBB6_1290:                             ;   in Loop: Header=BB6_804 Depth=4
	s_or_b64 exec, exec, s[28:29]
	v_cmp_ne_u16_sdwa vcc, v9, v27 src0_sel:BYTE_0 src1_sel:DWORD
	s_and_saveexec_b64 s[28:29], vcc
	s_cbranch_execz .LBB6_1296
; %bb.1291:                             ;   in Loop: Header=BB6_804 Depth=4
	v_cmp_ne_u16_sdwa vcc, v9, s91 src0_sel:BYTE_0 src1_sel:DWORD
	v_bfrev_b32_e32 v16, 1
	s_and_saveexec_b64 s[64:65], vcc
	s_cbranch_execz .LBB6_1295
; %bb.1292:                             ;   in Loop: Header=BB6_804 Depth=4
	v_and_b32_e32 v17, 0x7f, v9
	v_cmp_ne_u32_e32 vcc, s92, v17
	v_mov_b32_e32 v16, 0x7f800001
	s_and_saveexec_b64 s[66:67], vcc
	s_cbranch_execz .LBB6_1294
; %bb.1293:                             ;   in Loop: Header=BB6_804 Depth=4
	v_and_b32_e32 v16, 7, v9
	v_ffbh_u32_e32 v16, v16
	v_min_u32_e32 v16, 32, v16
	v_lshrrev_b32_e32 v18, 3, v17
	v_subrev_u32_e32 v29, 28, v16
	v_sub_u32_e32 v16, 29, v16
	v_cmp_gt_u32_e32 vcc, 8, v17
	v_mov_b32_e32 v50, v9
	v_mov_b32_e32 v51, v27
	v_cndmask_b32_e32 v18, v18, v16, vcc
	v_cndmask_b32_e32 v16, 0, v29, vcc
	v_lshlrev_b64 v[16:17], v16, v[50:51]
	v_lshlrev_b32_e32 v16, 20, v16
	v_lshlrev_b32_e32 v17, 24, v50
	v_and_b32_e32 v16, 0x700000, v16
	v_and_b32_e32 v17, 0x80000000, v17
	v_lshl_add_u32 v18, v18, 23, v31
	v_or3_b32 v16, v17, v18, v16
.LBB6_1294:                             ;   in Loop: Header=BB6_804 Depth=4
	s_or_b64 exec, exec, s[66:67]
.LBB6_1295:                             ;   in Loop: Header=BB6_804 Depth=4
	s_or_b64 exec, exec, s[64:65]
.LBB6_1296:                             ;   in Loop: Header=BB6_804 Depth=4
	s_or_b64 exec, exec, s[28:29]
	v_add_f32_e32 v18, v3, v16
	v_and_b32_sdwa v3, v18, s91 dst_sel:DWORD dst_unused:UNUSED_PAD src0_sel:BYTE_3 src1_sel:DWORD
	v_and_b32_e32 v50, 0x7f800000, v18
	v_mov_b32_e32 v51, v27
	v_and_b32_e32 v16, 0x7fffff, v18
	v_mov_b32_e32 v17, v27
	v_or_b32_e32 v57, 0x7e, v3
	v_cmp_ne_u64_e32 vcc, s[52:53], v[50:51]
	s_and_saveexec_b64 s[28:29], vcc
	s_xor_b64 s[64:65], exec, s[28:29]
	s_cbranch_execz .LBB6_1306
; %bb.1297:                             ;   in Loop: Header=BB6_804 Depth=4
	v_and_b32_e32 v50, 0x7fffffff, v18
	v_mov_b32_e32 v51, v27
	v_cmp_gt_u64_e32 vcc, s[54:55], v[50:51]
	s_and_saveexec_b64 s[66:67], vcc
	s_cbranch_execz .LBB6_1305
; %bb.1298:                             ;   in Loop: Header=BB6_804 Depth=4
	v_cmp_ne_u32_e32 vcc, 0, v18
	v_mov_b32_e32 v57, 0
	s_and_saveexec_b64 s[68:69], vcc
	s_cbranch_execz .LBB6_1304
; %bb.1299:                             ;   in Loop: Header=BB6_804 Depth=4
	v_bfe_u32 v18, v18, 23, 8
	v_sub_u32_e32 v32, 0x79, v18
	v_cmp_gt_u32_e32 vcc, s93, v18
	v_add_u32_e32 v29, 0xffffff81, v18
	v_cndmask_b32_e32 v32, 0, v32, vcc
	v_cmp_eq_u32_e32 vcc, 0, v18
	v_mov_b32_e32 v0, 0xffffff82
	v_cndmask_b32_e32 v18, v29, v0, vcc
	v_mov_b32_e32 v0, 0x78
	v_cndmask_b32_e32 v29, v32, v0, vcc
	v_add_u32_e32 v32, 20, v29
	v_or_b32_e32 v33, 0x800000, v16
	v_lshlrev_b64 v[50:51], v32, -1
	v_cndmask_b32_e32 v16, v33, v16, vcc
	v_not_b32_e32 v32, v51
	v_not_b32_e32 v33, v50
	v_and_b32_e32 v43, 0, v32
	v_and_b32_e32 v42, v16, v33
	v_add_u32_e32 v32, 19, v29
	v_lshrrev_b64 v[16:17], v29, v[16:17]
	v_lshlrev_b64 v[54:55], v32, 1
	v_lshrrev_b32_e32 v32, 23, v16
	v_add3_u32 v50, v29, v18, v32
	v_bfe_u32 v18, v16, 20, 1
	v_add_u32_e32 v18, -1, v18
	v_cmp_eq_u64_e32 vcc, v[42:43], v[54:55]
	v_cndmask_b32_e32 v18, 0, v18, vcc
	v_add_u32_e32 v18, v18, v16
	v_and_b32_e32 v18, 0xfffff, v18
	v_add_co_u32_e32 v16, vcc, v18, v16
	v_add_u32_e32 v29, 6, v50
	v_addc_co_u32_e32 v17, vcc, 0, v17, vcc
	v_cmp_ne_u32_e32 vcc, 0, v29
                                        ; implicit-def: $vgpr18
	s_and_saveexec_b64 s[28:29], vcc
	s_xor_b64 s[28:29], exec, s[28:29]
; %bb.1300:                             ;   in Loop: Header=BB6_804 Depth=4
	v_add_u32_e32 v18, 7, v50
	v_cmp_lt_u64_e32 vcc, s[56:57], v[16:17]
	v_cndmask_b32_e32 v18, v29, v18, vcc
	v_cndmask_b32_e64 v29, 0, 1, vcc
	v_lshrrev_b64 v[16:17], v29, v[16:17]
; %bb.1301:                             ;   in Loop: Header=BB6_804 Depth=4
	s_andn2_saveexec_b64 s[28:29], s[28:29]
; %bb.1302:                             ;   in Loop: Header=BB6_804 Depth=4
	v_bfe_u32 v18, v16, 23, 1
; %bb.1303:                             ;   in Loop: Header=BB6_804 Depth=4
	s_or_b64 exec, exec, s[28:29]
	v_lshrrev_b64 v[16:17], 20, v[16:17]
	v_cmp_gt_i32_e32 vcc, 16, v18
	v_cndmask_b32_e32 v17, 0, v17, vcc
	v_cndmask_b32_e32 v16, 7, v16, vcc
	v_cmp_eq_u64_e64 s[28:29], 0, v[16:17]
	v_min_i32_e32 v17, 15, v18
	v_cmp_eq_u32_e32 vcc, 0, v18
	v_lshlrev_b32_e32 v17, 3, v17
	v_and_or_b32 v16, v16, 7, v17
	s_and_b64 s[28:29], vcc, s[28:29]
	v_cndmask_b32_e64 v16, v16, 0, s[28:29]
	v_or_b32_e32 v57, v16, v3
.LBB6_1304:                             ;   in Loop: Header=BB6_804 Depth=4
	s_or_b64 exec, exec, s[68:69]
.LBB6_1305:                             ;   in Loop: Header=BB6_804 Depth=4
	s_or_b64 exec, exec, s[66:67]
                                        ; implicit-def: $vgpr18
                                        ; implicit-def: $vgpr16_vgpr17
.LBB6_1306:                             ;   in Loop: Header=BB6_804 Depth=4
	s_andn2_saveexec_b64 s[28:29], s[64:65]
; %bb.1307:                             ;   in Loop: Header=BB6_804 Depth=4
	v_or_b32_sdwa v3, v18, s92 dst_sel:DWORD dst_unused:UNUSED_PAD src0_sel:BYTE_3 src1_sel:DWORD
	v_cmp_eq_u64_e32 vcc, 0, v[16:17]
	v_cndmask_b32_e32 v57, v3, v57, vcc
; %bb.1308:                             ;   in Loop: Header=BB6_804 Depth=4
	s_or_b64 exec, exec, s[28:29]
	v_lshrrev_b16_e32 v16, 8, v26
	v_cmp_ne_u16_e32 vcc, 0, v16
	v_mov_b32_e32 v3, 0
	v_mov_b32_e32 v17, 0
	s_and_saveexec_b64 s[28:29], vcc
	s_cbranch_execz .LBB6_1314
; %bb.1309:                             ;   in Loop: Header=BB6_804 Depth=4
	v_cmp_ne_u16_e32 vcc, s91, v16
	v_bfrev_b32_e32 v17, 1
	s_and_saveexec_b64 s[64:65], vcc
	s_cbranch_execz .LBB6_1313
; %bb.1310:                             ;   in Loop: Header=BB6_804 Depth=4
	v_and_b32_e32 v18, 0x7f, v16
	v_cmp_ne_u32_e32 vcc, s92, v18
	v_mov_b32_e32 v17, 0x7f800001
	s_and_saveexec_b64 s[66:67], vcc
	s_cbranch_execz .LBB6_1312
; %bb.1311:                             ;   in Loop: Header=BB6_804 Depth=4
	v_and_b32_e32 v29, 7, v16
	v_ffbh_u32_e32 v17, v29
	v_min_u32_e32 v33, 32, v17
	v_subrev_u32_e32 v17, 28, v33
	v_lshlrev_b64 v[16:17], v17, v[16:17]
	v_lshrrev_b32_e32 v32, 3, v18
	v_sub_u32_e32 v17, 29, v33
	v_and_b32_e32 v16, 7, v16
	v_cmp_gt_u32_e32 vcc, 8, v18
	v_cndmask_b32_e32 v17, v32, v17, vcc
	v_cndmask_b32_e32 v16, v29, v16, vcc
	v_lshlrev_b32_e32 v18, 16, v26
	v_lshlrev_b32_e32 v16, 20, v16
	v_and_b32_e32 v18, 0x80000000, v18
	v_lshl_add_u32 v17, v17, 23, v31
	v_or3_b32 v17, v18, v17, v16
.LBB6_1312:                             ;   in Loop: Header=BB6_804 Depth=4
	s_or_b64 exec, exec, s[66:67]
.LBB6_1313:                             ;   in Loop: Header=BB6_804 Depth=4
	s_or_b64 exec, exec, s[64:65]
.LBB6_1314:                             ;   in Loop: Header=BB6_804 Depth=4
	s_or_b64 exec, exec, s[28:29]
	v_mov_b32_e32 v16, v9
	v_lshrrev_b16_e32 v18, 8, v16
	v_cmp_ne_u16_e32 vcc, 0, v18
	s_and_saveexec_b64 s[28:29], vcc
	s_cbranch_execz .LBB6_1320
; %bb.1315:                             ;   in Loop: Header=BB6_804 Depth=4
	v_cmp_ne_u16_e32 vcc, s91, v18
	v_bfrev_b32_e32 v3, 1
	s_and_saveexec_b64 s[64:65], vcc
	s_cbranch_execz .LBB6_1319
; %bb.1316:                             ;   in Loop: Header=BB6_804 Depth=4
	v_and_b32_e32 v26, 0x7f, v18
	v_cmp_ne_u32_e32 vcc, s92, v26
	v_mov_b32_e32 v3, 0x7f800001
	s_and_saveexec_b64 s[66:67], vcc
	s_cbranch_execz .LBB6_1318
; %bb.1317:                             ;   in Loop: Header=BB6_804 Depth=4
	v_and_b32_e32 v3, 7, v18
	v_ffbh_u32_e32 v32, v3
	v_min_u32_e32 v32, 32, v32
	v_subrev_u32_e32 v33, 28, v32
	v_lshlrev_b64 v[50:51], v33, v[18:19]
	v_lshrrev_b32_e32 v29, 3, v26
	v_sub_u32_e32 v18, 29, v32
	v_and_b32_e32 v32, 7, v50
	v_cmp_gt_u32_e32 vcc, 8, v26
	v_cndmask_b32_e32 v18, v29, v18, vcc
	v_cndmask_b32_e32 v3, v3, v32, vcc
	v_lshlrev_b32_e32 v16, 16, v16
	v_lshlrev_b32_e32 v3, 20, v3
	v_and_b32_e32 v16, 0x80000000, v16
	v_lshl_add_u32 v18, v18, 23, v31
	v_or3_b32 v3, v16, v18, v3
.LBB6_1318:                             ;   in Loop: Header=BB6_804 Depth=4
	s_or_b64 exec, exec, s[66:67]
.LBB6_1319:                             ;   in Loop: Header=BB6_804 Depth=4
	s_or_b64 exec, exec, s[64:65]
.LBB6_1320:                             ;   in Loop: Header=BB6_804 Depth=4
	s_or_b64 exec, exec, s[28:29]
	v_add_f32_e32 v16, v17, v3
	v_and_b32_sdwa v3, v16, s91 dst_sel:DWORD dst_unused:UNUSED_PAD src0_sel:BYTE_3 src1_sel:DWORD
	v_and_b32_e32 v50, 0x7f800000, v16
	v_mov_b32_e32 v51, v27
	v_and_b32_e32 v26, 0x7fffff, v16
	v_or_b32_e32 v18, 0x7e, v3
	v_cmp_ne_u64_e32 vcc, s[52:53], v[50:51]
	s_and_saveexec_b64 s[28:29], vcc
	s_xor_b64 s[64:65], exec, s[28:29]
	s_cbranch_execz .LBB6_1330
; %bb.1321:                             ;   in Loop: Header=BB6_804 Depth=4
	v_and_b32_e32 v50, 0x7fffffff, v16
	v_mov_b32_e32 v51, v27
	v_cmp_gt_u64_e32 vcc, s[54:55], v[50:51]
	s_and_saveexec_b64 s[66:67], vcc
	s_cbranch_execz .LBB6_1329
; %bb.1322:                             ;   in Loop: Header=BB6_804 Depth=4
	v_cmp_ne_u32_e32 vcc, 0, v16
	v_mov_b32_e32 v18, 0
	s_and_saveexec_b64 s[68:69], vcc
	s_cbranch_execz .LBB6_1328
; %bb.1323:                             ;   in Loop: Header=BB6_804 Depth=4
	v_bfe_u32 v16, v16, 23, 8
	v_sub_u32_e32 v18, 0x79, v16
	v_cmp_gt_u32_e32 vcc, s93, v16
	v_add_u32_e32 v17, 0xffffff81, v16
	v_cndmask_b32_e32 v18, 0, v18, vcc
	v_cmp_eq_u32_e32 vcc, 0, v16
	v_mov_b32_e32 v0, 0xffffff82
	v_cndmask_b32_e32 v32, v17, v0, vcc
	v_mov_b32_e32 v0, 0x78
	v_cndmask_b32_e32 v18, v18, v0, vcc
	v_or_b32_e32 v29, 0x800000, v26
	v_add_u32_e32 v16, 20, v18
	v_cndmask_b32_e32 v26, v29, v26, vcc
	v_lshlrev_b64 v[16:17], v16, -1
	v_not_b32_e32 v16, v16
	v_lshrrev_b64 v[54:55], v18, v[26:27]
	v_not_b32_e32 v17, v17
	v_and_b32_e32 v16, v26, v16
	v_add_u32_e32 v29, 19, v18
	v_lshrrev_b32_e32 v26, 23, v54
	v_and_b32_e32 v17, 0, v17
	v_lshlrev_b64 v[50:51], v29, 1
	v_add3_u32 v29, v18, v32, v26
	v_bfe_u32 v18, v54, 20, 1
	v_add_u32_e32 v18, -1, v18
	v_cmp_eq_u64_e32 vcc, v[16:17], v[50:51]
	v_cndmask_b32_e32 v16, 0, v18, vcc
	v_add_u32_e32 v16, v16, v54
	v_and_b32_e32 v16, 0xfffff, v16
	v_add_co_u32_e32 v16, vcc, v16, v54
	v_add_u32_e32 v26, 6, v29
	v_addc_co_u32_e32 v17, vcc, 0, v55, vcc
	v_cmp_ne_u32_e32 vcc, 0, v26
                                        ; implicit-def: $vgpr18
	s_and_saveexec_b64 s[28:29], vcc
	s_xor_b64 s[28:29], exec, s[28:29]
; %bb.1324:                             ;   in Loop: Header=BB6_804 Depth=4
	v_add_u32_e32 v18, 7, v29
	v_cmp_lt_u64_e32 vcc, s[56:57], v[16:17]
	v_cndmask_b32_e32 v18, v26, v18, vcc
	v_cndmask_b32_e64 v26, 0, 1, vcc
	v_lshrrev_b64 v[16:17], v26, v[16:17]
; %bb.1325:                             ;   in Loop: Header=BB6_804 Depth=4
	s_andn2_saveexec_b64 s[28:29], s[28:29]
; %bb.1326:                             ;   in Loop: Header=BB6_804 Depth=4
	v_bfe_u32 v18, v16, 23, 1
; %bb.1327:                             ;   in Loop: Header=BB6_804 Depth=4
	s_or_b64 exec, exec, s[28:29]
	v_lshrrev_b64 v[16:17], 20, v[16:17]
	v_cmp_gt_i32_e32 vcc, 16, v18
	v_cndmask_b32_e32 v17, 0, v17, vcc
	v_cndmask_b32_e32 v16, 7, v16, vcc
	v_cmp_eq_u64_e64 s[28:29], 0, v[16:17]
	v_min_i32_e32 v17, 15, v18
	v_cmp_eq_u32_e32 vcc, 0, v18
	v_lshlrev_b32_e32 v17, 3, v17
	v_and_or_b32 v16, v16, 7, v17
	s_and_b64 s[28:29], vcc, s[28:29]
	v_cndmask_b32_e64 v16, v16, 0, s[28:29]
	v_or_b32_e32 v18, v16, v3
.LBB6_1328:                             ;   in Loop: Header=BB6_804 Depth=4
	s_or_b64 exec, exec, s[68:69]
.LBB6_1329:                             ;   in Loop: Header=BB6_804 Depth=4
	s_or_b64 exec, exec, s[66:67]
                                        ; implicit-def: $vgpr16
.LBB6_1330:                             ;   in Loop: Header=BB6_804 Depth=4
	s_andn2_saveexec_b64 s[28:29], s[64:65]
; %bb.1331:                             ;   in Loop: Header=BB6_804 Depth=4
	v_or_b32_sdwa v3, v16, s92 dst_sel:DWORD dst_unused:UNUSED_PAD src0_sel:BYTE_3 src1_sel:DWORD
	v_cmp_eq_u64_e32 vcc, 0, v[26:27]
	v_cndmask_b32_e32 v18, v3, v18, vcc
; %bb.1332:                             ;   in Loop: Header=BB6_804 Depth=4
	s_or_b64 exec, exec, s[28:29]
	v_lshrrev_b32_e32 v16, 16, v13
	v_cmp_ne_u16_sdwa vcc, v16, v27 src0_sel:BYTE_0 src1_sel:DWORD
	v_mov_b32_e32 v3, 0
	v_mov_b32_e32 v17, 0
	s_and_saveexec_b64 s[28:29], vcc
	s_cbranch_execz .LBB6_1338
; %bb.1333:                             ;   in Loop: Header=BB6_804 Depth=4
	v_cmp_ne_u16_sdwa vcc, v16, s91 src0_sel:BYTE_0 src1_sel:DWORD
	v_bfrev_b32_e32 v17, 1
	s_and_saveexec_b64 s[64:65], vcc
	s_cbranch_execz .LBB6_1337
; %bb.1334:                             ;   in Loop: Header=BB6_804 Depth=4
	v_bfe_u32 v26, v13, 16, 7
	v_cmp_ne_u32_e32 vcc, s92, v26
	v_mov_b32_e32 v17, 0x7f800001
	s_and_saveexec_b64 s[66:67], vcc
	s_cbranch_execz .LBB6_1336
; %bb.1335:                             ;   in Loop: Header=BB6_804 Depth=4
	v_and_b32_e32 v17, 7, v16
	v_ffbh_u32_e32 v32, v17
	v_min_u32_e32 v32, 32, v32
	v_subrev_u32_e32 v33, 28, v32
	v_lshlrev_b64 v[50:51], v33, v[16:17]
	v_lshrrev_b32_e32 v29, 3, v26
	v_sub_u32_e32 v32, 29, v32
	v_and_b32_e32 v33, 7, v50
	v_cmp_gt_u32_e32 vcc, 8, v26
	v_cndmask_b32_e32 v26, v29, v32, vcc
	v_cndmask_b32_e32 v17, v17, v33, vcc
	v_lshlrev_b32_e32 v16, 24, v16
	v_lshlrev_b32_e32 v17, 20, v17
	v_and_b32_e32 v16, 0x80000000, v16
	v_lshl_add_u32 v26, v26, 23, v31
	v_or3_b32 v17, v16, v26, v17
.LBB6_1336:                             ;   in Loop: Header=BB6_804 Depth=4
	s_or_b64 exec, exec, s[66:67]
.LBB6_1337:                             ;   in Loop: Header=BB6_804 Depth=4
	s_or_b64 exec, exec, s[64:65]
.LBB6_1338:                             ;   in Loop: Header=BB6_804 Depth=4
	s_or_b64 exec, exec, s[28:29]
	v_lshrrev_b32_e32 v16, 16, v9
	v_cmp_ne_u16_sdwa vcc, v16, v27 src0_sel:BYTE_0 src1_sel:DWORD
	s_and_saveexec_b64 s[28:29], vcc
	s_cbranch_execz .LBB6_1344
; %bb.1339:                             ;   in Loop: Header=BB6_804 Depth=4
	v_cmp_ne_u16_sdwa vcc, v16, s91 src0_sel:BYTE_0 src1_sel:DWORD
	v_bfrev_b32_e32 v3, 1
	s_and_saveexec_b64 s[64:65], vcc
	s_cbranch_execz .LBB6_1343
; %bb.1340:                             ;   in Loop: Header=BB6_804 Depth=4
	v_bfe_u32 v26, v9, 16, 7
	v_cmp_ne_u32_e32 vcc, s92, v26
	v_mov_b32_e32 v3, 0x7f800001
	s_and_saveexec_b64 s[66:67], vcc
	s_cbranch_execz .LBB6_1342
; %bb.1341:                             ;   in Loop: Header=BB6_804 Depth=4
	v_and_b32_e32 v3, 7, v16
	v_ffbh_u32_e32 v32, v3
	v_min_u32_e32 v32, 32, v32
	v_subrev_u32_e32 v33, 28, v32
	v_lshlrev_b64 v[50:51], v33, v[16:17]
	v_lshrrev_b32_e32 v29, 3, v26
	v_sub_u32_e32 v16, 29, v32
	v_and_b32_e32 v32, 7, v50
	v_cmp_gt_u32_e32 vcc, 8, v26
	v_cndmask_b32_e32 v16, v29, v16, vcc
	v_cndmask_b32_e32 v3, v3, v32, vcc
	v_lshlrev_b32_e32 v26, 8, v9
	v_lshlrev_b32_e32 v3, 20, v3
	v_and_b32_e32 v26, 0x80000000, v26
	v_lshl_add_u32 v16, v16, 23, v31
	v_or3_b32 v3, v26, v16, v3
.LBB6_1342:                             ;   in Loop: Header=BB6_804 Depth=4
	s_or_b64 exec, exec, s[66:67]
.LBB6_1343:                             ;   in Loop: Header=BB6_804 Depth=4
	s_or_b64 exec, exec, s[64:65]
.LBB6_1344:                             ;   in Loop: Header=BB6_804 Depth=4
	s_or_b64 exec, exec, s[28:29]
	v_add_f32_e32 v17, v17, v3
	v_and_b32_sdwa v3, v17, s91 dst_sel:DWORD dst_unused:UNUSED_PAD src0_sel:BYTE_3 src1_sel:DWORD
	v_and_b32_e32 v50, 0x7f800000, v17
	v_mov_b32_e32 v51, v27
	v_and_b32_e32 v26, 0x7fffff, v17
	v_or_b32_e32 v16, 0x7e, v3
	v_cmp_ne_u64_e32 vcc, s[52:53], v[50:51]
	s_and_saveexec_b64 s[28:29], vcc
	s_xor_b64 s[64:65], exec, s[28:29]
	s_cbranch_execz .LBB6_1354
; %bb.1345:                             ;   in Loop: Header=BB6_804 Depth=4
	v_and_b32_e32 v50, 0x7fffffff, v17
	v_mov_b32_e32 v51, v27
	v_cmp_gt_u64_e32 vcc, s[54:55], v[50:51]
	s_and_saveexec_b64 s[66:67], vcc
	s_cbranch_execz .LBB6_1353
; %bb.1346:                             ;   in Loop: Header=BB6_804 Depth=4
	v_cmp_ne_u32_e32 vcc, 0, v17
	v_mov_b32_e32 v16, 0
	s_and_saveexec_b64 s[68:69], vcc
	s_cbranch_execz .LBB6_1352
; %bb.1347:                             ;   in Loop: Header=BB6_804 Depth=4
	v_bfe_u32 v16, v17, 23, 8
	v_sub_u32_e32 v29, 0x79, v16
	v_cmp_gt_u32_e32 vcc, s93, v16
	v_add_u32_e32 v17, 0xffffff81, v16
	v_cndmask_b32_e32 v29, 0, v29, vcc
	v_cmp_eq_u32_e32 vcc, 0, v16
	v_mov_b32_e32 v0, 0xffffff82
	v_cndmask_b32_e32 v33, v17, v0, vcc
	v_mov_b32_e32 v0, 0x78
	v_cndmask_b32_e32 v29, v29, v0, vcc
	v_or_b32_e32 v32, 0x800000, v26
	v_add_u32_e32 v16, 20, v29
	v_cndmask_b32_e32 v26, v32, v26, vcc
	v_lshlrev_b64 v[16:17], v16, -1
	v_not_b32_e32 v16, v16
	v_lshrrev_b64 v[42:43], v29, v[26:27]
	v_not_b32_e32 v17, v17
	v_and_b32_e32 v16, v26, v16
	v_add_u32_e32 v32, 19, v29
	v_lshrrev_b32_e32 v26, 23, v42
	v_and_b32_e32 v17, 0, v17
	v_lshlrev_b64 v[54:55], v32, 1
	v_add3_u32 v50, v29, v33, v26
	v_bfe_u32 v26, v42, 20, 1
	v_add_u32_e32 v26, -1, v26
	v_cmp_eq_u64_e32 vcc, v[16:17], v[54:55]
	v_cndmask_b32_e32 v16, 0, v26, vcc
	v_add_u32_e32 v16, v16, v42
	v_and_b32_e32 v16, 0xfffff, v16
	v_add_co_u32_e32 v16, vcc, v16, v42
	v_add_u32_e32 v29, 6, v50
	v_addc_co_u32_e32 v17, vcc, 0, v43, vcc
	v_cmp_ne_u32_e32 vcc, 0, v29
                                        ; implicit-def: $vgpr26
	s_and_saveexec_b64 s[28:29], vcc
	s_xor_b64 s[28:29], exec, s[28:29]
; %bb.1348:                             ;   in Loop: Header=BB6_804 Depth=4
	v_add_u32_e32 v26, 7, v50
	v_cmp_lt_u64_e32 vcc, s[56:57], v[16:17]
	v_cndmask_b32_e32 v26, v29, v26, vcc
	v_cndmask_b32_e64 v29, 0, 1, vcc
	v_lshrrev_b64 v[16:17], v29, v[16:17]
; %bb.1349:                             ;   in Loop: Header=BB6_804 Depth=4
	s_andn2_saveexec_b64 s[28:29], s[28:29]
; %bb.1350:                             ;   in Loop: Header=BB6_804 Depth=4
	v_bfe_u32 v26, v16, 23, 1
; %bb.1351:                             ;   in Loop: Header=BB6_804 Depth=4
	s_or_b64 exec, exec, s[28:29]
	v_lshrrev_b64 v[16:17], 20, v[16:17]
	v_cmp_gt_i32_e32 vcc, 16, v26
	v_cndmask_b32_e32 v17, 0, v17, vcc
	v_cndmask_b32_e32 v16, 7, v16, vcc
	v_cmp_eq_u64_e64 s[28:29], 0, v[16:17]
	v_min_i32_e32 v17, 15, v26
	v_lshlrev_b32_e32 v17, 3, v17
	v_cmp_eq_u32_e32 vcc, 0, v26
	v_and_b32_e32 v17, 0xf8, v17
	v_and_or_b32 v16, v16, 7, v17
	s_and_b64 s[28:29], vcc, s[28:29]
	v_cndmask_b32_e64 v16, v16, 0, s[28:29]
	v_or_b32_e32 v16, v16, v3
.LBB6_1352:                             ;   in Loop: Header=BB6_804 Depth=4
	s_or_b64 exec, exec, s[68:69]
.LBB6_1353:                             ;   in Loop: Header=BB6_804 Depth=4
	s_or_b64 exec, exec, s[66:67]
                                        ; implicit-def: $vgpr17
.LBB6_1354:                             ;   in Loop: Header=BB6_804 Depth=4
	s_andn2_saveexec_b64 s[28:29], s[64:65]
; %bb.1355:                             ;   in Loop: Header=BB6_804 Depth=4
	v_or_b32_sdwa v3, v17, s92 dst_sel:DWORD dst_unused:UNUSED_PAD src0_sel:BYTE_3 src1_sel:DWORD
	v_cmp_eq_u64_e32 vcc, 0, v[26:27]
	v_cndmask_b32_e32 v16, v3, v16, vcc
; %bb.1356:                             ;   in Loop: Header=BB6_804 Depth=4
	s_or_b64 exec, exec, s[28:29]
	v_cmp_lt_u64_e32 vcc, s[42:43], v[12:13]
	v_mov_b32_e32 v3, 0
	v_mov_b32_e32 v17, 0
	s_and_saveexec_b64 s[28:29], vcc
	s_cbranch_execz .LBB6_1362
; %bb.1357:                             ;   in Loop: Header=BB6_804 Depth=4
	v_lshrrev_b32_e32 v12, 24, v13
	v_cmp_ne_u32_e32 vcc, s91, v12
	v_bfrev_b32_e32 v17, 1
	s_and_saveexec_b64 s[64:65], vcc
	s_cbranch_execz .LBB6_1361
; %bb.1358:                             ;   in Loop: Header=BB6_804 Depth=4
	v_bfe_u32 v13, v13, 24, 7
	v_cmp_ne_u32_e32 vcc, s92, v13
	v_mov_b32_e32 v17, 0x7f800001
	s_and_saveexec_b64 s[66:67], vcc
	s_cbranch_execz .LBB6_1360
; %bb.1359:                             ;   in Loop: Header=BB6_804 Depth=4
	v_and_b32_e32 v17, 7, v12
	v_ffbh_u32_e32 v29, v17
	v_min_u32_e32 v29, 32, v29
	v_subrev_u32_e32 v32, 28, v29
	v_lshlrev_b64 v[50:51], v32, v[12:13]
	v_lshrrev_b32_e32 v26, 3, v13
	v_sub_u32_e32 v29, 29, v29
	v_and_b32_e32 v32, 7, v50
	v_cmp_gt_u32_e32 vcc, 8, v13
	v_cndmask_b32_e32 v13, v26, v29, vcc
	v_cndmask_b32_e32 v17, v17, v32, vcc
	v_lshlrev_b32_e32 v12, 24, v12
	v_lshlrev_b32_e32 v17, 20, v17
	v_and_b32_e32 v12, 0x80000000, v12
	v_lshl_add_u32 v13, v13, 23, v31
	v_or3_b32 v17, v12, v13, v17
.LBB6_1360:                             ;   in Loop: Header=BB6_804 Depth=4
	s_or_b64 exec, exec, s[66:67]
.LBB6_1361:                             ;   in Loop: Header=BB6_804 Depth=4
	s_or_b64 exec, exec, s[64:65]
.LBB6_1362:                             ;   in Loop: Header=BB6_804 Depth=4
	s_or_b64 exec, exec, s[28:29]
	v_cmp_lt_u64_e32 vcc, s[42:43], v[8:9]
	s_and_saveexec_b64 s[28:29], vcc
	s_cbranch_execz .LBB6_1368
; %bb.1363:                             ;   in Loop: Header=BB6_804 Depth=4
	v_lshrrev_b32_e32 v8, 24, v9
	v_cmp_ne_u32_e32 vcc, s91, v8
	v_bfrev_b32_e32 v3, 1
	s_and_saveexec_b64 s[64:65], vcc
	s_cbranch_execz .LBB6_1367
; %bb.1364:                             ;   in Loop: Header=BB6_804 Depth=4
	v_bfe_u32 v9, v9, 24, 7
	v_cmp_ne_u32_e32 vcc, s92, v9
	v_mov_b32_e32 v3, 0x7f800001
	s_and_saveexec_b64 s[66:67], vcc
	s_cbranch_execz .LBB6_1366
; %bb.1365:                             ;   in Loop: Header=BB6_804 Depth=4
	v_and_b32_e32 v3, 7, v8
	v_ffbh_u32_e32 v12, v3
	v_min_u32_e32 v29, 32, v12
	v_subrev_u32_e32 v12, 28, v29
	v_lshlrev_b64 v[12:13], v12, v[8:9]
	v_lshrrev_b32_e32 v26, 3, v9
	v_sub_u32_e32 v13, 29, v29
	v_and_b32_e32 v12, 7, v12
	v_cmp_gt_u32_e32 vcc, 8, v9
	v_cndmask_b32_e32 v9, v26, v13, vcc
	v_cndmask_b32_e32 v3, v3, v12, vcc
	v_lshlrev_b32_e32 v8, 24, v8
	v_lshlrev_b32_e32 v3, 20, v3
	v_and_b32_e32 v8, 0x80000000, v8
	v_lshl_add_u32 v9, v9, 23, v31
	v_or3_b32 v3, v8, v9, v3
.LBB6_1366:                             ;   in Loop: Header=BB6_804 Depth=4
	s_or_b64 exec, exec, s[66:67]
.LBB6_1367:                             ;   in Loop: Header=BB6_804 Depth=4
	s_or_b64 exec, exec, s[64:65]
.LBB6_1368:                             ;   in Loop: Header=BB6_804 Depth=4
	s_or_b64 exec, exec, s[28:29]
	v_add_f32_e32 v8, v17, v3
	v_and_b32_sdwa v3, v8, s91 dst_sel:DWORD dst_unused:UNUSED_PAD src0_sel:BYTE_3 src1_sel:DWORD
	v_and_b32_e32 v50, 0x7f800000, v8
	v_mov_b32_e32 v51, v27
	v_and_b32_e32 v26, 0x7fffff, v8
	v_or_b32_e32 v13, 0x7e, v3
	v_cmp_ne_u64_e32 vcc, s[52:53], v[50:51]
	s_and_saveexec_b64 s[28:29], vcc
	s_xor_b64 s[64:65], exec, s[28:29]
	s_cbranch_execz .LBB6_1378
; %bb.1369:                             ;   in Loop: Header=BB6_804 Depth=4
	v_and_b32_e32 v50, 0x7fffffff, v8
	v_mov_b32_e32 v51, v27
	v_cmp_gt_u64_e32 vcc, s[54:55], v[50:51]
	s_and_saveexec_b64 s[66:67], vcc
	s_cbranch_execz .LBB6_1377
; %bb.1370:                             ;   in Loop: Header=BB6_804 Depth=4
	v_cmp_ne_u32_e32 vcc, 0, v8
	v_mov_b32_e32 v13, 0
	s_and_saveexec_b64 s[68:69], vcc
	s_cbranch_execz .LBB6_1376
; %bb.1371:                             ;   in Loop: Header=BB6_804 Depth=4
	v_bfe_u32 v8, v8, 23, 8
	v_sub_u32_e32 v12, 0x79, v8
	v_cmp_gt_u32_e32 vcc, s93, v8
	v_add_u32_e32 v9, 0xffffff81, v8
	v_cndmask_b32_e32 v12, 0, v12, vcc
	v_cmp_eq_u32_e32 vcc, 0, v8
	v_mov_b32_e32 v0, 0xffffff82
	v_cndmask_b32_e32 v17, v9, v0, vcc
	v_mov_b32_e32 v0, 0x78
	v_or_b32_e32 v13, 0x800000, v26
	v_cndmask_b32_e32 v12, v12, v0, vcc
	v_cndmask_b32_e32 v26, v13, v26, vcc
	v_add_u32_e32 v8, 20, v12
	v_lshlrev_b64 v[8:9], v8, -1
	v_add_u32_e32 v13, 19, v12
	v_lshrrev_b64 v[54:55], v12, v[26:27]
	v_not_b32_e32 v9, v9
	v_not_b32_e32 v8, v8
	v_lshlrev_b64 v[50:51], v13, 1
	v_lshrrev_b32_e32 v13, 23, v54
	v_and_b32_e32 v9, 0, v9
	v_and_b32_e32 v8, v26, v8
	v_add3_u32 v17, v12, v17, v13
	v_bfe_u32 v12, v54, 20, 1
	v_add_u32_e32 v12, -1, v12
	v_cmp_eq_u64_e32 vcc, v[8:9], v[50:51]
	v_cndmask_b32_e32 v8, 0, v12, vcc
	v_add_u32_e32 v8, v8, v54
	v_and_b32_e32 v8, 0xfffff, v8
	v_add_co_u32_e32 v8, vcc, v8, v54
	v_add_u32_e32 v13, 6, v17
	v_addc_co_u32_e32 v9, vcc, 0, v55, vcc
	v_cmp_ne_u32_e32 vcc, 0, v13
                                        ; implicit-def: $vgpr12
	s_and_saveexec_b64 s[28:29], vcc
	s_xor_b64 s[28:29], exec, s[28:29]
; %bb.1372:                             ;   in Loop: Header=BB6_804 Depth=4
	v_add_u32_e32 v12, 7, v17
	v_cmp_lt_u64_e32 vcc, s[56:57], v[8:9]
	v_cndmask_b32_e32 v12, v13, v12, vcc
	v_cndmask_b32_e64 v13, 0, 1, vcc
	v_lshrrev_b64 v[8:9], v13, v[8:9]
; %bb.1373:                             ;   in Loop: Header=BB6_804 Depth=4
	s_andn2_saveexec_b64 s[28:29], s[28:29]
; %bb.1374:                             ;   in Loop: Header=BB6_804 Depth=4
	v_bfe_u32 v12, v8, 23, 1
; %bb.1375:                             ;   in Loop: Header=BB6_804 Depth=4
	s_or_b64 exec, exec, s[28:29]
	v_lshrrev_b64 v[8:9], 20, v[8:9]
	v_cmp_gt_i32_e32 vcc, 16, v12
	v_cndmask_b32_e32 v9, 0, v9, vcc
	v_cndmask_b32_e32 v8, 7, v8, vcc
	v_cmp_eq_u64_e64 s[28:29], 0, v[8:9]
	v_min_i32_e32 v9, 15, v12
	v_lshlrev_b32_e32 v9, 3, v9
	v_cmp_eq_u32_e32 vcc, 0, v12
	v_and_b32_e32 v9, 0xf8, v9
	v_and_or_b32 v8, v8, 7, v9
	s_and_b64 s[28:29], vcc, s[28:29]
	v_cndmask_b32_e64 v8, v8, 0, s[28:29]
	v_or_b32_e32 v13, v8, v3
.LBB6_1376:                             ;   in Loop: Header=BB6_804 Depth=4
	s_or_b64 exec, exec, s[68:69]
.LBB6_1377:                             ;   in Loop: Header=BB6_804 Depth=4
	s_or_b64 exec, exec, s[66:67]
                                        ; implicit-def: $vgpr8
.LBB6_1378:                             ;   in Loop: Header=BB6_804 Depth=4
	s_andn2_saveexec_b64 s[28:29], s[64:65]
; %bb.1379:                             ;   in Loop: Header=BB6_804 Depth=4
	v_or_b32_sdwa v3, v8, s92 dst_sel:DWORD dst_unused:UNUSED_PAD src0_sel:BYTE_3 src1_sel:DWORD
	v_cmp_eq_u64_e32 vcc, 0, v[26:27]
	v_cndmask_b32_e32 v13, v3, v13, vcc
; %bb.1380:                             ;   in Loop: Header=BB6_804 Depth=4
	s_or_b64 exec, exec, s[28:29]
	v_cmp_ne_u16_sdwa vcc, v14, v27 src0_sel:BYTE_0 src1_sel:DWORD
	v_mov_b32_e32 v3, 0
	v_mov_b32_e32 v8, 0
	s_and_saveexec_b64 s[28:29], vcc
	s_cbranch_execz .LBB6_1386
; %bb.1381:                             ;   in Loop: Header=BB6_804 Depth=4
	v_cmp_ne_u16_sdwa vcc, v14, s91 src0_sel:BYTE_0 src1_sel:DWORD
	v_bfrev_b32_e32 v8, 1
	s_and_saveexec_b64 s[64:65], vcc
	s_cbranch_execz .LBB6_1385
; %bb.1382:                             ;   in Loop: Header=BB6_804 Depth=4
	v_and_b32_e32 v9, 0x7f, v14
	v_cmp_ne_u32_e32 vcc, s92, v9
	v_mov_b32_e32 v8, 0x7f800001
	s_and_saveexec_b64 s[66:67], vcc
	s_cbranch_execz .LBB6_1384
; %bb.1383:                             ;   in Loop: Header=BB6_804 Depth=4
	v_and_b32_e32 v8, 7, v14
	v_ffbh_u32_e32 v8, v8
	v_min_u32_e32 v8, 32, v8
	v_lshrrev_b32_e32 v12, 3, v9
	v_subrev_u32_e32 v17, 28, v8
	v_sub_u32_e32 v8, 29, v8
	v_cmp_gt_u32_e32 vcc, 8, v9
	v_cndmask_b32_e32 v12, v12, v8, vcc
	v_cndmask_b32_e32 v8, 0, v17, vcc
	v_lshlrev_b64 v[8:9], v8, v[14:15]
	v_lshlrev_b32_e32 v8, 20, v8
	v_lshlrev_b32_e32 v9, 24, v14
	v_and_b32_e32 v8, 0x700000, v8
	v_and_b32_e32 v9, 0x80000000, v9
	v_lshl_add_u32 v12, v12, 23, v31
	v_or3_b32 v8, v9, v12, v8
.LBB6_1384:                             ;   in Loop: Header=BB6_804 Depth=4
	s_or_b64 exec, exec, s[66:67]
.LBB6_1385:                             ;   in Loop: Header=BB6_804 Depth=4
	s_or_b64 exec, exec, s[64:65]
.LBB6_1386:                             ;   in Loop: Header=BB6_804 Depth=4
	s_or_b64 exec, exec, s[28:29]
	v_cmp_ne_u16_sdwa vcc, v10, v27 src0_sel:BYTE_0 src1_sel:DWORD
	s_and_saveexec_b64 s[28:29], vcc
	s_cbranch_execz .LBB6_1392
; %bb.1387:                             ;   in Loop: Header=BB6_804 Depth=4
	v_cmp_ne_u16_sdwa vcc, v10, s91 src0_sel:BYTE_0 src1_sel:DWORD
	v_bfrev_b32_e32 v3, 1
	s_and_saveexec_b64 s[64:65], vcc
	s_cbranch_execz .LBB6_1391
; %bb.1388:                             ;   in Loop: Header=BB6_804 Depth=4
	v_and_b32_e32 v9, 0x7f, v10
	v_cmp_ne_u32_e32 vcc, s92, v9
	v_mov_b32_e32 v3, 0x7f800001
	s_and_saveexec_b64 s[66:67], vcc
	s_cbranch_execz .LBB6_1390
; %bb.1389:                             ;   in Loop: Header=BB6_804 Depth=4
	v_and_b32_e32 v3, 7, v10
	v_ffbh_u32_e32 v3, v3
	v_min_u32_e32 v3, 32, v3
	v_subrev_u32_e32 v17, 28, v3
	v_cmp_gt_u32_e32 vcc, 8, v9
	v_lshrrev_b32_e32 v12, 3, v9
	v_cndmask_b32_e32 v9, 0, v17, vcc
	v_sub_u32_e32 v3, 29, v3
	v_lshlrev_b64 v[50:51], v9, v[10:11]
	v_cndmask_b32_e32 v3, v12, v3, vcc
	v_lshlrev_b32_e32 v9, 20, v50
	v_lshlrev_b32_e32 v12, 24, v10
	v_and_b32_e32 v9, 0x700000, v9
	v_and_b32_e32 v12, 0x80000000, v12
	v_lshl_add_u32 v3, v3, 23, v31
	v_or3_b32 v3, v12, v3, v9
.LBB6_1390:                             ;   in Loop: Header=BB6_804 Depth=4
	s_or_b64 exec, exec, s[66:67]
.LBB6_1391:                             ;   in Loop: Header=BB6_804 Depth=4
	s_or_b64 exec, exec, s[64:65]
.LBB6_1392:                             ;   in Loop: Header=BB6_804 Depth=4
	s_or_b64 exec, exec, s[28:29]
	v_add_f32_e32 v8, v8, v3
	v_and_b32_sdwa v3, v8, s91 dst_sel:DWORD dst_unused:UNUSED_PAD src0_sel:BYTE_3 src1_sel:DWORD
	v_and_b32_e32 v50, 0x7f800000, v8
	v_mov_b32_e32 v51, v27
	v_and_b32_e32 v26, 0x7fffff, v8
	v_or_b32_e32 v17, 0x7e, v3
	v_cmp_ne_u64_e32 vcc, s[52:53], v[50:51]
	s_and_saveexec_b64 s[28:29], vcc
	s_xor_b64 s[64:65], exec, s[28:29]
	s_cbranch_execz .LBB6_1402
; %bb.1393:                             ;   in Loop: Header=BB6_804 Depth=4
	v_and_b32_e32 v50, 0x7fffffff, v8
	v_mov_b32_e32 v51, v27
	v_cmp_gt_u64_e32 vcc, s[54:55], v[50:51]
	s_and_saveexec_b64 s[66:67], vcc
	s_cbranch_execz .LBB6_1401
; %bb.1394:                             ;   in Loop: Header=BB6_804 Depth=4
	v_cmp_ne_u32_e32 vcc, 0, v8
	v_mov_b32_e32 v17, 0
	s_and_saveexec_b64 s[68:69], vcc
	s_cbranch_execz .LBB6_1400
; %bb.1395:                             ;   in Loop: Header=BB6_804 Depth=4
	v_bfe_u32 v8, v8, 23, 8
	v_sub_u32_e32 v12, 0x79, v8
	v_cmp_gt_u32_e32 vcc, s93, v8
	v_add_u32_e32 v9, 0xffffff81, v8
	v_cndmask_b32_e32 v12, 0, v12, vcc
	v_cmp_eq_u32_e32 vcc, 0, v8
	v_mov_b32_e32 v0, 0xffffff82
	v_cndmask_b32_e32 v29, v9, v0, vcc
	v_mov_b32_e32 v0, 0x78
	v_or_b32_e32 v17, 0x800000, v26
	v_cndmask_b32_e32 v12, v12, v0, vcc
	v_cndmask_b32_e32 v26, v17, v26, vcc
	v_add_u32_e32 v8, 20, v12
	v_lshlrev_b64 v[8:9], v8, -1
	v_add_u32_e32 v17, 19, v12
	v_lshrrev_b64 v[54:55], v12, v[26:27]
	v_not_b32_e32 v9, v9
	v_not_b32_e32 v8, v8
	v_lshlrev_b64 v[50:51], v17, 1
	v_lshrrev_b32_e32 v17, 23, v54
	v_and_b32_e32 v9, 0, v9
	v_and_b32_e32 v8, v26, v8
	v_add3_u32 v26, v12, v29, v17
	v_bfe_u32 v12, v54, 20, 1
	v_add_u32_e32 v12, -1, v12
	v_cmp_eq_u64_e32 vcc, v[8:9], v[50:51]
	v_cndmask_b32_e32 v8, 0, v12, vcc
	v_add_u32_e32 v8, v8, v54
	v_and_b32_e32 v8, 0xfffff, v8
	v_add_co_u32_e32 v8, vcc, v8, v54
	v_add_u32_e32 v17, 6, v26
	v_addc_co_u32_e32 v9, vcc, 0, v55, vcc
	v_cmp_ne_u32_e32 vcc, 0, v17
                                        ; implicit-def: $vgpr12
	s_and_saveexec_b64 s[28:29], vcc
	s_xor_b64 s[28:29], exec, s[28:29]
; %bb.1396:                             ;   in Loop: Header=BB6_804 Depth=4
	v_add_u32_e32 v12, 7, v26
	v_cmp_lt_u64_e32 vcc, s[56:57], v[8:9]
	v_cndmask_b32_e32 v12, v17, v12, vcc
	v_cndmask_b32_e64 v17, 0, 1, vcc
	v_lshrrev_b64 v[8:9], v17, v[8:9]
; %bb.1397:                             ;   in Loop: Header=BB6_804 Depth=4
	s_andn2_saveexec_b64 s[28:29], s[28:29]
; %bb.1398:                             ;   in Loop: Header=BB6_804 Depth=4
	v_bfe_u32 v12, v8, 23, 1
; %bb.1399:                             ;   in Loop: Header=BB6_804 Depth=4
	s_or_b64 exec, exec, s[28:29]
	v_lshrrev_b64 v[8:9], 20, v[8:9]
	v_cmp_gt_i32_e32 vcc, 16, v12
	v_cndmask_b32_e32 v9, 0, v9, vcc
	v_cndmask_b32_e32 v8, 7, v8, vcc
	v_cmp_eq_u64_e64 s[28:29], 0, v[8:9]
	v_min_i32_e32 v9, 15, v12
	v_cmp_eq_u32_e32 vcc, 0, v12
	v_lshlrev_b32_e32 v9, 3, v9
	v_and_or_b32 v8, v8, 7, v9
	s_and_b64 s[28:29], vcc, s[28:29]
	v_cndmask_b32_e64 v8, v8, 0, s[28:29]
	v_or_b32_e32 v17, v8, v3
.LBB6_1400:                             ;   in Loop: Header=BB6_804 Depth=4
	s_or_b64 exec, exec, s[68:69]
.LBB6_1401:                             ;   in Loop: Header=BB6_804 Depth=4
	s_or_b64 exec, exec, s[66:67]
                                        ; implicit-def: $vgpr8
.LBB6_1402:                             ;   in Loop: Header=BB6_804 Depth=4
	s_andn2_saveexec_b64 s[28:29], s[64:65]
; %bb.1403:                             ;   in Loop: Header=BB6_804 Depth=4
	v_or_b32_sdwa v3, v8, s92 dst_sel:DWORD dst_unused:UNUSED_PAD src0_sel:BYTE_3 src1_sel:DWORD
	v_cmp_eq_u64_e32 vcc, 0, v[26:27]
	v_cndmask_b32_e32 v17, v3, v17, vcc
; %bb.1404:                             ;   in Loop: Header=BB6_804 Depth=4
	s_or_b64 exec, exec, s[28:29]
	v_lshrrev_b16_e32 v8, 8, v14
	v_cmp_ne_u16_e32 vcc, 0, v8
	v_mov_b32_e32 v3, 0
	v_mov_b32_e32 v9, 0
	s_and_saveexec_b64 s[28:29], vcc
	s_cbranch_execz .LBB6_1410
; %bb.1405:                             ;   in Loop: Header=BB6_804 Depth=4
	v_cmp_ne_u16_e32 vcc, s91, v8
	v_bfrev_b32_e32 v9, 1
	s_and_saveexec_b64 s[64:65], vcc
	s_cbranch_execz .LBB6_1409
; %bb.1406:                             ;   in Loop: Header=BB6_804 Depth=4
	v_and_b32_e32 v12, 0x7f, v8
	v_cmp_ne_u32_e32 vcc, s92, v12
	v_mov_b32_e32 v9, 0x7f800001
	s_and_saveexec_b64 s[66:67], vcc
	s_cbranch_execz .LBB6_1408
; %bb.1407:                             ;   in Loop: Header=BB6_804 Depth=4
	v_and_b32_e32 v26, 7, v8
	v_ffbh_u32_e32 v9, v26
	v_min_u32_e32 v32, 32, v9
	v_subrev_u32_e32 v9, 28, v32
	v_lshlrev_b64 v[8:9], v9, v[8:9]
	v_lshrrev_b32_e32 v29, 3, v12
	v_sub_u32_e32 v9, 29, v32
	v_and_b32_e32 v8, 7, v8
	v_cmp_gt_u32_e32 vcc, 8, v12
	v_cndmask_b32_e32 v9, v29, v9, vcc
	v_cndmask_b32_e32 v8, v26, v8, vcc
	v_lshlrev_b32_e32 v12, 16, v14
	v_lshlrev_b32_e32 v8, 20, v8
	v_and_b32_e32 v12, 0x80000000, v12
	v_lshl_add_u32 v9, v9, 23, v31
	v_or3_b32 v9, v12, v9, v8
.LBB6_1408:                             ;   in Loop: Header=BB6_804 Depth=4
	s_or_b64 exec, exec, s[66:67]
.LBB6_1409:                             ;   in Loop: Header=BB6_804 Depth=4
	s_or_b64 exec, exec, s[64:65]
.LBB6_1410:                             ;   in Loop: Header=BB6_804 Depth=4
	s_or_b64 exec, exec, s[28:29]
	v_lshrrev_b16_e32 v8, 8, v10
	v_cmp_ne_u16_e32 vcc, 0, v8
	s_and_saveexec_b64 s[28:29], vcc
	s_cbranch_execz .LBB6_1416
; %bb.1411:                             ;   in Loop: Header=BB6_804 Depth=4
	v_cmp_ne_u16_e32 vcc, s91, v8
	v_bfrev_b32_e32 v3, 1
	s_and_saveexec_b64 s[64:65], vcc
	s_cbranch_execz .LBB6_1415
; %bb.1412:                             ;   in Loop: Header=BB6_804 Depth=4
	v_and_b32_e32 v12, 0x7f, v8
	v_cmp_ne_u32_e32 vcc, s92, v12
	v_mov_b32_e32 v3, 0x7f800001
	s_and_saveexec_b64 s[66:67], vcc
	s_cbranch_execz .LBB6_1414
; %bb.1413:                             ;   in Loop: Header=BB6_804 Depth=4
	v_and_b32_e32 v3, 7, v8
	v_ffbh_u32_e32 v29, v3
	v_min_u32_e32 v29, 32, v29
	v_subrev_u32_e32 v32, 28, v29
	v_lshlrev_b64 v[50:51], v32, v[8:9]
	v_lshrrev_b32_e32 v26, 3, v12
	v_sub_u32_e32 v8, 29, v29
	v_and_b32_e32 v29, 7, v50
	v_cmp_gt_u32_e32 vcc, 8, v12
	v_cndmask_b32_e32 v8, v26, v8, vcc
	v_cndmask_b32_e32 v3, v3, v29, vcc
	v_lshlrev_b32_e32 v12, 16, v10
	v_lshlrev_b32_e32 v3, 20, v3
	v_and_b32_e32 v12, 0x80000000, v12
	v_lshl_add_u32 v8, v8, 23, v31
	v_or3_b32 v3, v12, v8, v3
.LBB6_1414:                             ;   in Loop: Header=BB6_804 Depth=4
	s_or_b64 exec, exec, s[66:67]
.LBB6_1415:                             ;   in Loop: Header=BB6_804 Depth=4
	s_or_b64 exec, exec, s[64:65]
.LBB6_1416:                             ;   in Loop: Header=BB6_804 Depth=4
	s_or_b64 exec, exec, s[28:29]
	v_add_f32_e32 v8, v9, v3
	v_and_b32_sdwa v3, v8, s91 dst_sel:DWORD dst_unused:UNUSED_PAD src0_sel:BYTE_3 src1_sel:DWORD
	v_and_b32_e32 v50, 0x7f800000, v8
	v_mov_b32_e32 v51, v27
	v_and_b32_e32 v26, 0x7fffff, v8
	v_or_b32_e32 v54, 0x7e, v3
	v_cmp_ne_u64_e32 vcc, s[52:53], v[50:51]
	s_and_saveexec_b64 s[28:29], vcc
	s_xor_b64 s[64:65], exec, s[28:29]
	s_cbranch_execz .LBB6_1426
; %bb.1417:                             ;   in Loop: Header=BB6_804 Depth=4
	v_and_b32_e32 v50, 0x7fffffff, v8
	v_mov_b32_e32 v51, v27
	v_cmp_gt_u64_e32 vcc, s[54:55], v[50:51]
	s_and_saveexec_b64 s[66:67], vcc
	s_cbranch_execz .LBB6_1425
; %bb.1418:                             ;   in Loop: Header=BB6_804 Depth=4
	v_cmp_ne_u32_e32 vcc, 0, v8
	v_mov_b32_e32 v54, 0
	s_and_saveexec_b64 s[68:69], vcc
	s_cbranch_execz .LBB6_1424
; %bb.1419:                             ;   in Loop: Header=BB6_804 Depth=4
	v_bfe_u32 v8, v8, 23, 8
	v_sub_u32_e32 v12, 0x79, v8
	v_cmp_gt_u32_e32 vcc, s93, v8
	v_add_u32_e32 v9, 0xffffff81, v8
	v_cndmask_b32_e32 v12, 0, v12, vcc
	v_cmp_eq_u32_e32 vcc, 0, v8
	v_mov_b32_e32 v0, 0xffffff82
	v_cndmask_b32_e32 v32, v9, v0, vcc
	v_mov_b32_e32 v0, 0x78
	v_cndmask_b32_e32 v12, v12, v0, vcc
	v_or_b32_e32 v29, 0x800000, v26
	v_add_u32_e32 v8, 20, v12
	v_cndmask_b32_e32 v26, v29, v26, vcc
	v_lshlrev_b64 v[8:9], v8, -1
	v_not_b32_e32 v8, v8
	v_lshrrev_b64 v[54:55], v12, v[26:27]
	v_not_b32_e32 v9, v9
	v_and_b32_e32 v8, v26, v8
	v_add_u32_e32 v29, 19, v12
	v_lshrrev_b32_e32 v26, 23, v54
	v_and_b32_e32 v9, 0, v9
	v_lshlrev_b64 v[50:51], v29, 1
	v_add3_u32 v29, v12, v32, v26
	v_bfe_u32 v12, v54, 20, 1
	v_add_u32_e32 v12, -1, v12
	v_cmp_eq_u64_e32 vcc, v[8:9], v[50:51]
	v_cndmask_b32_e32 v8, 0, v12, vcc
	v_add_u32_e32 v8, v8, v54
	v_and_b32_e32 v8, 0xfffff, v8
	v_add_co_u32_e32 v8, vcc, v8, v54
	v_add_u32_e32 v26, 6, v29
	v_addc_co_u32_e32 v9, vcc, 0, v55, vcc
	v_cmp_ne_u32_e32 vcc, 0, v26
                                        ; implicit-def: $vgpr12
	s_and_saveexec_b64 s[28:29], vcc
	s_xor_b64 s[28:29], exec, s[28:29]
; %bb.1420:                             ;   in Loop: Header=BB6_804 Depth=4
	v_add_u32_e32 v12, 7, v29
	v_cmp_lt_u64_e32 vcc, s[56:57], v[8:9]
	v_cndmask_b32_e32 v12, v26, v12, vcc
	v_cndmask_b32_e64 v26, 0, 1, vcc
	v_lshrrev_b64 v[8:9], v26, v[8:9]
; %bb.1421:                             ;   in Loop: Header=BB6_804 Depth=4
	s_andn2_saveexec_b64 s[28:29], s[28:29]
; %bb.1422:                             ;   in Loop: Header=BB6_804 Depth=4
	v_bfe_u32 v12, v8, 23, 1
; %bb.1423:                             ;   in Loop: Header=BB6_804 Depth=4
	s_or_b64 exec, exec, s[28:29]
	v_lshrrev_b64 v[8:9], 20, v[8:9]
	v_cmp_gt_i32_e32 vcc, 16, v12
	v_cndmask_b32_e32 v9, 0, v9, vcc
	v_cndmask_b32_e32 v8, 7, v8, vcc
	v_cmp_eq_u64_e64 s[28:29], 0, v[8:9]
	v_min_i32_e32 v9, 15, v12
	v_cmp_eq_u32_e32 vcc, 0, v12
	v_lshlrev_b32_e32 v9, 3, v9
	v_and_or_b32 v8, v8, 7, v9
	s_and_b64 s[28:29], vcc, s[28:29]
	v_cndmask_b32_e64 v8, v8, 0, s[28:29]
	v_or_b32_e32 v54, v8, v3
.LBB6_1424:                             ;   in Loop: Header=BB6_804 Depth=4
	s_or_b64 exec, exec, s[68:69]
.LBB6_1425:                             ;   in Loop: Header=BB6_804 Depth=4
	s_or_b64 exec, exec, s[66:67]
                                        ; implicit-def: $vgpr8
.LBB6_1426:                             ;   in Loop: Header=BB6_804 Depth=4
	s_andn2_saveexec_b64 s[28:29], s[64:65]
; %bb.1427:                             ;   in Loop: Header=BB6_804 Depth=4
	v_or_b32_sdwa v3, v8, s92 dst_sel:DWORD dst_unused:UNUSED_PAD src0_sel:BYTE_3 src1_sel:DWORD
	v_cmp_eq_u64_e32 vcc, 0, v[26:27]
	v_cndmask_b32_e32 v54, v3, v54, vcc
; %bb.1428:                             ;   in Loop: Header=BB6_804 Depth=4
	s_or_b64 exec, exec, s[28:29]
	v_lshrrev_b32_e32 v8, 16, v14
	v_cmp_ne_u16_sdwa vcc, v8, v27 src0_sel:BYTE_0 src1_sel:DWORD
	v_mov_b32_e32 v3, 0
	v_mov_b32_e32 v9, 0
	s_and_saveexec_b64 s[28:29], vcc
	s_cbranch_execz .LBB6_1434
; %bb.1429:                             ;   in Loop: Header=BB6_804 Depth=4
	v_cmp_ne_u16_sdwa vcc, v8, s91 src0_sel:BYTE_0 src1_sel:DWORD
	v_bfrev_b32_e32 v9, 1
	s_and_saveexec_b64 s[64:65], vcc
	s_cbranch_execz .LBB6_1433
; %bb.1430:                             ;   in Loop: Header=BB6_804 Depth=4
	v_bfe_u32 v12, v14, 16, 7
	v_cmp_ne_u32_e32 vcc, s92, v12
	v_mov_b32_e32 v9, 0x7f800001
	s_and_saveexec_b64 s[66:67], vcc
	s_cbranch_execz .LBB6_1432
; %bb.1431:                             ;   in Loop: Header=BB6_804 Depth=4
	v_and_b32_e32 v9, 7, v8
	v_ffbh_u32_e32 v29, v9
	v_min_u32_e32 v29, 32, v29
	v_subrev_u32_e32 v32, 28, v29
	v_lshlrev_b64 v[50:51], v32, v[8:9]
	v_lshrrev_b32_e32 v26, 3, v12
	v_sub_u32_e32 v29, 29, v29
	v_and_b32_e32 v32, 7, v50
	v_cmp_gt_u32_e32 vcc, 8, v12
	v_cndmask_b32_e32 v12, v26, v29, vcc
	v_cndmask_b32_e32 v9, v9, v32, vcc
	v_lshlrev_b32_e32 v8, 24, v8
	v_lshlrev_b32_e32 v9, 20, v9
	v_and_b32_e32 v8, 0x80000000, v8
	v_lshl_add_u32 v12, v12, 23, v31
	v_or3_b32 v9, v8, v12, v9
.LBB6_1432:                             ;   in Loop: Header=BB6_804 Depth=4
	s_or_b64 exec, exec, s[66:67]
.LBB6_1433:                             ;   in Loop: Header=BB6_804 Depth=4
	s_or_b64 exec, exec, s[64:65]
.LBB6_1434:                             ;   in Loop: Header=BB6_804 Depth=4
	s_or_b64 exec, exec, s[28:29]
	v_lshrrev_b32_e32 v8, 16, v10
	v_cmp_ne_u16_sdwa vcc, v8, v27 src0_sel:BYTE_0 src1_sel:DWORD
	s_and_saveexec_b64 s[28:29], vcc
	s_cbranch_execz .LBB6_1440
; %bb.1435:                             ;   in Loop: Header=BB6_804 Depth=4
	v_cmp_ne_u16_sdwa vcc, v8, s91 src0_sel:BYTE_0 src1_sel:DWORD
	v_bfrev_b32_e32 v3, 1
	s_and_saveexec_b64 s[64:65], vcc
	s_cbranch_execz .LBB6_1439
; %bb.1436:                             ;   in Loop: Header=BB6_804 Depth=4
	v_bfe_u32 v12, v10, 16, 7
	v_cmp_ne_u32_e32 vcc, s92, v12
	v_mov_b32_e32 v3, 0x7f800001
	s_and_saveexec_b64 s[66:67], vcc
	s_cbranch_execz .LBB6_1438
; %bb.1437:                             ;   in Loop: Header=BB6_804 Depth=4
	v_and_b32_e32 v3, 7, v8
	v_ffbh_u32_e32 v29, v3
	v_min_u32_e32 v29, 32, v29
	v_subrev_u32_e32 v32, 28, v29
	v_lshlrev_b64 v[50:51], v32, v[8:9]
	v_lshrrev_b32_e32 v26, 3, v12
	v_sub_u32_e32 v8, 29, v29
	v_and_b32_e32 v29, 7, v50
	v_cmp_gt_u32_e32 vcc, 8, v12
	v_cndmask_b32_e32 v8, v26, v8, vcc
	v_cndmask_b32_e32 v3, v3, v29, vcc
	v_lshlrev_b32_e32 v12, 8, v10
	v_lshlrev_b32_e32 v3, 20, v3
	v_and_b32_e32 v12, 0x80000000, v12
	v_lshl_add_u32 v8, v8, 23, v31
	v_or3_b32 v3, v12, v8, v3
.LBB6_1438:                             ;   in Loop: Header=BB6_804 Depth=4
	s_or_b64 exec, exec, s[66:67]
.LBB6_1439:                             ;   in Loop: Header=BB6_804 Depth=4
	s_or_b64 exec, exec, s[64:65]
.LBB6_1440:                             ;   in Loop: Header=BB6_804 Depth=4
	s_or_b64 exec, exec, s[28:29]
	v_add_f32_e32 v8, v9, v3
	v_and_b32_sdwa v12, v8, s91 dst_sel:DWORD dst_unused:UNUSED_PAD src0_sel:BYTE_3 src1_sel:DWORD
	v_and_b32_e32 v50, 0x7f800000, v8
	v_mov_b32_e32 v51, v27
	v_and_b32_e32 v26, 0x7fffff, v8
	v_or_b32_e32 v3, 0x7e, v12
	v_cmp_ne_u64_e32 vcc, s[52:53], v[50:51]
	s_and_saveexec_b64 s[28:29], vcc
	s_xor_b64 s[64:65], exec, s[28:29]
	s_cbranch_execz .LBB6_1450
; %bb.1441:                             ;   in Loop: Header=BB6_804 Depth=4
	v_and_b32_e32 v50, 0x7fffffff, v8
	v_mov_b32_e32 v51, v27
	v_cmp_gt_u64_e32 vcc, s[54:55], v[50:51]
	s_and_saveexec_b64 s[66:67], vcc
	s_cbranch_execz .LBB6_1449
; %bb.1442:                             ;   in Loop: Header=BB6_804 Depth=4
	v_cmp_ne_u32_e32 vcc, 0, v8
	v_mov_b32_e32 v3, 0
	s_and_saveexec_b64 s[68:69], vcc
	s_cbranch_execz .LBB6_1448
; %bb.1443:                             ;   in Loop: Header=BB6_804 Depth=4
	v_bfe_u32 v3, v8, 23, 8
	v_sub_u32_e32 v9, 0x79, v3
	v_cmp_gt_u32_e32 vcc, s93, v3
	v_add_u32_e32 v8, 0xffffff81, v3
	v_cndmask_b32_e32 v9, 0, v9, vcc
	v_cmp_eq_u32_e32 vcc, 0, v3
	v_mov_b32_e32 v0, 0xffffff82
	v_cndmask_b32_e32 v3, v8, v0, vcc
	v_mov_b32_e32 v0, 0x78
	v_cndmask_b32_e32 v32, v9, v0, vcc
	v_or_b32_e32 v29, 0x800000, v26
	v_add_u32_e32 v8, 20, v32
	v_cndmask_b32_e32 v26, v29, v26, vcc
	v_lshlrev_b64 v[8:9], v8, -1
	v_not_b32_e32 v8, v8
	v_lshrrev_b64 v[42:43], v32, v[26:27]
	v_not_b32_e32 v9, v9
	v_and_b32_e32 v8, v26, v8
	v_add_u32_e32 v29, 19, v32
	v_lshrrev_b32_e32 v26, 23, v42
	v_and_b32_e32 v9, 0, v9
	v_lshlrev_b64 v[50:51], v29, 1
	v_add3_u32 v29, v32, v3, v26
	v_bfe_u32 v3, v42, 20, 1
	v_add_u32_e32 v3, -1, v3
	v_cmp_eq_u64_e32 vcc, v[8:9], v[50:51]
	v_cndmask_b32_e32 v3, 0, v3, vcc
	v_add_u32_e32 v3, v3, v42
	v_and_b32_e32 v3, 0xfffff, v3
	v_add_co_u32_e32 v8, vcc, v3, v42
	v_add_u32_e32 v26, 6, v29
	v_addc_co_u32_e32 v9, vcc, 0, v43, vcc
	v_cmp_ne_u32_e32 vcc, 0, v26
                                        ; implicit-def: $vgpr3
	s_and_saveexec_b64 s[28:29], vcc
	s_xor_b64 s[28:29], exec, s[28:29]
; %bb.1444:                             ;   in Loop: Header=BB6_804 Depth=4
	v_add_u32_e32 v3, 7, v29
	v_cmp_lt_u64_e32 vcc, s[56:57], v[8:9]
	v_cndmask_b32_e32 v3, v26, v3, vcc
	v_cndmask_b32_e64 v26, 0, 1, vcc
	v_lshrrev_b64 v[8:9], v26, v[8:9]
; %bb.1445:                             ;   in Loop: Header=BB6_804 Depth=4
	s_andn2_saveexec_b64 s[28:29], s[28:29]
; %bb.1446:                             ;   in Loop: Header=BB6_804 Depth=4
	v_bfe_u32 v3, v8, 23, 1
; %bb.1447:                             ;   in Loop: Header=BB6_804 Depth=4
	s_or_b64 exec, exec, s[28:29]
	v_lshrrev_b64 v[8:9], 20, v[8:9]
	v_cmp_gt_i32_e32 vcc, 16, v3
	v_cndmask_b32_e32 v9, 0, v9, vcc
	v_cndmask_b32_e32 v8, 7, v8, vcc
	v_cmp_eq_u32_e32 vcc, 0, v3
	v_min_i32_e32 v3, 15, v3
	v_cmp_eq_u64_e64 s[28:29], 0, v[8:9]
	v_lshlrev_b32_e32 v3, 3, v3
	v_and_or_b32 v3, v8, 7, v3
	s_and_b64 s[28:29], vcc, s[28:29]
	v_cndmask_b32_e64 v3, v3, 0, s[28:29]
	v_or_b32_e32 v3, v3, v12
.LBB6_1448:                             ;   in Loop: Header=BB6_804 Depth=4
	s_or_b64 exec, exec, s[68:69]
.LBB6_1449:                             ;   in Loop: Header=BB6_804 Depth=4
	s_or_b64 exec, exec, s[66:67]
                                        ; implicit-def: $vgpr8
.LBB6_1450:                             ;   in Loop: Header=BB6_804 Depth=4
	s_andn2_saveexec_b64 s[28:29], s[64:65]
; %bb.1451:                             ;   in Loop: Header=BB6_804 Depth=4
	v_or_b32_sdwa v8, v8, s92 dst_sel:DWORD dst_unused:UNUSED_PAD src0_sel:BYTE_3 src1_sel:DWORD
	v_cmp_eq_u64_e32 vcc, 0, v[26:27]
	v_cndmask_b32_e32 v3, v8, v3, vcc
; %bb.1452:                             ;   in Loop: Header=BB6_804 Depth=4
	s_or_b64 exec, exec, s[28:29]
	v_cmp_lt_u32_e32 vcc, s43, v14
	v_mov_b32_e32 v9, 0
	v_mov_b32_e32 v12, 0
	s_and_saveexec_b64 s[28:29], vcc
	s_cbranch_execz .LBB6_1458
; %bb.1453:                             ;   in Loop: Header=BB6_804 Depth=4
	v_lshrrev_b32_e32 v8, 24, v14
	v_cmp_ne_u32_e32 vcc, s91, v8
	v_bfrev_b32_e32 v12, 1
	s_and_saveexec_b64 s[64:65], vcc
	s_cbranch_execz .LBB6_1457
; %bb.1454:                             ;   in Loop: Header=BB6_804 Depth=4
	v_bfe_u32 v26, v14, 24, 7
	v_cmp_ne_u32_e32 vcc, s92, v26
	v_mov_b32_e32 v12, 0x7f800001
	s_and_saveexec_b64 s[66:67], vcc
	s_cbranch_execz .LBB6_1456
; %bb.1455:                             ;   in Loop: Header=BB6_804 Depth=4
	v_and_b32_e32 v12, 7, v8
	v_ffbh_u32_e32 v32, v12
	v_min_u32_e32 v32, 32, v32
	v_subrev_u32_e32 v33, 28, v32
	v_lshlrev_b64 v[50:51], v33, v[8:9]
	v_lshrrev_b32_e32 v29, 3, v26
	v_sub_u32_e32 v32, 29, v32
	v_and_b32_e32 v33, 7, v50
	v_cmp_gt_u32_e32 vcc, 8, v26
	v_cndmask_b32_e32 v26, v29, v32, vcc
	v_cndmask_b32_e32 v12, v12, v33, vcc
	v_lshlrev_b32_e32 v8, 24, v8
	v_lshlrev_b32_e32 v12, 20, v12
	v_and_b32_e32 v8, 0x80000000, v8
	v_lshl_add_u32 v26, v26, 23, v31
	v_or3_b32 v12, v8, v26, v12
.LBB6_1456:                             ;   in Loop: Header=BB6_804 Depth=4
	s_or_b64 exec, exec, s[66:67]
.LBB6_1457:                             ;   in Loop: Header=BB6_804 Depth=4
	s_or_b64 exec, exec, s[64:65]
.LBB6_1458:                             ;   in Loop: Header=BB6_804 Depth=4
	s_or_b64 exec, exec, s[28:29]
	v_cmp_lt_u32_e32 vcc, s43, v10
	s_and_saveexec_b64 s[28:29], vcc
	s_cbranch_execz .LBB6_1464
; %bb.1459:                             ;   in Loop: Header=BB6_804 Depth=4
	v_lshrrev_b32_e32 v8, 24, v10
	v_cmp_ne_u32_e32 vcc, s91, v8
	v_bfrev_b32_e32 v9, 1
	s_and_saveexec_b64 s[64:65], vcc
	s_cbranch_execz .LBB6_1463
; %bb.1460:                             ;   in Loop: Header=BB6_804 Depth=4
	v_bfe_u32 v26, v10, 24, 7
	v_cmp_ne_u32_e32 vcc, s92, v26
	v_mov_b32_e32 v9, 0x7f800001
	s_and_saveexec_b64 s[66:67], vcc
	s_cbranch_execz .LBB6_1462
; %bb.1461:                             ;   in Loop: Header=BB6_804 Depth=4
	v_and_b32_e32 v9, 7, v8
	v_ffbh_u32_e32 v32, v9
	v_min_u32_e32 v32, 32, v32
	v_subrev_u32_e32 v33, 28, v32
	v_lshlrev_b64 v[50:51], v33, v[8:9]
	v_lshrrev_b32_e32 v29, 3, v26
	v_sub_u32_e32 v32, 29, v32
	v_and_b32_e32 v33, 7, v50
	v_cmp_gt_u32_e32 vcc, 8, v26
	v_cndmask_b32_e32 v26, v29, v32, vcc
	v_cndmask_b32_e32 v9, v9, v33, vcc
	v_lshlrev_b32_e32 v8, 24, v8
	v_lshlrev_b32_e32 v9, 20, v9
	v_and_b32_e32 v8, 0x80000000, v8
	v_lshl_add_u32 v26, v26, 23, v31
	v_or3_b32 v9, v8, v26, v9
.LBB6_1462:                             ;   in Loop: Header=BB6_804 Depth=4
	s_or_b64 exec, exec, s[66:67]
.LBB6_1463:                             ;   in Loop: Header=BB6_804 Depth=4
	s_or_b64 exec, exec, s[64:65]
.LBB6_1464:                             ;   in Loop: Header=BB6_804 Depth=4
	s_or_b64 exec, exec, s[28:29]
	v_add_f32_e32 v8, v12, v9
	v_and_b32_sdwa v12, v8, s91 dst_sel:DWORD dst_unused:UNUSED_PAD src0_sel:BYTE_3 src1_sel:DWORD
	v_and_b32_e32 v50, 0x7f800000, v8
	v_mov_b32_e32 v51, v27
	v_and_b32_e32 v26, 0x7fffff, v8
	v_or_b32_e32 v43, 0x7e, v12
	v_cmp_ne_u64_e32 vcc, s[52:53], v[50:51]
	s_and_saveexec_b64 s[28:29], vcc
	s_xor_b64 s[64:65], exec, s[28:29]
	s_cbranch_execz .LBB6_1474
; %bb.1465:                             ;   in Loop: Header=BB6_804 Depth=4
	v_and_b32_e32 v50, 0x7fffffff, v8
	v_mov_b32_e32 v51, v27
	v_cmp_gt_u64_e32 vcc, s[54:55], v[50:51]
	s_and_saveexec_b64 s[66:67], vcc
	s_cbranch_execz .LBB6_1473
; %bb.1466:                             ;   in Loop: Header=BB6_804 Depth=4
	v_cmp_ne_u32_e32 vcc, 0, v8
	v_mov_b32_e32 v43, 0
	s_and_saveexec_b64 s[68:69], vcc
	s_cbranch_execz .LBB6_1472
; %bb.1467:                             ;   in Loop: Header=BB6_804 Depth=4
	v_bfe_u32 v8, v8, 23, 8
	v_sub_u32_e32 v29, 0x79, v8
	v_cmp_gt_u32_e32 vcc, s93, v8
	v_add_u32_e32 v9, 0xffffff81, v8
	v_cndmask_b32_e32 v29, 0, v29, vcc
	v_cmp_eq_u32_e32 vcc, 0, v8
	v_mov_b32_e32 v0, 0xffffff82
	v_cndmask_b32_e32 v34, v9, v0, vcc
	v_mov_b32_e32 v0, 0x78
	v_cndmask_b32_e32 v29, v29, v0, vcc
	v_or_b32_e32 v32, 0x800000, v26
	v_add_u32_e32 v8, 20, v29
	v_cndmask_b32_e32 v26, v32, v26, vcc
	v_lshlrev_b64 v[8:9], v8, -1
	v_add_u32_e32 v32, 19, v29
	v_not_b32_e32 v8, v8
	v_lshlrev_b64 v[42:43], v32, 1
	v_lshrrev_b64 v[32:33], v29, v[26:27]
	v_not_b32_e32 v9, v9
	v_and_b32_e32 v8, v26, v8
	v_lshrrev_b32_e32 v26, 23, v32
	v_and_b32_e32 v9, 0, v9
	v_add3_u32 v50, v29, v34, v26
	v_bfe_u32 v26, v32, 20, 1
	v_add_u32_e32 v26, -1, v26
	v_cmp_eq_u64_e32 vcc, v[8:9], v[42:43]
	v_cndmask_b32_e32 v8, 0, v26, vcc
	v_add_u32_e32 v8, v8, v32
	v_and_b32_e32 v8, 0xfffff, v8
	v_add_co_u32_e32 v8, vcc, v8, v32
	v_add_u32_e32 v29, 6, v50
	v_addc_co_u32_e32 v9, vcc, 0, v33, vcc
	v_cmp_ne_u32_e32 vcc, 0, v29
                                        ; implicit-def: $vgpr26
	s_and_saveexec_b64 s[28:29], vcc
	s_xor_b64 s[28:29], exec, s[28:29]
; %bb.1468:                             ;   in Loop: Header=BB6_804 Depth=4
	v_add_u32_e32 v26, 7, v50
	v_cmp_lt_u64_e32 vcc, s[56:57], v[8:9]
	v_cndmask_b32_e32 v26, v29, v26, vcc
	v_cndmask_b32_e64 v29, 0, 1, vcc
	v_lshrrev_b64 v[8:9], v29, v[8:9]
; %bb.1469:                             ;   in Loop: Header=BB6_804 Depth=4
	s_andn2_saveexec_b64 s[28:29], s[28:29]
; %bb.1470:                             ;   in Loop: Header=BB6_804 Depth=4
	v_bfe_u32 v26, v8, 23, 1
; %bb.1471:                             ;   in Loop: Header=BB6_804 Depth=4
	s_or_b64 exec, exec, s[28:29]
	v_lshrrev_b64 v[8:9], 20, v[8:9]
	v_cmp_gt_i32_e32 vcc, 16, v26
	v_cndmask_b32_e32 v9, 0, v9, vcc
	v_cndmask_b32_e32 v8, 7, v8, vcc
	v_cmp_eq_u64_e64 s[28:29], 0, v[8:9]
	v_min_i32_e32 v9, 15, v26
	v_cmp_eq_u32_e32 vcc, 0, v26
	v_lshlrev_b32_e32 v9, 3, v9
	v_and_or_b32 v8, v8, 7, v9
	s_and_b64 s[28:29], vcc, s[28:29]
	v_cndmask_b32_e64 v8, v8, 0, s[28:29]
	v_or_b32_e32 v43, v8, v12
.LBB6_1472:                             ;   in Loop: Header=BB6_804 Depth=4
	s_or_b64 exec, exec, s[68:69]
.LBB6_1473:                             ;   in Loop: Header=BB6_804 Depth=4
	s_or_b64 exec, exec, s[66:67]
                                        ; implicit-def: $vgpr8
.LBB6_1474:                             ;   in Loop: Header=BB6_804 Depth=4
	s_andn2_saveexec_b64 s[28:29], s[64:65]
; %bb.1475:                             ;   in Loop: Header=BB6_804 Depth=4
	v_or_b32_sdwa v8, v8, s92 dst_sel:DWORD dst_unused:UNUSED_PAD src0_sel:BYTE_3 src1_sel:DWORD
	v_cmp_eq_u64_e32 vcc, 0, v[26:27]
	v_cndmask_b32_e32 v43, v8, v43, vcc
; %bb.1476:                             ;   in Loop: Header=BB6_804 Depth=4
	s_or_b64 exec, exec, s[28:29]
	v_mov_b32_e32 v26, v15
	v_cmp_ne_u16_sdwa vcc, v15, v27 src0_sel:BYTE_0 src1_sel:DWORD
	v_mov_b32_e32 v9, 0
	v_mov_b32_e32 v8, 0
	s_and_saveexec_b64 s[28:29], vcc
	s_cbranch_execz .LBB6_1482
; %bb.1477:                             ;   in Loop: Header=BB6_804 Depth=4
	v_cmp_ne_u16_sdwa vcc, v15, s91 src0_sel:BYTE_0 src1_sel:DWORD
	v_bfrev_b32_e32 v8, 1
	s_and_saveexec_b64 s[64:65], vcc
	s_cbranch_execz .LBB6_1481
; %bb.1478:                             ;   in Loop: Header=BB6_804 Depth=4
	v_and_b32_e32 v12, 0x7f, v15
	v_cmp_ne_u32_e32 vcc, s92, v12
	v_mov_b32_e32 v8, 0x7f800001
	s_and_saveexec_b64 s[66:67], vcc
	s_cbranch_execz .LBB6_1480
; %bb.1479:                             ;   in Loop: Header=BB6_804 Depth=4
	v_and_b32_e32 v8, 7, v15
	v_ffbh_u32_e32 v8, v8
	v_min_u32_e32 v8, 32, v8
	v_subrev_u32_e32 v32, 28, v8
	v_cmp_gt_u32_e32 vcc, 8, v12
	v_lshrrev_b32_e32 v29, 3, v12
	v_cndmask_b32_e32 v12, 0, v32, vcc
	v_sub_u32_e32 v8, 29, v8
	v_lshlrev_b64 v[32:33], v12, v[26:27]
	v_cndmask_b32_e32 v8, v29, v8, vcc
	v_lshlrev_b32_e32 v12, 20, v32
	v_lshlrev_b32_e32 v29, 24, v26
	v_and_b32_e32 v12, 0x700000, v12
	v_and_b32_e32 v29, 0x80000000, v29
	v_lshl_add_u32 v8, v8, 23, v31
	v_or3_b32 v8, v29, v8, v12
.LBB6_1480:                             ;   in Loop: Header=BB6_804 Depth=4
	s_or_b64 exec, exec, s[66:67]
.LBB6_1481:                             ;   in Loop: Header=BB6_804 Depth=4
	s_or_b64 exec, exec, s[64:65]
.LBB6_1482:                             ;   in Loop: Header=BB6_804 Depth=4
	s_or_b64 exec, exec, s[28:29]
	v_cmp_ne_u16_sdwa vcc, v11, v27 src0_sel:BYTE_0 src1_sel:DWORD
	s_and_saveexec_b64 s[28:29], vcc
	s_cbranch_execz .LBB6_1488
; %bb.1483:                             ;   in Loop: Header=BB6_804 Depth=4
	v_cmp_ne_u16_sdwa vcc, v11, s91 src0_sel:BYTE_0 src1_sel:DWORD
	v_bfrev_b32_e32 v9, 1
	s_and_saveexec_b64 s[64:65], vcc
	s_cbranch_execz .LBB6_1487
; %bb.1484:                             ;   in Loop: Header=BB6_804 Depth=4
	v_and_b32_e32 v12, 0x7f, v11
	v_cmp_ne_u32_e32 vcc, s92, v12
	v_mov_b32_e32 v9, 0x7f800001
	s_and_saveexec_b64 s[66:67], vcc
	s_cbranch_execz .LBB6_1486
; %bb.1485:                             ;   in Loop: Header=BB6_804 Depth=4
	v_and_b32_e32 v9, 7, v11
	v_ffbh_u32_e32 v9, v9
	v_min_u32_e32 v9, 32, v9
	v_subrev_u32_e32 v34, 28, v9
	v_cmp_gt_u32_e32 vcc, 8, v12
	v_mov_b32_e32 v32, v11
	v_mov_b32_e32 v33, v27
	v_lshrrev_b32_e32 v29, 3, v12
	v_cndmask_b32_e32 v12, 0, v34, vcc
	v_sub_u32_e32 v9, 29, v9
	v_lshlrev_b64 v[50:51], v12, v[32:33]
	v_cndmask_b32_e32 v9, v29, v9, vcc
	v_lshlrev_b32_e32 v12, 20, v50
	v_lshlrev_b32_e32 v29, 24, v32
	v_and_b32_e32 v12, 0x700000, v12
	v_and_b32_e32 v29, 0x80000000, v29
	v_lshl_add_u32 v9, v9, 23, v31
	v_or3_b32 v9, v29, v9, v12
.LBB6_1486:                             ;   in Loop: Header=BB6_804 Depth=4
	s_or_b64 exec, exec, s[66:67]
.LBB6_1487:                             ;   in Loop: Header=BB6_804 Depth=4
	s_or_b64 exec, exec, s[64:65]
.LBB6_1488:                             ;   in Loop: Header=BB6_804 Depth=4
	s_or_b64 exec, exec, s[28:29]
	v_add_f32_e32 v50, v8, v9
	v_and_b32_sdwa v12, v50, s91 dst_sel:DWORD dst_unused:UNUSED_PAD src0_sel:BYTE_3 src1_sel:DWORD
	v_and_b32_e32 v32, 0x7f800000, v50
	v_mov_b32_e32 v33, v27
	v_and_b32_e32 v8, 0x7fffff, v50
	v_mov_b32_e32 v9, v27
	v_or_b32_e32 v29, 0x7e, v12
	v_cmp_ne_u64_e32 vcc, s[52:53], v[32:33]
	s_and_saveexec_b64 s[28:29], vcc
	s_xor_b64 s[64:65], exec, s[28:29]
	s_cbranch_execz .LBB6_1498
; %bb.1489:                             ;   in Loop: Header=BB6_804 Depth=4
	v_and_b32_e32 v32, 0x7fffffff, v50
	v_mov_b32_e32 v33, v27
	v_cmp_gt_u64_e32 vcc, s[54:55], v[32:33]
	s_and_saveexec_b64 s[66:67], vcc
	s_cbranch_execz .LBB6_1497
; %bb.1490:                             ;   in Loop: Header=BB6_804 Depth=4
	v_cmp_ne_u32_e32 vcc, 0, v50
	v_mov_b32_e32 v29, 0
	s_and_saveexec_b64 s[68:69], vcc
	s_cbranch_execz .LBB6_1496
; %bb.1491:                             ;   in Loop: Header=BB6_804 Depth=4
	v_bfe_u32 v29, v50, 23, 8
	v_sub_u32_e32 v33, 0x79, v29
	v_cmp_gt_u32_e32 vcc, s93, v29
	v_add_u32_e32 v32, 0xffffff81, v29
	v_cndmask_b32_e32 v33, 0, v33, vcc
	v_cmp_eq_u32_e32 vcc, 0, v29
	v_mov_b32_e32 v0, 0xffffff82
	v_cndmask_b32_e32 v29, v32, v0, vcc
	v_mov_b32_e32 v0, 0x78
	v_cndmask_b32_e32 v50, v33, v0, vcc
	v_add_u32_e32 v32, 20, v50
	v_or_b32_e32 v34, 0x800000, v8
	v_lshlrev_b64 v[32:33], v32, -1
	v_cndmask_b32_e32 v8, v34, v8, vcc
	v_not_b32_e32 v32, v32
	v_and_b32_e32 v32, v8, v32
	v_lshrrev_b64 v[8:9], v50, v[8:9]
	v_not_b32_e32 v33, v33
	v_add_u32_e32 v34, 19, v50
	v_lshrrev_b32_e32 v51, 23, v8
	v_and_b32_e32 v33, 0, v33
	v_lshlrev_b64 v[34:35], v34, 1
	v_add3_u32 v51, v50, v29, v51
	v_bfe_u32 v29, v8, 20, 1
	v_add_u32_e32 v29, -1, v29
	v_cmp_eq_u64_e32 vcc, v[32:33], v[34:35]
	v_cndmask_b32_e32 v29, 0, v29, vcc
	v_add_u32_e32 v29, v29, v8
	v_and_b32_e32 v29, 0xfffff, v29
	v_add_co_u32_e32 v8, vcc, v29, v8
	v_add_u32_e32 v50, 6, v51
	v_addc_co_u32_e32 v9, vcc, 0, v9, vcc
	v_cmp_ne_u32_e32 vcc, 0, v50
                                        ; implicit-def: $vgpr29
	s_and_saveexec_b64 s[28:29], vcc
	s_xor_b64 s[28:29], exec, s[28:29]
; %bb.1492:                             ;   in Loop: Header=BB6_804 Depth=4
	v_cmp_lt_u64_e32 vcc, s[56:57], v[8:9]
	v_add_u32_e32 v29, 7, v51
	v_cndmask_b32_e64 v32, 0, 1, vcc
	v_cndmask_b32_e32 v29, v50, v29, vcc
	v_lshrrev_b64 v[8:9], v32, v[8:9]
; %bb.1493:                             ;   in Loop: Header=BB6_804 Depth=4
	s_andn2_saveexec_b64 s[28:29], s[28:29]
; %bb.1494:                             ;   in Loop: Header=BB6_804 Depth=4
	v_bfe_u32 v29, v8, 23, 1
; %bb.1495:                             ;   in Loop: Header=BB6_804 Depth=4
	s_or_b64 exec, exec, s[28:29]
	v_lshrrev_b64 v[8:9], 20, v[8:9]
	v_cmp_gt_i32_e32 vcc, 16, v29
	v_cndmask_b32_e32 v9, 0, v9, vcc
	v_cndmask_b32_e32 v8, 7, v8, vcc
	v_cmp_eq_u64_e64 s[28:29], 0, v[8:9]
	v_min_i32_e32 v9, 15, v29
	v_cmp_eq_u32_e32 vcc, 0, v29
	v_lshlrev_b32_e32 v9, 3, v9
	v_and_or_b32 v8, v8, 7, v9
	s_and_b64 s[28:29], vcc, s[28:29]
	v_cndmask_b32_e64 v8, v8, 0, s[28:29]
	v_or_b32_e32 v29, v8, v12
.LBB6_1496:                             ;   in Loop: Header=BB6_804 Depth=4
	s_or_b64 exec, exec, s[68:69]
.LBB6_1497:                             ;   in Loop: Header=BB6_804 Depth=4
	s_or_b64 exec, exec, s[66:67]
                                        ; implicit-def: $vgpr50
                                        ; implicit-def: $vgpr8_vgpr9
.LBB6_1498:                             ;   in Loop: Header=BB6_804 Depth=4
	s_andn2_saveexec_b64 s[28:29], s[64:65]
; %bb.1499:                             ;   in Loop: Header=BB6_804 Depth=4
	v_or_b32_sdwa v12, v50, s92 dst_sel:DWORD dst_unused:UNUSED_PAD src0_sel:BYTE_3 src1_sel:DWORD
	v_cmp_eq_u64_e32 vcc, 0, v[8:9]
	v_cndmask_b32_e32 v29, v12, v29, vcc
; %bb.1500:                             ;   in Loop: Header=BB6_804 Depth=4
	s_or_b64 exec, exec, s[28:29]
	v_lshrrev_b16_e32 v8, 8, v26
	v_cmp_ne_u16_e32 vcc, 0, v8
	v_mov_b32_e32 v9, 0
	v_mov_b32_e32 v50, 0
	s_and_saveexec_b64 s[28:29], vcc
	s_cbranch_execz .LBB6_1506
; %bb.1501:                             ;   in Loop: Header=BB6_804 Depth=4
	v_cmp_ne_u16_e32 vcc, s91, v8
	v_bfrev_b32_e32 v50, 1
	s_and_saveexec_b64 s[64:65], vcc
	s_cbranch_execz .LBB6_1505
; %bb.1502:                             ;   in Loop: Header=BB6_804 Depth=4
	v_and_b32_e32 v12, 0x7f, v8
	v_cmp_ne_u32_e32 vcc, s92, v12
	v_mov_b32_e32 v50, 0x7f800001
	s_and_saveexec_b64 s[66:67], vcc
	s_cbranch_execz .LBB6_1504
; %bb.1503:                             ;   in Loop: Header=BB6_804 Depth=4
	v_and_b32_e32 v34, 7, v8
	v_ffbh_u32_e32 v32, v34
	v_min_u32_e32 v50, 32, v32
	v_subrev_u32_e32 v32, 28, v50
	v_lshlrev_b64 v[32:33], v32, v[8:9]
	v_lshrrev_b32_e32 v35, 3, v12
	v_sub_u32_e32 v8, 29, v50
	v_and_b32_e32 v32, 7, v32
	v_cmp_gt_u32_e32 vcc, 8, v12
	v_cndmask_b32_e32 v8, v35, v8, vcc
	v_cndmask_b32_e32 v12, v34, v32, vcc
	v_lshlrev_b32_e32 v26, 16, v26
	v_lshlrev_b32_e32 v12, 20, v12
	v_and_b32_e32 v26, 0x80000000, v26
	v_lshl_add_u32 v8, v8, 23, v31
	v_or3_b32 v50, v26, v8, v12
.LBB6_1504:                             ;   in Loop: Header=BB6_804 Depth=4
	s_or_b64 exec, exec, s[66:67]
.LBB6_1505:                             ;   in Loop: Header=BB6_804 Depth=4
	s_or_b64 exec, exec, s[64:65]
.LBB6_1506:                             ;   in Loop: Header=BB6_804 Depth=4
	s_or_b64 exec, exec, s[28:29]
	v_mov_b32_e32 v8, v11
	v_lshrrev_b16_e32 v12, 8, v8
	v_cmp_ne_u16_e32 vcc, 0, v12
	s_and_saveexec_b64 s[28:29], vcc
	s_cbranch_execz .LBB6_1512
; %bb.1507:                             ;   in Loop: Header=BB6_804 Depth=4
	v_cmp_ne_u16_e32 vcc, s91, v12
	v_bfrev_b32_e32 v9, 1
	s_and_saveexec_b64 s[64:65], vcc
	s_cbranch_execz .LBB6_1511
; %bb.1508:                             ;   in Loop: Header=BB6_804 Depth=4
	v_and_b32_e32 v26, 0x7f, v12
	v_cmp_ne_u32_e32 vcc, s92, v26
	v_mov_b32_e32 v9, 0x7f800001
	s_and_saveexec_b64 s[66:67], vcc
	s_cbranch_execz .LBB6_1510
; %bb.1509:                             ;   in Loop: Header=BB6_804 Depth=4
	v_and_b32_e32 v9, 7, v12
	v_ffbh_u32_e32 v32, v9
	v_min_u32_e32 v35, 32, v32
	v_subrev_u32_e32 v32, 28, v35
	v_lshlrev_b64 v[32:33], v32, v[12:13]
	v_lshrrev_b32_e32 v34, 3, v26
	v_sub_u32_e32 v12, 29, v35
	v_and_b32_e32 v32, 7, v32
	v_cmp_gt_u32_e32 vcc, 8, v26
	v_cndmask_b32_e32 v12, v34, v12, vcc
	v_cndmask_b32_e32 v9, v9, v32, vcc
	v_lshlrev_b32_e32 v8, 16, v8
	v_lshlrev_b32_e32 v9, 20, v9
	v_and_b32_e32 v8, 0x80000000, v8
	v_lshl_add_u32 v12, v12, 23, v31
	v_or3_b32 v9, v8, v12, v9
.LBB6_1510:                             ;   in Loop: Header=BB6_804 Depth=4
	s_or_b64 exec, exec, s[66:67]
.LBB6_1511:                             ;   in Loop: Header=BB6_804 Depth=4
	s_or_b64 exec, exec, s[64:65]
.LBB6_1512:                             ;   in Loop: Header=BB6_804 Depth=4
	s_or_b64 exec, exec, s[28:29]
	v_add_f32_e32 v8, v50, v9
	v_and_b32_sdwa v50, v8, s91 dst_sel:DWORD dst_unused:UNUSED_PAD src0_sel:BYTE_3 src1_sel:DWORD
	v_and_b32_e32 v32, 0x7f800000, v8
	v_mov_b32_e32 v33, v27
	v_and_b32_e32 v26, 0x7fffff, v8
	v_or_b32_e32 v12, 0x7e, v50
	v_cmp_ne_u64_e32 vcc, s[52:53], v[32:33]
	s_and_saveexec_b64 s[28:29], vcc
	s_xor_b64 s[64:65], exec, s[28:29]
	s_cbranch_execz .LBB6_1522
; %bb.1513:                             ;   in Loop: Header=BB6_804 Depth=4
	v_and_b32_e32 v32, 0x7fffffff, v8
	v_mov_b32_e32 v33, v27
	v_cmp_gt_u64_e32 vcc, s[54:55], v[32:33]
	s_and_saveexec_b64 s[66:67], vcc
	s_cbranch_execz .LBB6_1521
; %bb.1514:                             ;   in Loop: Header=BB6_804 Depth=4
	v_cmp_ne_u32_e32 vcc, 0, v8
	v_mov_b32_e32 v12, 0
	s_and_saveexec_b64 s[68:69], vcc
	s_cbranch_execz .LBB6_1520
; %bb.1515:                             ;   in Loop: Header=BB6_804 Depth=4
	v_bfe_u32 v8, v8, 23, 8
	v_sub_u32_e32 v12, 0x79, v8
	v_cmp_gt_u32_e32 vcc, s93, v8
	v_add_u32_e32 v9, 0xffffff81, v8
	v_cndmask_b32_e32 v12, 0, v12, vcc
	v_cmp_eq_u32_e32 vcc, 0, v8
	v_mov_b32_e32 v0, 0xffffff82
	v_cndmask_b32_e32 v51, v9, v0, vcc
	v_mov_b32_e32 v0, 0x78
	v_cndmask_b32_e32 v12, v12, v0, vcc
	v_or_b32_e32 v32, 0x800000, v26
	v_add_u32_e32 v8, 20, v12
	v_cndmask_b32_e32 v26, v32, v26, vcc
	v_lshlrev_b64 v[8:9], v8, -1
	v_not_b32_e32 v8, v8
	v_lshrrev_b64 v[34:35], v12, v[26:27]
	v_not_b32_e32 v9, v9
	v_and_b32_e32 v8, v26, v8
	v_add_u32_e32 v32, 19, v12
	v_lshrrev_b32_e32 v26, 23, v34
	v_and_b32_e32 v9, 0, v9
	v_lshlrev_b64 v[32:33], v32, 1
	v_add3_u32 v51, v12, v51, v26
	v_bfe_u32 v12, v34, 20, 1
	v_add_u32_e32 v12, -1, v12
	v_cmp_eq_u64_e32 vcc, v[8:9], v[32:33]
	v_cndmask_b32_e32 v8, 0, v12, vcc
	v_add_u32_e32 v8, v8, v34
	v_and_b32_e32 v8, 0xfffff, v8
	v_add_co_u32_e32 v8, vcc, v8, v34
	v_add_u32_e32 v26, 6, v51
	v_addc_co_u32_e32 v9, vcc, 0, v35, vcc
	v_cmp_ne_u32_e32 vcc, 0, v26
                                        ; implicit-def: $vgpr12
	s_and_saveexec_b64 s[28:29], vcc
	s_xor_b64 s[28:29], exec, s[28:29]
; %bb.1516:                             ;   in Loop: Header=BB6_804 Depth=4
	v_add_u32_e32 v12, 7, v51
	v_cmp_lt_u64_e32 vcc, s[56:57], v[8:9]
	v_cndmask_b32_e32 v12, v26, v12, vcc
	v_cndmask_b32_e64 v26, 0, 1, vcc
	v_lshrrev_b64 v[8:9], v26, v[8:9]
; %bb.1517:                             ;   in Loop: Header=BB6_804 Depth=4
	s_andn2_saveexec_b64 s[28:29], s[28:29]
; %bb.1518:                             ;   in Loop: Header=BB6_804 Depth=4
	v_bfe_u32 v12, v8, 23, 1
; %bb.1519:                             ;   in Loop: Header=BB6_804 Depth=4
	s_or_b64 exec, exec, s[28:29]
	v_lshrrev_b64 v[8:9], 20, v[8:9]
	v_cmp_gt_i32_e32 vcc, 16, v12
	v_cndmask_b32_e32 v9, 0, v9, vcc
	v_cndmask_b32_e32 v8, 7, v8, vcc
	v_cmp_eq_u64_e64 s[28:29], 0, v[8:9]
	v_min_i32_e32 v9, 15, v12
	v_cmp_eq_u32_e32 vcc, 0, v12
	v_lshlrev_b32_e32 v9, 3, v9
	v_and_or_b32 v8, v8, 7, v9
	s_and_b64 s[28:29], vcc, s[28:29]
	v_cndmask_b32_e64 v8, v8, 0, s[28:29]
	v_or_b32_e32 v12, v8, v50
.LBB6_1520:                             ;   in Loop: Header=BB6_804 Depth=4
	s_or_b64 exec, exec, s[68:69]
.LBB6_1521:                             ;   in Loop: Header=BB6_804 Depth=4
	s_or_b64 exec, exec, s[66:67]
                                        ; implicit-def: $vgpr8
.LBB6_1522:                             ;   in Loop: Header=BB6_804 Depth=4
	s_andn2_saveexec_b64 s[28:29], s[64:65]
; %bb.1523:                             ;   in Loop: Header=BB6_804 Depth=4
	v_or_b32_sdwa v8, v8, s92 dst_sel:DWORD dst_unused:UNUSED_PAD src0_sel:BYTE_3 src1_sel:DWORD
	v_cmp_eq_u64_e32 vcc, 0, v[26:27]
	v_cndmask_b32_e32 v12, v8, v12, vcc
; %bb.1524:                             ;   in Loop: Header=BB6_804 Depth=4
	s_or_b64 exec, exec, s[28:29]
	v_lshrrev_b32_e32 v8, 16, v15
	v_cmp_ne_u16_sdwa vcc, v8, v27 src0_sel:BYTE_0 src1_sel:DWORD
	v_mov_b32_e32 v9, 0
	v_mov_b32_e32 v26, 0
	s_and_saveexec_b64 s[28:29], vcc
	s_cbranch_execz .LBB6_1530
; %bb.1525:                             ;   in Loop: Header=BB6_804 Depth=4
	v_cmp_ne_u16_sdwa vcc, v8, s91 src0_sel:BYTE_0 src1_sel:DWORD
	v_bfrev_b32_e32 v26, 1
	s_and_saveexec_b64 s[64:65], vcc
	s_cbranch_execz .LBB6_1529
; %bb.1526:                             ;   in Loop: Header=BB6_804 Depth=4
	v_bfe_u32 v50, v15, 16, 7
	v_cmp_ne_u32_e32 vcc, s92, v50
	v_mov_b32_e32 v26, 0x7f800001
	s_and_saveexec_b64 s[66:67], vcc
	s_cbranch_execz .LBB6_1528
; %bb.1527:                             ;   in Loop: Header=BB6_804 Depth=4
	v_and_b32_e32 v26, 7, v8
	v_ffbh_u32_e32 v32, v26
	v_min_u32_e32 v35, 32, v32
	v_subrev_u32_e32 v32, 28, v35
	v_lshlrev_b64 v[32:33], v32, v[8:9]
	v_lshrrev_b32_e32 v34, 3, v50
	v_sub_u32_e32 v33, 29, v35
	v_and_b32_e32 v32, 7, v32
	v_cmp_gt_u32_e32 vcc, 8, v50
	v_cndmask_b32_e32 v33, v34, v33, vcc
	v_cndmask_b32_e32 v26, v26, v32, vcc
	v_lshlrev_b32_e32 v8, 24, v8
	v_lshlrev_b32_e32 v26, 20, v26
	v_and_b32_e32 v8, 0x80000000, v8
	v_lshl_add_u32 v32, v33, 23, v31
	v_or3_b32 v26, v8, v32, v26
.LBB6_1528:                             ;   in Loop: Header=BB6_804 Depth=4
	s_or_b64 exec, exec, s[66:67]
.LBB6_1529:                             ;   in Loop: Header=BB6_804 Depth=4
	s_or_b64 exec, exec, s[64:65]
.LBB6_1530:                             ;   in Loop: Header=BB6_804 Depth=4
	s_or_b64 exec, exec, s[28:29]
	v_lshrrev_b32_e32 v8, 16, v11
	v_cmp_ne_u16_sdwa vcc, v8, v27 src0_sel:BYTE_0 src1_sel:DWORD
	s_and_saveexec_b64 s[28:29], vcc
	s_cbranch_execz .LBB6_1536
; %bb.1531:                             ;   in Loop: Header=BB6_804 Depth=4
	v_cmp_ne_u16_sdwa vcc, v8, s91 src0_sel:BYTE_0 src1_sel:DWORD
	v_bfrev_b32_e32 v9, 1
	s_and_saveexec_b64 s[64:65], vcc
	s_cbranch_execz .LBB6_1535
; %bb.1532:                             ;   in Loop: Header=BB6_804 Depth=4
	v_bfe_u32 v50, v11, 16, 7
	v_cmp_ne_u32_e32 vcc, s92, v50
	v_mov_b32_e32 v9, 0x7f800001
	s_and_saveexec_b64 s[66:67], vcc
	s_cbranch_execz .LBB6_1534
; %bb.1533:                             ;   in Loop: Header=BB6_804 Depth=4
	v_and_b32_e32 v32, 7, v8
	v_ffbh_u32_e32 v9, v32
	v_min_u32_e32 v34, 32, v9
	v_subrev_u32_e32 v9, 28, v34
	v_lshlrev_b64 v[8:9], v9, v[8:9]
	v_lshrrev_b32_e32 v33, 3, v50
	v_sub_u32_e32 v9, 29, v34
	v_and_b32_e32 v8, 7, v8
	v_cmp_gt_u32_e32 vcc, 8, v50
	v_cndmask_b32_e32 v9, v33, v9, vcc
	v_cndmask_b32_e32 v8, v32, v8, vcc
	v_lshlrev_b32_e32 v32, 8, v11
	v_lshlrev_b32_e32 v8, 20, v8
	v_and_b32_e32 v32, 0x80000000, v32
	v_lshl_add_u32 v9, v9, 23, v31
	v_or3_b32 v9, v32, v9, v8
.LBB6_1534:                             ;   in Loop: Header=BB6_804 Depth=4
	s_or_b64 exec, exec, s[66:67]
.LBB6_1535:                             ;   in Loop: Header=BB6_804 Depth=4
	s_or_b64 exec, exec, s[64:65]
.LBB6_1536:                             ;   in Loop: Header=BB6_804 Depth=4
	s_or_b64 exec, exec, s[28:29]
	v_add_f32_e32 v8, v26, v9
	v_and_b32_sdwa v50, v8, s91 dst_sel:DWORD dst_unused:UNUSED_PAD src0_sel:BYTE_3 src1_sel:DWORD
	v_and_b32_e32 v32, 0x7f800000, v8
	v_mov_b32_e32 v33, v27
	v_and_b32_e32 v26, 0x7fffff, v8
	v_or_b32_e32 v45, 0x7e, v50
	v_cmp_ne_u64_e32 vcc, s[52:53], v[32:33]
	s_and_saveexec_b64 s[28:29], vcc
	s_xor_b64 s[64:65], exec, s[28:29]
	s_cbranch_execz .LBB6_1546
; %bb.1537:                             ;   in Loop: Header=BB6_804 Depth=4
	v_and_b32_e32 v32, 0x7fffffff, v8
	v_mov_b32_e32 v33, v27
	v_cmp_gt_u64_e32 vcc, s[54:55], v[32:33]
	s_and_saveexec_b64 s[66:67], vcc
	s_cbranch_execz .LBB6_1545
; %bb.1538:                             ;   in Loop: Header=BB6_804 Depth=4
	v_cmp_ne_u32_e32 vcc, 0, v8
	v_mov_b32_e32 v45, 0
	s_and_saveexec_b64 s[68:69], vcc
	s_cbranch_execz .LBB6_1544
; %bb.1539:                             ;   in Loop: Header=BB6_804 Depth=4
	v_bfe_u32 v8, v8, 23, 8
	v_sub_u32_e32 v32, 0x79, v8
	v_cmp_gt_u32_e32 vcc, s93, v8
	v_add_u32_e32 v9, 0xffffff81, v8
	v_cndmask_b32_e32 v32, 0, v32, vcc
	v_cmp_eq_u32_e32 vcc, 0, v8
	v_mov_b32_e32 v0, 0xffffff82
	v_cndmask_b32_e32 v51, v9, v0, vcc
	v_mov_b32_e32 v0, 0x78
	v_cndmask_b32_e32 v55, v32, v0, vcc
	v_or_b32_e32 v33, 0x800000, v26
	v_add_u32_e32 v8, 20, v55
	v_cndmask_b32_e32 v26, v33, v26, vcc
	v_lshlrev_b64 v[8:9], v8, -1
	v_not_b32_e32 v8, v8
	v_lshrrev_b64 v[34:35], v55, v[26:27]
	v_not_b32_e32 v9, v9
	v_and_b32_e32 v8, v26, v8
	v_add_u32_e32 v32, 19, v55
	v_lshrrev_b32_e32 v26, 23, v34
	v_and_b32_e32 v9, 0, v9
	v_lshlrev_b64 v[32:33], v32, 1
	v_add3_u32 v42, v55, v51, v26
	v_bfe_u32 v26, v34, 20, 1
	v_add_u32_e32 v26, -1, v26
	v_cmp_eq_u64_e32 vcc, v[8:9], v[32:33]
	v_cndmask_b32_e32 v8, 0, v26, vcc
	v_add_u32_e32 v8, v8, v34
	v_and_b32_e32 v8, 0xfffff, v8
	v_add_co_u32_e32 v8, vcc, v8, v34
	v_add_u32_e32 v51, 6, v42
	v_addc_co_u32_e32 v9, vcc, 0, v35, vcc
	v_cmp_ne_u32_e32 vcc, 0, v51
                                        ; implicit-def: $vgpr26
	s_and_saveexec_b64 s[28:29], vcc
	s_xor_b64 s[28:29], exec, s[28:29]
; %bb.1540:                             ;   in Loop: Header=BB6_804 Depth=4
	v_cmp_lt_u64_e32 vcc, s[56:57], v[8:9]
	v_add_u32_e32 v26, 7, v42
	v_cndmask_b32_e64 v32, 0, 1, vcc
	v_cndmask_b32_e32 v26, v51, v26, vcc
	v_lshrrev_b64 v[8:9], v32, v[8:9]
; %bb.1541:                             ;   in Loop: Header=BB6_804 Depth=4
	s_andn2_saveexec_b64 s[28:29], s[28:29]
; %bb.1542:                             ;   in Loop: Header=BB6_804 Depth=4
	v_bfe_u32 v26, v8, 23, 1
; %bb.1543:                             ;   in Loop: Header=BB6_804 Depth=4
	s_or_b64 exec, exec, s[28:29]
	v_lshrrev_b64 v[8:9], 20, v[8:9]
	v_cmp_gt_i32_e32 vcc, 16, v26
	v_cndmask_b32_e32 v9, 0, v9, vcc
	v_cndmask_b32_e32 v8, 7, v8, vcc
	v_cmp_eq_u64_e64 s[28:29], 0, v[8:9]
	v_min_i32_e32 v9, 15, v26
	v_lshlrev_b32_e32 v9, 3, v9
	v_cmp_eq_u32_e32 vcc, 0, v26
	v_and_b32_e32 v9, 0xf8, v9
	v_and_or_b32 v8, v8, 7, v9
	s_and_b64 s[28:29], vcc, s[28:29]
	v_cndmask_b32_e64 v8, v8, 0, s[28:29]
	v_or_b32_e32 v45, v8, v50
.LBB6_1544:                             ;   in Loop: Header=BB6_804 Depth=4
	s_or_b64 exec, exec, s[68:69]
.LBB6_1545:                             ;   in Loop: Header=BB6_804 Depth=4
	s_or_b64 exec, exec, s[66:67]
                                        ; implicit-def: $vgpr8
.LBB6_1546:                             ;   in Loop: Header=BB6_804 Depth=4
	s_andn2_saveexec_b64 s[28:29], s[64:65]
; %bb.1547:                             ;   in Loop: Header=BB6_804 Depth=4
	v_or_b32_sdwa v8, v8, s92 dst_sel:DWORD dst_unused:UNUSED_PAD src0_sel:BYTE_3 src1_sel:DWORD
	v_cmp_eq_u64_e32 vcc, 0, v[26:27]
	v_cndmask_b32_e32 v45, v8, v45, vcc
; %bb.1548:                             ;   in Loop: Header=BB6_804 Depth=4
	s_or_b64 exec, exec, s[28:29]
	v_cmp_lt_u64_e32 vcc, s[42:43], v[14:15]
	v_mov_b32_e32 v9, 0
	v_mov_b32_e32 v14, 0
	s_and_saveexec_b64 s[28:29], vcc
	s_cbranch_execz .LBB6_1554
; %bb.1549:                             ;   in Loop: Header=BB6_804 Depth=4
	v_lshrrev_b32_e32 v8, 24, v15
	v_cmp_ne_u32_e32 vcc, s91, v8
	v_bfrev_b32_e32 v14, 1
	s_and_saveexec_b64 s[64:65], vcc
	s_cbranch_execz .LBB6_1553
; %bb.1550:                             ;   in Loop: Header=BB6_804 Depth=4
	v_bfe_u32 v15, v15, 24, 7
	v_cmp_ne_u32_e32 vcc, s92, v15
	v_mov_b32_e32 v14, 0x7f800001
	s_and_saveexec_b64 s[66:67], vcc
	s_cbranch_execz .LBB6_1552
; %bb.1551:                             ;   in Loop: Header=BB6_804 Depth=4
	v_and_b32_e32 v14, 7, v8
	v_ffbh_u32_e32 v32, v14
	v_min_u32_e32 v34, 32, v32
	v_subrev_u32_e32 v32, 28, v34
	v_lshlrev_b64 v[32:33], v32, v[8:9]
	v_lshrrev_b32_e32 v26, 3, v15
	v_sub_u32_e32 v33, 29, v34
	v_and_b32_e32 v32, 7, v32
	v_cmp_gt_u32_e32 vcc, 8, v15
	v_cndmask_b32_e32 v15, v26, v33, vcc
	v_cndmask_b32_e32 v14, v14, v32, vcc
	v_lshlrev_b32_e32 v8, 24, v8
	v_lshlrev_b32_e32 v14, 20, v14
	v_and_b32_e32 v8, 0x80000000, v8
	v_lshl_add_u32 v15, v15, 23, v31
	v_or3_b32 v14, v8, v15, v14
.LBB6_1552:                             ;   in Loop: Header=BB6_804 Depth=4
	s_or_b64 exec, exec, s[66:67]
.LBB6_1553:                             ;   in Loop: Header=BB6_804 Depth=4
	s_or_b64 exec, exec, s[64:65]
.LBB6_1554:                             ;   in Loop: Header=BB6_804 Depth=4
	s_or_b64 exec, exec, s[28:29]
	v_cmp_lt_u64_e32 vcc, s[42:43], v[10:11]
	s_and_saveexec_b64 s[28:29], vcc
	s_cbranch_execz .LBB6_1560
; %bb.1555:                             ;   in Loop: Header=BB6_804 Depth=4
	v_lshrrev_b32_e32 v8, 24, v11
	v_cmp_ne_u32_e32 vcc, s91, v8
	v_bfrev_b32_e32 v9, 1
	s_and_saveexec_b64 s[64:65], vcc
	s_cbranch_execz .LBB6_1559
; %bb.1556:                             ;   in Loop: Header=BB6_804 Depth=4
	v_bfe_u32 v10, v11, 24, 7
	v_cmp_ne_u32_e32 vcc, s92, v10
	v_mov_b32_e32 v9, 0x7f800001
	s_and_saveexec_b64 s[66:67], vcc
	s_cbranch_execz .LBB6_1558
; %bb.1557:                             ;   in Loop: Header=BB6_804 Depth=4
	v_and_b32_e32 v9, 7, v8
	v_ffbh_u32_e32 v15, v9
	v_min_u32_e32 v15, 32, v15
	v_subrev_u32_e32 v26, 28, v15
	v_lshlrev_b64 v[32:33], v26, v[8:9]
	v_lshrrev_b32_e32 v11, 3, v10
	v_sub_u32_e32 v15, 29, v15
	v_and_b32_e32 v26, 7, v32
	v_cmp_gt_u32_e32 vcc, 8, v10
	v_cndmask_b32_e32 v10, v11, v15, vcc
	v_cndmask_b32_e32 v9, v9, v26, vcc
	v_lshlrev_b32_e32 v8, 24, v8
	v_lshlrev_b32_e32 v9, 20, v9
	v_and_b32_e32 v8, 0x80000000, v8
	v_lshl_add_u32 v10, v10, 23, v31
	v_or3_b32 v9, v8, v10, v9
.LBB6_1558:                             ;   in Loop: Header=BB6_804 Depth=4
	s_or_b64 exec, exec, s[66:67]
.LBB6_1559:                             ;   in Loop: Header=BB6_804 Depth=4
	s_or_b64 exec, exec, s[64:65]
.LBB6_1560:                             ;   in Loop: Header=BB6_804 Depth=4
	s_or_b64 exec, exec, s[28:29]
	v_add_f32_e32 v9, v14, v9
	v_and_b32_sdwa v10, v9, s91 dst_sel:DWORD dst_unused:UNUSED_PAD src0_sel:BYTE_3 src1_sel:DWORD
	v_and_b32_e32 v14, 0x7f800000, v9
	v_mov_b32_e32 v15, v27
	v_and_b32_e32 v26, 0x7fffff, v9
	v_or_b32_e32 v8, 0x7e, v10
	v_cmp_ne_u64_e32 vcc, s[52:53], v[14:15]
	s_and_saveexec_b64 s[28:29], vcc
	s_xor_b64 s[64:65], exec, s[28:29]
	s_cbranch_execz .LBB6_1570
; %bb.1561:                             ;   in Loop: Header=BB6_804 Depth=4
	v_and_b32_e32 v14, 0x7fffffff, v9
	v_mov_b32_e32 v15, v27
	v_cmp_gt_u64_e32 vcc, s[54:55], v[14:15]
	s_and_saveexec_b64 s[66:67], vcc
	s_cbranch_execz .LBB6_1569
; %bb.1562:                             ;   in Loop: Header=BB6_804 Depth=4
	v_cmp_ne_u32_e32 vcc, 0, v9
	v_mov_b32_e32 v8, 0
	s_and_saveexec_b64 s[68:69], vcc
	s_cbranch_execz .LBB6_1568
; %bb.1563:                             ;   in Loop: Header=BB6_804 Depth=4
	v_bfe_u32 v8, v9, 23, 8
	v_sub_u32_e32 v11, 0x79, v8
	v_cmp_gt_u32_e32 vcc, s93, v8
	v_add_u32_e32 v9, 0xffffff81, v8
	v_cndmask_b32_e32 v11, 0, v11, vcc
	v_cmp_eq_u32_e32 vcc, 0, v8
	v_mov_b32_e32 v0, 0xffffff82
	v_cndmask_b32_e32 v15, v9, v0, vcc
	v_mov_b32_e32 v0, 0x78
	v_or_b32_e32 v14, 0x800000, v26
	v_cndmask_b32_e32 v11, v11, v0, vcc
	v_cndmask_b32_e32 v26, v14, v26, vcc
	v_add_u32_e32 v8, 20, v11
	v_lshlrev_b64 v[8:9], v8, -1
	v_add_u32_e32 v14, 19, v11
	v_lshrrev_b64 v[34:35], v11, v[26:27]
	v_not_b32_e32 v9, v9
	v_not_b32_e32 v8, v8
	v_lshlrev_b64 v[32:33], v14, 1
	v_lshrrev_b32_e32 v14, 23, v34
	v_and_b32_e32 v9, 0, v9
	v_and_b32_e32 v8, v26, v8
	v_add3_u32 v15, v11, v15, v14
	v_bfe_u32 v11, v34, 20, 1
	v_add_u32_e32 v11, -1, v11
	v_cmp_eq_u64_e32 vcc, v[8:9], v[32:33]
	v_cndmask_b32_e32 v8, 0, v11, vcc
	v_add_u32_e32 v8, v8, v34
	v_and_b32_e32 v8, 0xfffff, v8
	v_add_co_u32_e32 v8, vcc, v8, v34
	v_add_u32_e32 v14, 6, v15
	v_addc_co_u32_e32 v9, vcc, 0, v35, vcc
	v_cmp_ne_u32_e32 vcc, 0, v14
                                        ; implicit-def: $vgpr11
	s_and_saveexec_b64 s[28:29], vcc
	s_xor_b64 s[28:29], exec, s[28:29]
; %bb.1564:                             ;   in Loop: Header=BB6_804 Depth=4
	v_add_u32_e32 v11, 7, v15
	v_cmp_lt_u64_e32 vcc, s[56:57], v[8:9]
	v_cndmask_b32_e32 v11, v14, v11, vcc
	v_cndmask_b32_e64 v14, 0, 1, vcc
	v_lshrrev_b64 v[8:9], v14, v[8:9]
; %bb.1565:                             ;   in Loop: Header=BB6_804 Depth=4
	s_andn2_saveexec_b64 s[28:29], s[28:29]
; %bb.1566:                             ;   in Loop: Header=BB6_804 Depth=4
	v_bfe_u32 v11, v8, 23, 1
; %bb.1567:                             ;   in Loop: Header=BB6_804 Depth=4
	s_or_b64 exec, exec, s[28:29]
	v_lshrrev_b64 v[8:9], 20, v[8:9]
	v_cmp_gt_i32_e32 vcc, 16, v11
	v_cndmask_b32_e32 v9, 0, v9, vcc
	v_cndmask_b32_e32 v8, 7, v8, vcc
	v_cmp_eq_u64_e64 s[28:29], 0, v[8:9]
	v_min_i32_e32 v9, 15, v11
	v_lshlrev_b32_e32 v9, 3, v9
	v_cmp_eq_u32_e32 vcc, 0, v11
	v_and_b32_e32 v9, 0xf8, v9
	v_and_or_b32 v8, v8, 7, v9
	s_and_b64 s[28:29], vcc, s[28:29]
	v_cndmask_b32_e64 v8, v8, 0, s[28:29]
	v_or_b32_e32 v8, v8, v10
.LBB6_1568:                             ;   in Loop: Header=BB6_804 Depth=4
	s_or_b64 exec, exec, s[68:69]
.LBB6_1569:                             ;   in Loop: Header=BB6_804 Depth=4
	s_or_b64 exec, exec, s[66:67]
                                        ; implicit-def: $vgpr9
.LBB6_1570:                             ;   in Loop: Header=BB6_804 Depth=4
	s_andn2_saveexec_b64 s[28:29], s[64:65]
	s_cbranch_execz .LBB6_803
; %bb.1571:                             ;   in Loop: Header=BB6_804 Depth=4
	v_or_b32_sdwa v9, v9, s92 dst_sel:DWORD dst_unused:UNUSED_PAD src0_sel:BYTE_3 src1_sel:DWORD
	v_cmp_eq_u64_e32 vcc, 0, v[26:27]
	v_cndmask_b32_e32 v8, v9, v8, vcc
	s_branch .LBB6_803
.LBB6_1572:                             ;   in Loop: Header=BB6_274 Depth=3
	s_or_b64 exec, exec, s[64:65]
	v_accvgpr_read_b32 v42, a58
	v_accvgpr_read_b32 v57, a3
	;; [unrolled: 1-line block ×7, first 2 shown]
.LBB6_1573:                             ;   in Loop: Header=BB6_274 Depth=3
	s_or_b64 exec, exec, s[62:63]
	v_lshlrev_b32_e32 v1, 10, v4
	v_cmp_ne_u32_e32 vcc, v7, v1
	s_and_saveexec_b64 s[62:63], vcc
	s_cbranch_execz .LBB6_1605
; %bb.1574:                             ;   in Loop: Header=BB6_274 Depth=3
	v_add_u32_e32 v3, v14, v0
	v_and_b32_e32 v3, 0xffffffc0, v3
	v_sub_u32_e32 v3, v14, v3
	v_lshlrev_b32_e32 v4, 6, v15
	v_sub_u32_e32 v3, v3, v4
	v_add_u32_e32 v3, v1, v3
	v_sub_u32_e32 v1, v7, v3
	v_cmp_lt_i32_e32 vcc, 0, v1
	s_and_b64 exec, exec, vcc
	s_cbranch_execz .LBB6_1605
; %bb.1575:                             ;   in Loop: Header=BB6_274 Depth=3
	s_trap 2
	ds_read_b128 v[8:11], v0
	v_add_u32_e32 v3, v3, v6
	ds_read_b64 v[6:7], v0
	v_ashrrev_i32_e32 v12, 31, v3
	s_mov_b64 s[64:65], 0
	s_waitcnt lgkmcnt(0)
	v_add_co_u32_e32 v4, vcc, v8, v3
	v_addc_co_u32_e32 v5, vcc, v9, v12, vcc
	v_add_co_u32_e32 v8, vcc, v10, v3
	v_addc_co_u32_e32 v9, vcc, v11, v12, vcc
	;; [unrolled: 2-line block ×3, first 2 shown]
	s_branch .LBB6_1577
.LBB6_1576:                             ;   in Loop: Header=BB6_1577 Depth=4
	s_or_b64 exec, exec, s[28:29]
	v_accvgpr_read_b32 v3, a40
	flat_store_byte v[10:11], v6 glc slc
	v_add_co_u32_e32 v4, vcc, v4, v3
	v_accvgpr_read_b32 v6, a41
	v_addc_co_u32_e32 v5, vcc, v5, v6, vcc
	v_add_co_u32_e32 v8, vcc, v8, v3
	v_accvgpr_read_b32 v0, a27
	v_addc_co_u32_e32 v9, vcc, v9, v6, vcc
	v_sub_u32_e32 v1, v1, v0
	v_cmp_gt_i32_e32 vcc, 1, v1
	s_or_b64 s[64:65], vcc, s[64:65]
	v_add_co_u32_e32 v10, vcc, v10, v3
	v_addc_co_u32_e32 v11, vcc, v11, v6, vcc
	s_andn2_b64 exec, exec, s[64:65]
	s_cbranch_execz .LBB6_1605
.LBB6_1577:                             ;   Parent Loop BB6_47 Depth=1
                                        ;     Parent Loop BB6_271 Depth=2
                                        ;       Parent Loop BB6_274 Depth=3
                                        ; =>      This Inner Loop Header: Depth=4
	flat_load_ubyte v13, v[4:5] glc slc
	flat_load_ubyte v6, v[8:9] glc slc
	v_mov_b32_e32 v3, 0
	v_mov_b32_e32 v7, 0
	s_waitcnt vmcnt(0) lgkmcnt(0)
	v_cmp_ne_u16_e32 vcc, 0, v13
	s_and_saveexec_b64 s[28:29], vcc
	s_cbranch_execz .LBB6_1583
; %bb.1578:                             ;   in Loop: Header=BB6_1577 Depth=4
	v_cmp_ne_u16_e32 vcc, s91, v13
	v_bfrev_b32_e32 v7, 1
	s_and_saveexec_b64 s[66:67], vcc
	s_cbranch_execz .LBB6_1582
; %bb.1579:                             ;   in Loop: Header=BB6_1577 Depth=4
	v_and_b32_e32 v12, 0xffff, v13
	v_and_b32_e32 v14, 0x7f, v12
	v_cmp_ne_u32_e32 vcc, s92, v14
	v_mov_b32_e32 v7, 0x7f800001
	s_and_saveexec_b64 s[68:69], vcc
	s_cbranch_execz .LBB6_1581
; %bb.1580:                             ;   in Loop: Header=BB6_1577 Depth=4
	v_and_b32_e32 v7, 7, v12
	v_ffbh_u32_e32 v16, v7
	v_min_u32_e32 v18, 32, v16
	v_subrev_u32_e32 v16, 28, v18
	v_lshlrev_b64 v[16:17], v16, v[12:13]
	v_lshrrev_b32_e32 v15, 3, v14
	v_sub_u32_e32 v12, 29, v18
	v_and_b32_e32 v16, 7, v16
	v_cmp_gt_u32_e32 vcc, 8, v14
	v_cndmask_b32_e32 v12, v15, v12, vcc
	v_cndmask_b32_e32 v7, v7, v16, vcc
	v_lshlrev_b32_e32 v13, 24, v13
	v_lshlrev_b32_e32 v7, 20, v7
	v_and_b32_e32 v13, 0x80000000, v13
	v_lshl_add_u32 v12, v12, 23, v31
	v_or3_b32 v7, v13, v12, v7
.LBB6_1581:                             ;   in Loop: Header=BB6_1577 Depth=4
	s_or_b64 exec, exec, s[68:69]
.LBB6_1582:                             ;   in Loop: Header=BB6_1577 Depth=4
	s_or_b64 exec, exec, s[66:67]
.LBB6_1583:                             ;   in Loop: Header=BB6_1577 Depth=4
	s_or_b64 exec, exec, s[28:29]
	v_and_b32_e32 v12, 0xff, v6
	v_cmp_ne_u16_e32 vcc, 0, v12
	s_and_saveexec_b64 s[28:29], vcc
	s_cbranch_execz .LBB6_1589
; %bb.1584:                             ;   in Loop: Header=BB6_1577 Depth=4
	v_cmp_ne_u16_e32 vcc, s91, v12
	v_bfrev_b32_e32 v3, 1
	s_and_saveexec_b64 s[66:67], vcc
	s_cbranch_execz .LBB6_1588
; %bb.1585:                             ;   in Loop: Header=BB6_1577 Depth=4
	v_and_b32_e32 v13, 0x7f, v6
	v_cmp_ne_u32_e32 vcc, s92, v13
	v_mov_b32_e32 v3, 0x7f800001
	s_and_saveexec_b64 s[68:69], vcc
	s_cbranch_execz .LBB6_1587
; %bb.1586:                             ;   in Loop: Header=BB6_1577 Depth=4
	v_and_b32_e32 v3, 7, v12
	v_ffbh_u32_e32 v14, v3
	v_min_u32_e32 v17, 32, v14
	v_subrev_u32_e32 v14, 28, v17
	v_lshlrev_b64 v[14:15], v14, v[12:13]
	v_lshrrev_b32_e32 v16, 3, v13
	v_sub_u32_e32 v12, 29, v17
	v_and_b32_e32 v14, 7, v14
	v_cmp_gt_u32_e32 vcc, 8, v13
	v_lshlrev_b32_e32 v6, 24, v6
	v_cndmask_b32_e32 v12, v16, v12, vcc
	v_cndmask_b32_e32 v3, v3, v14, vcc
	v_and_b32_e32 v6, 0x80000000, v6
	v_lshlrev_b32_e32 v3, 20, v3
	v_lshl_add_u32 v12, v12, 23, v31
	v_or3_b32 v3, v6, v12, v3
.LBB6_1587:                             ;   in Loop: Header=BB6_1577 Depth=4
	s_or_b64 exec, exec, s[68:69]
.LBB6_1588:                             ;   in Loop: Header=BB6_1577 Depth=4
	s_or_b64 exec, exec, s[66:67]
.LBB6_1589:                             ;   in Loop: Header=BB6_1577 Depth=4
	s_or_b64 exec, exec, s[28:29]
	v_add_f32_e32 v7, v7, v3
	v_and_b32_sdwa v3, v7, s91 dst_sel:DWORD dst_unused:UNUSED_PAD src0_sel:BYTE_3 src1_sel:DWORD
	v_and_b32_e32 v12, 0x7f800000, v7
	v_mov_b32_e32 v13, v27
	v_and_b32_e32 v26, 0x7fffff, v7
	v_or_b32_e32 v6, 0x7e, v3
	v_cmp_ne_u64_e32 vcc, s[52:53], v[12:13]
	s_and_saveexec_b64 s[28:29], vcc
	s_xor_b64 s[66:67], exec, s[28:29]
	s_cbranch_execz .LBB6_1603
; %bb.1590:                             ;   in Loop: Header=BB6_1577 Depth=4
	v_and_b32_e32 v12, 0x7fffffff, v7
	v_mov_b32_e32 v13, v27
	v_cmp_gt_u64_e32 vcc, s[54:55], v[12:13]
	s_and_saveexec_b64 s[28:29], vcc
	s_xor_b64 s[68:69], exec, s[28:29]
	s_cbranch_execz .LBB6_1602
; %bb.1591:                             ;   in Loop: Header=BB6_1577 Depth=4
	v_cmp_ne_u32_e32 vcc, 0, v7
	v_mov_b32_e32 v6, 0
	s_and_saveexec_b64 s[70:71], vcc
	s_cbranch_execz .LBB6_1601
; %bb.1592:                             ;   in Loop: Header=BB6_1577 Depth=4
	v_bfe_u32 v6, v7, 23, 8
	v_cmp_eq_u32_e32 vcc, 0, v6
	v_add_u32_e32 v7, 0xffffff81, v6
	v_cmp_gt_u32_e64 s[28:29], s93, v6
	v_sub_u32_e32 v6, 0x79, v6
	v_mov_b32_e32 v0, 0xffffff82
	v_cndmask_b32_e64 v6, 0, v6, s[28:29]
	v_cndmask_b32_e32 v14, v7, v0, vcc
	v_mov_b32_e32 v0, 0x78
	v_cndmask_b32_e32 v15, v6, v0, vcc
	v_add_u32_e32 v6, 20, v15
	v_or_b32_e32 v12, 0x800000, v26
	v_lshlrev_b64 v[6:7], v6, -1
	v_cndmask_b32_e32 v26, v12, v26, vcc
	v_not_b32_e32 v7, v7
	v_not_b32_e32 v6, v6
	v_add_u32_e32 v12, 19, v15
	v_and_b32_e32 v7, 0, v7
	v_and_b32_e32 v6, v26, v6
	v_lshlrev_b64 v[12:13], v12, 1
	v_cmp_eq_u64_e32 vcc, v[6:7], v[12:13]
	v_lshrrev_b64 v[12:13], v15, v[26:27]
	v_bfe_u32 v7, v12, 20, 1
	v_add_u32_e32 v7, -1, v7
	v_cndmask_b32_e32 v7, 0, v7, vcc
	v_add_u32_e32 v7, v7, v12
	v_lshrrev_b32_e32 v6, 23, v12
	v_and_b32_e32 v7, 0xfffff, v7
	v_add3_u32 v14, v15, v14, v6
	v_add_co_u32_e32 v12, vcc, v7, v12
	v_add_u32_e32 v6, 6, v14
	v_addc_co_u32_e32 v13, vcc, 0, v13, vcc
	v_cmp_ne_u32_e32 vcc, 0, v6
                                        ; implicit-def: $vgpr7
	s_and_saveexec_b64 s[28:29], vcc
	s_xor_b64 s[28:29], exec, s[28:29]
; %bb.1593:                             ;   in Loop: Header=BB6_1577 Depth=4
	v_add_u32_e32 v7, 7, v14
	v_cmp_lt_u64_e32 vcc, s[56:57], v[12:13]
	v_cndmask_b32_e32 v7, v6, v7, vcc
	v_cndmask_b32_e64 v6, 0, 1, vcc
	v_lshrrev_b64 v[12:13], v6, v[12:13]
; %bb.1594:                             ;   in Loop: Header=BB6_1577 Depth=4
	s_andn2_saveexec_b64 s[28:29], s[28:29]
; %bb.1595:                             ;   in Loop: Header=BB6_1577 Depth=4
	v_bfe_u32 v7, v12, 23, 1
; %bb.1596:                             ;   in Loop: Header=BB6_1577 Depth=4
	s_or_b64 exec, exec, s[28:29]
	v_lshrrev_b64 v[12:13], 20, v[12:13]
	v_cmp_gt_i32_e32 vcc, 16, v7
	v_cndmask_b32_e32 v13, 0, v13, vcc
	v_cndmask_b32_e32 v12, 7, v12, vcc
	v_cmp_ne_u32_e32 vcc, 0, v7
	v_cmp_ne_u64_e64 s[28:29], 0, v[12:13]
	s_or_b64 s[28:29], vcc, s[28:29]
                                        ; implicit-def: $vgpr6
	s_and_saveexec_b64 vcc, s[28:29]
	s_xor_b64 s[28:29], exec, vcc
; %bb.1597:                             ;   in Loop: Header=BB6_1577 Depth=4
	v_min_i32_e32 v6, 15, v7
	v_lshl_or_b32 v3, v6, 3, v3
	v_and_or_b32 v6, v12, 7, v3
                                        ; implicit-def: $vgpr3
; %bb.1598:                             ;   in Loop: Header=BB6_1577 Depth=4
	s_andn2_saveexec_b64 s[28:29], s[28:29]
; %bb.1599:                             ;   in Loop: Header=BB6_1577 Depth=4
	v_mov_b32_e32 v6, v3
; %bb.1600:                             ;   in Loop: Header=BB6_1577 Depth=4
	s_or_b64 exec, exec, s[28:29]
.LBB6_1601:                             ;   in Loop: Header=BB6_1577 Depth=4
	s_or_b64 exec, exec, s[70:71]
.LBB6_1602:                             ;   in Loop: Header=BB6_1577 Depth=4
	s_andn2_saveexec_b64 s[28:29], s[68:69]
	s_or_b64 exec, exec, s[28:29]
                                        ; implicit-def: $vgpr7
.LBB6_1603:                             ;   in Loop: Header=BB6_1577 Depth=4
	s_andn2_saveexec_b64 s[28:29], s[66:67]
	s_cbranch_execz .LBB6_1576
; %bb.1604:                             ;   in Loop: Header=BB6_1577 Depth=4
	v_or_b32_sdwa v3, v7, s92 dst_sel:DWORD dst_unused:UNUSED_PAD src0_sel:BYTE_3 src1_sel:DWORD
	v_cmp_eq_u64_e32 vcc, 0, v[26:27]
	v_cndmask_b32_e32 v6, v3, v6, vcc
	s_branch .LBB6_1576
.LBB6_1605:                             ;   in Loop: Header=BB6_274 Depth=3
	s_or_b64 exec, exec, s[62:63]
	s_or_b64 exec, exec, s[30:31]
	s_and_saveexec_b64 s[28:29], s[10:11]
	s_cbranch_execz .LBB6_797
	s_branch .LBB6_2001
.LBB6_1606:                             ;   in Loop: Header=BB6_274 Depth=3
	s_or_b64 exec, exec, s[62:63]
	v_accvgpr_read_b32 v42, a58
	v_accvgpr_read_b32 v57, a3
	;; [unrolled: 1-line block ×8, first 2 shown]
.LBB6_1607:                             ;   in Loop: Header=BB6_274 Depth=3
	s_or_b64 exec, exec, s[30:31]
	v_lshlrev_b32_e32 v23, 11, v1
	v_cmp_ne_u32_e32 vcc, v44, v23
	s_mov_b64 s[28:29], 0
	v_mov_b32_e32 v6, 0
                                        ; implicit-def: $vgpr7
                                        ; implicit-def: $vgpr14
                                        ; implicit-def: $vgpr1
	s_and_saveexec_b64 s[62:63], vcc
	s_cbranch_execz .LBB6_1999
; %bb.1608:                             ;   in Loop: Header=BB6_274 Depth=3
	v_lshlrev_b32_e32 v1, 6, v38
	v_accvgpr_read_b32 v0, a42
	v_sub_u32_e32 v1, v0, v1
	v_sub_u32_e32 v4, v44, v23
	v_ashrrev_i32_e32 v3, 31, v1
	v_lshrrev_b32_e32 v3, 26, v3
	v_ashrrev_i32_e32 v6, 31, v4
	v_add_u32_e32 v3, v1, v3
	v_lshrrev_b32_e32 v6, 22, v6
	v_ashrrev_i32_e32 v5, 6, v3
	v_and_b32_e32 v3, 0xffffffc0, v3
	v_add_u32_e32 v6, v4, v6
	v_sub_u32_e32 v24, v1, v3
	v_and_b32_e32 v25, 0xfffffc00, v6
	v_lshlrev_b32_e32 v1, 4, v24
	v_sub_u32_e32 v30, v4, v25
	v_lshl_add_u32 v3, v5, 10, v1
	v_ashrrev_i32_e32 v7, 10, v6
	v_cmp_lt_i32_e32 vcc, 15, v30
	v_sub_u32_e32 v1, v4, v3
	v_addc_co_u32_e64 v4, s[28:29], 0, v7, vcc
	v_sub_u32_e32 v28, v4, v5
	v_cmp_lt_i32_e64 s[28:29], 15, v1
	s_and_saveexec_b64 s[64:65], s[28:29]
	s_cbranch_execz .LBB6_1996
; %bb.1609:                             ;   in Loop: Header=BB6_274 Depth=3
	s_trap 2
	ds_read_b128 v[4:7], v0
	ds_read_b64 v[8:9], v0
	v_add_u32_e32 v3, v3, v23
	v_ashrrev_i32_e32 v10, 31, v3
	s_mov_b64 s[66:67], 0
	s_waitcnt lgkmcnt(0)
	v_add_co_u32_e64 v4, s[28:29], v4, v3
	v_addc_co_u32_e64 v5, s[28:29], v5, v10, s[28:29]
	v_add_co_u32_e64 v16, s[28:29], v6, v3
	v_addc_co_u32_e64 v17, s[28:29], v7, v10, s[28:29]
	;; [unrolled: 2-line block ×3, first 2 shown]
	s_branch .LBB6_1611
.LBB6_1610:                             ;   in Loop: Header=BB6_1611 Depth=4
	s_or_b64 exec, exec, s[30:31]
	v_lshlrev_b32_e32 v9, 8, v22
	v_perm_b32 v9, v9, v38, s94
	v_lshl_or_b32 v9, v20, 16, v9
	v_lshl_or_b32 v51, v13, 24, v9
	v_and_b32_e32 v9, 0xff, v36
	v_lshlrev_b32_e32 v7, 8, v7
	v_lshlrev_b32_e32 v10, 24, v37
	;; [unrolled: 1-line block ×3, first 2 shown]
	v_perm_b32 v6, v7, v6, s94
	v_or3_b32 v50, v10, v9, v6
	v_and_b32_e32 v6, 0xff, v52
	v_lshlrev_b32_e32 v7, 8, v39
	v_lshlrev_b32_e32 v3, 24, v3
	;; [unrolled: 1-line block ×3, first 2 shown]
	v_perm_b32 v7, v7, v21, s94
	v_or3_b32 v52, v3, v6, v7
	v_lshlrev_b32_e32 v3, 8, v12
	v_add_co_u32_e64 v4, s[28:29], v4, v55
	v_perm_b32 v3, v3, v53, s94
	v_addc_co_u32_e64 v5, s[28:29], v5, v41, s[28:29]
	v_lshl_or_b32 v3, v29, 16, v3
	v_add_co_u32_e64 v16, s[28:29], v16, v55
	v_lshl_or_b32 v53, v8, 24, v3
	v_addc_co_u32_e64 v17, s[28:29], v17, v41, s[28:29]
	global_store_dwordx4 v[18:19], v[50:53], off glc slc
	v_add_co_u32_e64 v18, s[28:29], v18, v55
	v_addc_co_u32_e64 v19, s[28:29], v19, v41, s[28:29]
	v_sub_u32_e32 v1, v1, v0
	v_cmp_gt_i32_e64 s[28:29], 16, v1
	v_accvgpr_read_b32 v0, a26
	s_or_b64 s[66:67], s[28:29], s[66:67]
	v_sub_u32_e32 v28, v28, v0
	s_andn2_b64 exec, exec, s[66:67]
	s_cbranch_execz .LBB6_1995
.LBB6_1611:                             ;   Parent Loop BB6_47 Depth=1
                                        ;     Parent Loop BB6_271 Depth=2
                                        ;       Parent Loop BB6_274 Depth=3
                                        ; =>      This Inner Loop Header: Depth=4
	global_load_dwordx4 v[12:15], v[4:5], off glc slc
	global_load_dwordx4 v[8:11], v[16:17], off glc slc
	v_mov_b32_e32 v3, 0
	v_mov_b32_e32 v6, 0
	s_waitcnt vmcnt(0)
	v_cmp_ne_u16_sdwa s[28:29], v12, v27 src0_sel:BYTE_0 src1_sel:DWORD
	s_mov_b64 s[30:31], exec
	s_and_b64 s[28:29], s[30:31], s[28:29]
	v_accvgpr_read_b32 v0, a30
	s_mov_b64 exec, s[28:29]
	s_cbranch_execz .LBB6_1617
; %bb.1612:                             ;   in Loop: Header=BB6_1611 Depth=4
	v_cmp_ne_u16_sdwa s[28:29], v12, s91 src0_sel:BYTE_0 src1_sel:DWORD
	v_bfrev_b32_e32 v6, 1
	s_and_saveexec_b64 s[68:69], s[28:29]
	s_cbranch_execz .LBB6_1616
; %bb.1613:                             ;   in Loop: Header=BB6_1611 Depth=4
	v_and_b32_e32 v7, 0x7f, v12
	v_cmp_ne_u32_e64 s[28:29], s92, v7
	v_mov_b32_e32 v6, 0x7f800001
	s_and_saveexec_b64 s[70:71], s[28:29]
	s_cbranch_execz .LBB6_1615
; %bb.1614:                             ;   in Loop: Header=BB6_1611 Depth=4
	v_and_b32_e32 v6, 7, v12
	v_ffbh_u32_e32 v6, v6
	v_min_u32_e32 v6, 32, v6
	v_lshrrev_b32_e32 v20, 3, v7
	v_cmp_gt_u32_e64 s[28:29], 8, v7
	v_subrev_u32_e32 v7, 28, v6
	v_sub_u32_e32 v6, 29, v6
	v_cndmask_b32_e64 v20, v20, v6, s[28:29]
	v_cndmask_b32_e64 v6, 0, v7, s[28:29]
	v_lshlrev_b64 v[6:7], v6, v[12:13]
	v_lshlrev_b32_e32 v6, 20, v6
	v_lshlrev_b32_e32 v7, 24, v12
	v_and_b32_e32 v6, 0x700000, v6
	v_and_b32_e32 v7, 0x80000000, v7
	v_lshl_add_u32 v20, v20, 23, v31
	v_or3_b32 v6, v7, v20, v6
.LBB6_1615:                             ;   in Loop: Header=BB6_1611 Depth=4
	s_or_b64 exec, exec, s[70:71]
.LBB6_1616:                             ;   in Loop: Header=BB6_1611 Depth=4
	s_or_b64 exec, exec, s[68:69]
.LBB6_1617:                             ;   in Loop: Header=BB6_1611 Depth=4
	s_or_b64 exec, exec, s[30:31]
	v_cmp_ne_u16_sdwa s[28:29], v8, v27 src0_sel:BYTE_0 src1_sel:DWORD
	s_and_saveexec_b64 s[30:31], s[28:29]
	s_cbranch_execz .LBB6_1623
; %bb.1618:                             ;   in Loop: Header=BB6_1611 Depth=4
	v_cmp_ne_u16_sdwa s[28:29], v8, s91 src0_sel:BYTE_0 src1_sel:DWORD
	v_bfrev_b32_e32 v3, 1
	s_and_saveexec_b64 s[68:69], s[28:29]
	s_cbranch_execz .LBB6_1622
; %bb.1619:                             ;   in Loop: Header=BB6_1611 Depth=4
	v_and_b32_e32 v7, 0x7f, v8
	v_cmp_ne_u32_e64 s[28:29], s92, v7
	v_mov_b32_e32 v3, 0x7f800001
	s_and_saveexec_b64 s[70:71], s[28:29]
	s_cbranch_execz .LBB6_1621
; %bb.1620:                             ;   in Loop: Header=BB6_1611 Depth=4
	v_and_b32_e32 v3, 7, v8
	v_ffbh_u32_e32 v3, v3
	v_min_u32_e32 v3, 32, v3
	v_lshrrev_b32_e32 v20, 3, v7
	v_cmp_gt_u32_e64 s[28:29], 8, v7
	v_subrev_u32_e32 v7, 28, v3
	v_sub_u32_e32 v3, 29, v3
	v_cndmask_b32_e64 v7, 0, v7, s[28:29]
	v_cndmask_b32_e64 v3, v20, v3, s[28:29]
	v_lshlrev_b64 v[20:21], v7, v[8:9]
	v_lshlrev_b32_e32 v7, 20, v20
	v_lshlrev_b32_e32 v20, 24, v8
	v_and_b32_e32 v7, 0x700000, v7
	v_and_b32_e32 v20, 0x80000000, v20
	v_lshl_add_u32 v3, v3, 23, v31
	v_or3_b32 v3, v20, v3, v7
.LBB6_1621:                             ;   in Loop: Header=BB6_1611 Depth=4
	s_or_b64 exec, exec, s[70:71]
.LBB6_1622:                             ;   in Loop: Header=BB6_1611 Depth=4
	s_or_b64 exec, exec, s[68:69]
.LBB6_1623:                             ;   in Loop: Header=BB6_1611 Depth=4
	s_or_b64 exec, exec, s[30:31]
	v_add_f32_e32 v7, v6, v3
	v_and_b32_sdwa v3, v7, s91 dst_sel:DWORD dst_unused:UNUSED_PAD src0_sel:BYTE_3 src1_sel:DWORD
	v_and_b32_e32 v20, 0x7f800000, v7
	v_mov_b32_e32 v21, v27
	v_and_b32_e32 v26, 0x7fffff, v7
	v_or_b32_e32 v6, 0x7e, v3
	v_cmp_ne_u64_e64 s[28:29], s[52:53], v[20:21]
	s_and_saveexec_b64 s[30:31], s[28:29]
	s_xor_b64 s[68:69], exec, s[30:31]
	s_cbranch_execz .LBB6_1633
; %bb.1624:                             ;   in Loop: Header=BB6_1611 Depth=4
	v_and_b32_e32 v20, 0x7fffffff, v7
	v_mov_b32_e32 v21, v27
	v_cmp_gt_u64_e64 s[28:29], s[54:55], v[20:21]
	s_and_saveexec_b64 s[70:71], s[28:29]
	s_cbranch_execz .LBB6_1632
; %bb.1625:                             ;   in Loop: Header=BB6_1611 Depth=4
	v_cmp_ne_u32_e64 s[28:29], 0, v7
	v_mov_b32_e32 v6, 0
	s_and_saveexec_b64 s[72:73], s[28:29]
	s_cbranch_execz .LBB6_1631
; %bb.1626:                             ;   in Loop: Header=BB6_1611 Depth=4
	v_bfe_u32 v6, v7, 23, 8
	v_cmp_eq_u32_e64 s[28:29], 0, v6
	v_add_u32_e32 v7, 0xffffff81, v6
	v_cmp_gt_u32_e64 s[30:31], s93, v6
	v_sub_u32_e32 v6, 0x79, v6
	v_mov_b32_e32 v21, 0xffffff82
	v_cndmask_b32_e64 v6, 0, v6, s[30:31]
	v_cndmask_b32_e64 v22, v7, v21, s[28:29]
	v_mov_b32_e32 v7, 0x78
	v_cndmask_b32_e64 v29, v6, v7, s[28:29]
	v_add_u32_e32 v6, 20, v29
	v_or_b32_e32 v20, 0x800000, v26
	v_lshlrev_b64 v[6:7], v6, -1
	v_cndmask_b32_e64 v26, v20, v26, s[28:29]
	v_not_b32_e32 v7, v7
	v_not_b32_e32 v6, v6
	v_add_u32_e32 v20, 19, v29
	v_and_b32_e32 v7, 0, v7
	v_and_b32_e32 v6, v26, v6
	v_lshlrev_b64 v[20:21], v20, 1
	v_cmp_eq_u64_e64 s[28:29], v[6:7], v[20:21]
	v_lshrrev_b64 v[20:21], v29, v[26:27]
	v_lshrrev_b32_e32 v6, 23, v20
	v_add3_u32 v22, v29, v22, v6
	v_bfe_u32 v6, v20, 20, 1
	v_add_u32_e32 v6, -1, v6
	v_cndmask_b32_e64 v6, 0, v6, s[28:29]
	v_add_u32_e32 v6, v6, v20
	v_and_b32_e32 v6, 0xfffff, v6
	v_add_co_u32_e64 v20, s[28:29], v6, v20
	v_add_u32_e32 v7, 6, v22
	v_addc_co_u32_e64 v21, s[28:29], 0, v21, s[28:29]
	v_cmp_ne_u32_e64 s[28:29], 0, v7
                                        ; implicit-def: $vgpr6
	s_and_saveexec_b64 s[30:31], s[28:29]
	s_xor_b64 s[30:31], exec, s[30:31]
; %bb.1627:                             ;   in Loop: Header=BB6_1611 Depth=4
	v_add_u32_e32 v6, 7, v22
	v_cmp_lt_u64_e64 s[28:29], s[56:57], v[20:21]
	v_cndmask_b32_e64 v6, v7, v6, s[28:29]
	v_cndmask_b32_e64 v7, 0, 1, s[28:29]
	v_lshrrev_b64 v[20:21], v7, v[20:21]
; %bb.1628:                             ;   in Loop: Header=BB6_1611 Depth=4
	s_andn2_saveexec_b64 s[28:29], s[30:31]
; %bb.1629:                             ;   in Loop: Header=BB6_1611 Depth=4
	v_bfe_u32 v6, v20, 23, 1
; %bb.1630:                             ;   in Loop: Header=BB6_1611 Depth=4
	s_or_b64 exec, exec, s[28:29]
	v_lshrrev_b64 v[20:21], 20, v[20:21]
	v_cmp_gt_i32_e64 s[28:29], 16, v6
	v_cndmask_b32_e64 v21, 0, v21, s[28:29]
	v_cndmask_b32_e64 v20, 7, v20, s[28:29]
	v_cmp_eq_u32_e64 s[28:29], 0, v6
	v_min_i32_e32 v6, 15, v6
	v_cmp_eq_u64_e64 s[30:31], 0, v[20:21]
	v_lshlrev_b32_e32 v6, 3, v6
	v_and_or_b32 v6, v20, 7, v6
	s_and_b64 s[28:29], s[28:29], s[30:31]
	v_cndmask_b32_e64 v6, v6, 0, s[28:29]
	v_or_b32_e32 v6, v6, v3
.LBB6_1631:                             ;   in Loop: Header=BB6_1611 Depth=4
	s_or_b64 exec, exec, s[72:73]
.LBB6_1632:                             ;   in Loop: Header=BB6_1611 Depth=4
	s_or_b64 exec, exec, s[70:71]
                                        ; implicit-def: $vgpr7
.LBB6_1633:                             ;   in Loop: Header=BB6_1611 Depth=4
	s_andn2_saveexec_b64 s[30:31], s[68:69]
; %bb.1634:                             ;   in Loop: Header=BB6_1611 Depth=4
	v_or_b32_sdwa v3, v7, s92 dst_sel:DWORD dst_unused:UNUSED_PAD src0_sel:BYTE_3 src1_sel:DWORD
	v_cmp_eq_u64_e64 s[28:29], 0, v[26:27]
	v_cndmask_b32_e64 v6, v3, v6, s[28:29]
; %bb.1635:                             ;   in Loop: Header=BB6_1611 Depth=4
	s_or_b64 exec, exec, s[30:31]
	v_lshrrev_b16_e32 v20, 8, v12
	v_cmp_ne_u16_e64 s[28:29], 0, v20
	v_mov_b32_e32 v3, 0
	v_mov_b32_e32 v7, 0
	s_and_saveexec_b64 s[30:31], s[28:29]
	s_cbranch_execz .LBB6_1641
; %bb.1636:                             ;   in Loop: Header=BB6_1611 Depth=4
	v_cmp_ne_u16_e64 s[28:29], s91, v20
	v_bfrev_b32_e32 v7, 1
	s_and_saveexec_b64 s[68:69], s[28:29]
	s_cbranch_execz .LBB6_1640
; %bb.1637:                             ;   in Loop: Header=BB6_1611 Depth=4
	v_and_b32_e32 v21, 0x7f, v20
	v_cmp_ne_u32_e64 s[28:29], s92, v21
	v_mov_b32_e32 v7, 0x7f800001
	s_and_saveexec_b64 s[70:71], s[28:29]
	s_cbranch_execz .LBB6_1639
; %bb.1638:                             ;   in Loop: Header=BB6_1611 Depth=4
	v_and_b32_e32 v7, 7, v20
	v_lshrrev_b32_e32 v22, 3, v21
	v_cmp_gt_u32_e64 s[28:29], 8, v21
	v_ffbh_u32_e32 v21, v7
	v_min_u32_e32 v26, 32, v21
	v_subrev_u32_e32 v21, 28, v26
	v_lshlrev_b64 v[20:21], v21, v[20:21]
	v_sub_u32_e32 v21, 29, v26
	v_and_b32_e32 v20, 7, v20
	v_cndmask_b32_e64 v21, v22, v21, s[28:29]
	v_cndmask_b32_e64 v7, v7, v20, s[28:29]
	v_lshlrev_b32_e32 v20, 16, v12
	v_lshlrev_b32_e32 v7, 20, v7
	v_and_b32_e32 v20, 0x80000000, v20
	v_lshl_add_u32 v21, v21, 23, v31
	v_or3_b32 v7, v20, v21, v7
.LBB6_1639:                             ;   in Loop: Header=BB6_1611 Depth=4
	s_or_b64 exec, exec, s[70:71]
.LBB6_1640:                             ;   in Loop: Header=BB6_1611 Depth=4
	s_or_b64 exec, exec, s[68:69]
.LBB6_1641:                             ;   in Loop: Header=BB6_1611 Depth=4
	s_or_b64 exec, exec, s[30:31]
	v_lshrrev_b16_e32 v20, 8, v8
	v_cmp_ne_u16_e64 s[28:29], 0, v20
	s_and_saveexec_b64 s[30:31], s[28:29]
	s_cbranch_execz .LBB6_1647
; %bb.1642:                             ;   in Loop: Header=BB6_1611 Depth=4
	v_cmp_ne_u16_e64 s[28:29], s91, v20
	v_bfrev_b32_e32 v3, 1
	s_and_saveexec_b64 s[68:69], s[28:29]
	s_cbranch_execz .LBB6_1646
; %bb.1643:                             ;   in Loop: Header=BB6_1611 Depth=4
	v_and_b32_e32 v21, 0x7f, v20
	v_cmp_ne_u32_e64 s[28:29], s92, v21
	v_mov_b32_e32 v3, 0x7f800001
	s_and_saveexec_b64 s[70:71], s[28:29]
	s_cbranch_execz .LBB6_1645
; %bb.1644:                             ;   in Loop: Header=BB6_1611 Depth=4
	v_and_b32_e32 v3, 7, v20
	v_lshrrev_b32_e32 v22, 3, v21
	v_cmp_gt_u32_e64 s[28:29], 8, v21
	v_ffbh_u32_e32 v21, v3
	v_min_u32_e32 v26, 32, v21
	v_subrev_u32_e32 v21, 28, v26
	v_lshlrev_b64 v[20:21], v21, v[20:21]
	v_sub_u32_e32 v21, 29, v26
	v_and_b32_e32 v20, 7, v20
	v_cndmask_b32_e64 v21, v22, v21, s[28:29]
	v_cndmask_b32_e64 v3, v3, v20, s[28:29]
	v_lshlrev_b32_e32 v20, 16, v8
	v_lshlrev_b32_e32 v3, 20, v3
	v_and_b32_e32 v20, 0x80000000, v20
	v_lshl_add_u32 v21, v21, 23, v31
	v_or3_b32 v3, v20, v21, v3
.LBB6_1645:                             ;   in Loop: Header=BB6_1611 Depth=4
	s_or_b64 exec, exec, s[70:71]
.LBB6_1646:                             ;   in Loop: Header=BB6_1611 Depth=4
	s_or_b64 exec, exec, s[68:69]
.LBB6_1647:                             ;   in Loop: Header=BB6_1611 Depth=4
	s_or_b64 exec, exec, s[30:31]
	v_add_f32_e32 v20, v7, v3
	v_and_b32_sdwa v3, v20, s91 dst_sel:DWORD dst_unused:UNUSED_PAD src0_sel:BYTE_3 src1_sel:DWORD
	v_and_b32_e32 v32, 0x7f800000, v20
	v_mov_b32_e32 v33, v27
	v_and_b32_e32 v26, 0x7fffff, v20
	v_or_b32_e32 v7, 0x7e, v3
	v_cmp_ne_u64_e64 s[28:29], s[52:53], v[32:33]
	s_and_saveexec_b64 s[30:31], s[28:29]
	s_xor_b64 s[68:69], exec, s[30:31]
	s_cbranch_execz .LBB6_1657
; %bb.1648:                             ;   in Loop: Header=BB6_1611 Depth=4
	v_and_b32_e32 v32, 0x7fffffff, v20
	v_mov_b32_e32 v33, v27
	v_cmp_gt_u64_e64 s[28:29], s[54:55], v[32:33]
	s_and_saveexec_b64 s[70:71], s[28:29]
	s_cbranch_execz .LBB6_1656
; %bb.1649:                             ;   in Loop: Header=BB6_1611 Depth=4
	v_cmp_ne_u32_e64 s[28:29], 0, v20
	v_mov_b32_e32 v7, 0
	s_and_saveexec_b64 s[72:73], s[28:29]
	s_cbranch_execz .LBB6_1655
; %bb.1650:                             ;   in Loop: Header=BB6_1611 Depth=4
	v_bfe_u32 v7, v20, 23, 8
	v_cmp_eq_u32_e64 s[28:29], 0, v7
	v_add_u32_e32 v20, 0xffffff81, v7
	v_cmp_gt_u32_e64 s[30:31], s93, v7
	v_sub_u32_e32 v7, 0x79, v7
	v_mov_b32_e32 v22, 0xffffff82
	v_cndmask_b32_e64 v7, 0, v7, s[30:31]
	v_cndmask_b32_e64 v22, v20, v22, s[28:29]
	v_mov_b32_e32 v20, 0x78
	v_cndmask_b32_e64 v7, v7, v20, s[28:29]
	v_or_b32_e32 v21, 0x800000, v26
	v_add_u32_e32 v20, 20, v7
	v_cndmask_b32_e64 v26, v21, v26, s[28:29]
	v_lshlrev_b64 v[20:21], v20, -1
	v_not_b32_e32 v21, v21
	v_not_b32_e32 v20, v20
	v_add_u32_e32 v29, 19, v7
	v_and_b32_e32 v21, 0, v21
	v_and_b32_e32 v20, v26, v20
	v_lshlrev_b64 v[32:33], v29, 1
	v_cmp_eq_u64_e64 s[28:29], v[20:21], v[32:33]
	v_lshrrev_b64 v[20:21], v7, v[26:27]
	v_lshrrev_b32_e32 v26, 23, v20
	v_add3_u32 v26, v7, v22, v26
	v_bfe_u32 v7, v20, 20, 1
	v_add_u32_e32 v7, -1, v7
	v_cndmask_b32_e64 v7, 0, v7, s[28:29]
	v_add_u32_e32 v7, v7, v20
	v_and_b32_e32 v7, 0xfffff, v7
	v_add_co_u32_e64 v20, s[28:29], v7, v20
	v_add_u32_e32 v22, 6, v26
	v_addc_co_u32_e64 v21, s[28:29], 0, v21, s[28:29]
	v_cmp_ne_u32_e64 s[28:29], 0, v22
                                        ; implicit-def: $vgpr7
	s_and_saveexec_b64 s[30:31], s[28:29]
	s_xor_b64 s[30:31], exec, s[30:31]
; %bb.1651:                             ;   in Loop: Header=BB6_1611 Depth=4
	v_add_u32_e32 v7, 7, v26
	v_cmp_lt_u64_e64 s[28:29], s[56:57], v[20:21]
	v_cndmask_b32_e64 v7, v22, v7, s[28:29]
	v_cndmask_b32_e64 v22, 0, 1, s[28:29]
	v_lshrrev_b64 v[20:21], v22, v[20:21]
; %bb.1652:                             ;   in Loop: Header=BB6_1611 Depth=4
	s_andn2_saveexec_b64 s[28:29], s[30:31]
; %bb.1653:                             ;   in Loop: Header=BB6_1611 Depth=4
	v_bfe_u32 v7, v20, 23, 1
; %bb.1654:                             ;   in Loop: Header=BB6_1611 Depth=4
	s_or_b64 exec, exec, s[28:29]
	v_lshrrev_b64 v[20:21], 20, v[20:21]
	v_cmp_gt_i32_e64 s[28:29], 16, v7
	v_cndmask_b32_e64 v21, 0, v21, s[28:29]
	v_cndmask_b32_e64 v20, 7, v20, s[28:29]
	v_cmp_eq_u32_e64 s[28:29], 0, v7
	v_min_i32_e32 v7, 15, v7
	v_cmp_eq_u64_e64 s[30:31], 0, v[20:21]
	v_lshlrev_b32_e32 v7, 3, v7
	v_and_or_b32 v7, v20, 7, v7
	s_and_b64 s[28:29], s[28:29], s[30:31]
	v_cndmask_b32_e64 v7, v7, 0, s[28:29]
	v_or_b32_e32 v7, v7, v3
.LBB6_1655:                             ;   in Loop: Header=BB6_1611 Depth=4
	s_or_b64 exec, exec, s[72:73]
.LBB6_1656:                             ;   in Loop: Header=BB6_1611 Depth=4
	s_or_b64 exec, exec, s[70:71]
                                        ; implicit-def: $vgpr20
.LBB6_1657:                             ;   in Loop: Header=BB6_1611 Depth=4
	s_andn2_saveexec_b64 s[30:31], s[68:69]
; %bb.1658:                             ;   in Loop: Header=BB6_1611 Depth=4
	v_or_b32_sdwa v3, v20, s92 dst_sel:DWORD dst_unused:UNUSED_PAD src0_sel:BYTE_3 src1_sel:DWORD
	v_cmp_eq_u64_e64 s[28:29], 0, v[26:27]
	v_cndmask_b32_e64 v7, v3, v7, s[28:29]
; %bb.1659:                             ;   in Loop: Header=BB6_1611 Depth=4
	s_or_b64 exec, exec, s[30:31]
	v_lshrrev_b32_e32 v20, 16, v12
	v_cmp_ne_u16_sdwa s[28:29], v20, v27 src0_sel:BYTE_0 src1_sel:DWORD
	v_mov_b32_e32 v3, 0
	v_mov_b32_e32 v21, 0
	s_and_saveexec_b64 s[30:31], s[28:29]
	s_cbranch_execz .LBB6_1665
; %bb.1660:                             ;   in Loop: Header=BB6_1611 Depth=4
	v_cmp_ne_u16_sdwa s[28:29], v20, s91 src0_sel:BYTE_0 src1_sel:DWORD
	v_bfrev_b32_e32 v21, 1
	s_and_saveexec_b64 s[68:69], s[28:29]
	s_cbranch_execz .LBB6_1664
; %bb.1661:                             ;   in Loop: Header=BB6_1611 Depth=4
	v_bfe_u32 v22, v12, 16, 7
	v_cmp_ne_u32_e64 s[28:29], s92, v22
	v_mov_b32_e32 v21, 0x7f800001
	s_and_saveexec_b64 s[70:71], s[28:29]
	s_cbranch_execz .LBB6_1663
; %bb.1662:                             ;   in Loop: Header=BB6_1611 Depth=4
	v_and_b32_e32 v21, 7, v20
	v_lshrrev_b32_e32 v26, 3, v22
	v_cmp_gt_u32_e64 s[28:29], 8, v22
	v_ffbh_u32_e32 v22, v21
	v_min_u32_e32 v22, 32, v22
	v_subrev_u32_e32 v29, 28, v22
	v_lshlrev_b64 v[32:33], v29, v[20:21]
	v_sub_u32_e32 v22, 29, v22
	v_and_b32_e32 v29, 7, v32
	v_cndmask_b32_e64 v22, v26, v22, s[28:29]
	v_cndmask_b32_e64 v21, v21, v29, s[28:29]
	v_lshlrev_b32_e32 v20, 24, v20
	v_lshlrev_b32_e32 v21, 20, v21
	v_and_b32_e32 v20, 0x80000000, v20
	v_lshl_add_u32 v22, v22, 23, v31
	v_or3_b32 v21, v20, v22, v21
.LBB6_1663:                             ;   in Loop: Header=BB6_1611 Depth=4
	s_or_b64 exec, exec, s[70:71]
.LBB6_1664:                             ;   in Loop: Header=BB6_1611 Depth=4
	s_or_b64 exec, exec, s[68:69]
.LBB6_1665:                             ;   in Loop: Header=BB6_1611 Depth=4
	s_or_b64 exec, exec, s[30:31]
	v_lshrrev_b32_e32 v20, 16, v8
	v_cmp_ne_u16_sdwa s[28:29], v20, v27 src0_sel:BYTE_0 src1_sel:DWORD
	s_and_saveexec_b64 s[30:31], s[28:29]
	s_cbranch_execz .LBB6_1671
; %bb.1666:                             ;   in Loop: Header=BB6_1611 Depth=4
	v_cmp_ne_u16_sdwa s[28:29], v20, s91 src0_sel:BYTE_0 src1_sel:DWORD
	v_bfrev_b32_e32 v3, 1
	s_and_saveexec_b64 s[68:69], s[28:29]
	s_cbranch_execz .LBB6_1670
; %bb.1667:                             ;   in Loop: Header=BB6_1611 Depth=4
	v_bfe_u32 v22, v8, 16, 7
	v_cmp_ne_u32_e64 s[28:29], s92, v22
	v_mov_b32_e32 v3, 0x7f800001
	s_and_saveexec_b64 s[70:71], s[28:29]
	s_cbranch_execz .LBB6_1669
; %bb.1668:                             ;   in Loop: Header=BB6_1611 Depth=4
	v_and_b32_e32 v3, 7, v20
	v_lshrrev_b32_e32 v26, 3, v22
	v_cmp_gt_u32_e64 s[28:29], 8, v22
	v_ffbh_u32_e32 v22, v3
	v_min_u32_e32 v22, 32, v22
	v_subrev_u32_e32 v29, 28, v22
	v_lshlrev_b64 v[32:33], v29, v[20:21]
	v_sub_u32_e32 v20, 29, v22
	v_and_b32_e32 v22, 7, v32
	v_cndmask_b32_e64 v20, v26, v20, s[28:29]
	v_cndmask_b32_e64 v3, v3, v22, s[28:29]
	v_lshlrev_b32_e32 v22, 8, v8
	v_lshlrev_b32_e32 v3, 20, v3
	v_and_b32_e32 v22, 0x80000000, v22
	v_lshl_add_u32 v20, v20, 23, v31
	v_or3_b32 v3, v22, v20, v3
.LBB6_1669:                             ;   in Loop: Header=BB6_1611 Depth=4
	s_or_b64 exec, exec, s[70:71]
.LBB6_1670:                             ;   in Loop: Header=BB6_1611 Depth=4
	s_or_b64 exec, exec, s[68:69]
.LBB6_1671:                             ;   in Loop: Header=BB6_1611 Depth=4
	s_or_b64 exec, exec, s[30:31]
	v_add_f32_e32 v20, v21, v3
	v_and_b32_sdwa v3, v20, s91 dst_sel:DWORD dst_unused:UNUSED_PAD src0_sel:BYTE_3 src1_sel:DWORD
	v_and_b32_e32 v32, 0x7f800000, v20
	v_mov_b32_e32 v33, v27
	v_and_b32_e32 v26, 0x7fffff, v20
	v_or_b32_e32 v36, 0x7e, v3
	v_cmp_ne_u64_e64 s[28:29], s[52:53], v[32:33]
	s_and_saveexec_b64 s[30:31], s[28:29]
	s_xor_b64 s[68:69], exec, s[30:31]
	s_cbranch_execz .LBB6_1681
; %bb.1672:                             ;   in Loop: Header=BB6_1611 Depth=4
	v_and_b32_e32 v32, 0x7fffffff, v20
	v_mov_b32_e32 v33, v27
	v_cmp_gt_u64_e64 s[28:29], s[54:55], v[32:33]
	s_and_saveexec_b64 s[70:71], s[28:29]
	s_cbranch_execz .LBB6_1680
; %bb.1673:                             ;   in Loop: Header=BB6_1611 Depth=4
	v_cmp_ne_u32_e64 s[28:29], 0, v20
	v_mov_b32_e32 v36, 0
	s_and_saveexec_b64 s[72:73], s[28:29]
	s_cbranch_execz .LBB6_1679
; %bb.1674:                             ;   in Loop: Header=BB6_1611 Depth=4
	v_bfe_u32 v20, v20, 23, 8
	v_cmp_eq_u32_e64 s[28:29], 0, v20
	v_add_u32_e32 v21, 0xffffff81, v20
	v_cmp_gt_u32_e64 s[30:31], s93, v20
	v_sub_u32_e32 v20, 0x79, v20
	v_mov_b32_e32 v29, 0xffffff82
	v_cndmask_b32_e64 v20, 0, v20, s[30:31]
	v_cndmask_b32_e64 v29, v21, v29, s[28:29]
	v_mov_b32_e32 v21, 0x78
	v_cndmask_b32_e64 v34, v20, v21, s[28:29]
	v_add_u32_e32 v20, 20, v34
	v_or_b32_e32 v22, 0x800000, v26
	v_lshlrev_b64 v[20:21], v20, -1
	v_cndmask_b32_e64 v26, v22, v26, s[28:29]
	v_not_b32_e32 v21, v21
	v_not_b32_e32 v20, v20
	v_add_u32_e32 v22, 19, v34
	v_and_b32_e32 v21, 0, v21
	v_and_b32_e32 v20, v26, v20
	v_lshlrev_b64 v[32:33], v22, 1
	v_cmp_eq_u64_e64 s[28:29], v[20:21], v[32:33]
	v_lshrrev_b64 v[20:21], v34, v[26:27]
	v_lshrrev_b32_e32 v22, 23, v20
	v_add3_u32 v29, v34, v29, v22
	v_bfe_u32 v22, v20, 20, 1
	v_add_u32_e32 v22, -1, v22
	v_cndmask_b32_e64 v22, 0, v22, s[28:29]
	v_add_u32_e32 v22, v22, v20
	v_and_b32_e32 v22, 0xfffff, v22
	v_add_co_u32_e64 v20, s[28:29], v22, v20
	v_add_u32_e32 v26, 6, v29
	v_addc_co_u32_e64 v21, s[28:29], 0, v21, s[28:29]
	v_cmp_ne_u32_e64 s[28:29], 0, v26
                                        ; implicit-def: $vgpr22
	s_and_saveexec_b64 s[30:31], s[28:29]
	s_xor_b64 s[30:31], exec, s[30:31]
; %bb.1675:                             ;   in Loop: Header=BB6_1611 Depth=4
	v_add_u32_e32 v22, 7, v29
	v_cmp_lt_u64_e64 s[28:29], s[56:57], v[20:21]
	v_cndmask_b32_e64 v22, v26, v22, s[28:29]
	v_cndmask_b32_e64 v26, 0, 1, s[28:29]
	v_lshrrev_b64 v[20:21], v26, v[20:21]
; %bb.1676:                             ;   in Loop: Header=BB6_1611 Depth=4
	s_andn2_saveexec_b64 s[28:29], s[30:31]
; %bb.1677:                             ;   in Loop: Header=BB6_1611 Depth=4
	v_bfe_u32 v22, v20, 23, 1
; %bb.1678:                             ;   in Loop: Header=BB6_1611 Depth=4
	s_or_b64 exec, exec, s[28:29]
	v_lshrrev_b64 v[20:21], 20, v[20:21]
	v_cmp_gt_i32_e64 s[28:29], 16, v22
	v_cndmask_b32_e64 v21, 0, v21, s[28:29]
	v_cndmask_b32_e64 v20, 7, v20, s[28:29]
	v_cmp_eq_u64_e64 s[30:31], 0, v[20:21]
	v_min_i32_e32 v21, 15, v22
	v_cmp_eq_u32_e64 s[28:29], 0, v22
	v_lshlrev_b32_e32 v21, 3, v21
	v_and_or_b32 v20, v20, 7, v21
	s_and_b64 s[28:29], s[28:29], s[30:31]
	v_cndmask_b32_e64 v20, v20, 0, s[28:29]
	v_or_b32_e32 v36, v20, v3
.LBB6_1679:                             ;   in Loop: Header=BB6_1611 Depth=4
	s_or_b64 exec, exec, s[72:73]
.LBB6_1680:                             ;   in Loop: Header=BB6_1611 Depth=4
	s_or_b64 exec, exec, s[70:71]
                                        ; implicit-def: $vgpr20
.LBB6_1681:                             ;   in Loop: Header=BB6_1611 Depth=4
	s_andn2_saveexec_b64 s[30:31], s[68:69]
; %bb.1682:                             ;   in Loop: Header=BB6_1611 Depth=4
	v_or_b32_sdwa v3, v20, s92 dst_sel:DWORD dst_unused:UNUSED_PAD src0_sel:BYTE_3 src1_sel:DWORD
	v_cmp_eq_u64_e64 s[28:29], 0, v[26:27]
	v_cndmask_b32_e64 v36, v3, v36, s[28:29]
; %bb.1683:                             ;   in Loop: Header=BB6_1611 Depth=4
	s_or_b64 exec, exec, s[30:31]
	v_cmp_lt_u32_e64 s[28:29], s43, v12
	v_mov_b32_e32 v3, 0
	v_mov_b32_e32 v21, 0
	s_and_saveexec_b64 s[30:31], s[28:29]
	s_cbranch_execz .LBB6_1689
; %bb.1684:                             ;   in Loop: Header=BB6_1611 Depth=4
	v_lshrrev_b32_e32 v20, 24, v12
	v_cmp_ne_u32_e64 s[28:29], s91, v20
	v_bfrev_b32_e32 v21, 1
	s_and_saveexec_b64 s[68:69], s[28:29]
	s_cbranch_execz .LBB6_1688
; %bb.1685:                             ;   in Loop: Header=BB6_1611 Depth=4
	v_bfe_u32 v22, v12, 24, 7
	v_cmp_ne_u32_e64 s[28:29], s92, v22
	v_mov_b32_e32 v21, 0x7f800001
	s_and_saveexec_b64 s[70:71], s[28:29]
	s_cbranch_execz .LBB6_1687
; %bb.1686:                             ;   in Loop: Header=BB6_1611 Depth=4
	v_and_b32_e32 v21, 7, v20
	v_lshrrev_b32_e32 v26, 3, v22
	v_cmp_gt_u32_e64 s[28:29], 8, v22
	v_ffbh_u32_e32 v22, v21
	v_min_u32_e32 v22, 32, v22
	v_subrev_u32_e32 v29, 28, v22
	v_lshlrev_b64 v[32:33], v29, v[20:21]
	v_sub_u32_e32 v22, 29, v22
	v_and_b32_e32 v29, 7, v32
	v_cndmask_b32_e64 v22, v26, v22, s[28:29]
	v_cndmask_b32_e64 v21, v21, v29, s[28:29]
	v_lshlrev_b32_e32 v20, 24, v20
	v_lshlrev_b32_e32 v21, 20, v21
	v_and_b32_e32 v20, 0x80000000, v20
	v_lshl_add_u32 v22, v22, 23, v31
	v_or3_b32 v21, v20, v22, v21
.LBB6_1687:                             ;   in Loop: Header=BB6_1611 Depth=4
	s_or_b64 exec, exec, s[70:71]
.LBB6_1688:                             ;   in Loop: Header=BB6_1611 Depth=4
	s_or_b64 exec, exec, s[68:69]
.LBB6_1689:                             ;   in Loop: Header=BB6_1611 Depth=4
	s_or_b64 exec, exec, s[30:31]
	v_cmp_lt_u32_e64 s[28:29], s43, v8
	s_and_saveexec_b64 s[30:31], s[28:29]
	s_cbranch_execz .LBB6_1695
; %bb.1690:                             ;   in Loop: Header=BB6_1611 Depth=4
	v_lshrrev_b32_e32 v20, 24, v8
	v_cmp_ne_u32_e64 s[28:29], s91, v20
	v_bfrev_b32_e32 v3, 1
	s_and_saveexec_b64 s[68:69], s[28:29]
	s_cbranch_execz .LBB6_1694
; %bb.1691:                             ;   in Loop: Header=BB6_1611 Depth=4
	v_bfe_u32 v22, v8, 24, 7
	v_cmp_ne_u32_e64 s[28:29], s92, v22
	v_mov_b32_e32 v3, 0x7f800001
	s_and_saveexec_b64 s[70:71], s[28:29]
	s_cbranch_execz .LBB6_1693
; %bb.1692:                             ;   in Loop: Header=BB6_1611 Depth=4
	v_and_b32_e32 v3, 7, v20
	v_lshrrev_b32_e32 v26, 3, v22
	v_cmp_gt_u32_e64 s[28:29], 8, v22
	v_ffbh_u32_e32 v22, v3
	v_min_u32_e32 v22, 32, v22
	v_subrev_u32_e32 v29, 28, v22
	v_lshlrev_b64 v[32:33], v29, v[20:21]
	v_sub_u32_e32 v22, 29, v22
	v_and_b32_e32 v29, 7, v32
	v_cndmask_b32_e64 v22, v26, v22, s[28:29]
	v_cndmask_b32_e64 v3, v3, v29, s[28:29]
	v_lshlrev_b32_e32 v20, 24, v20
	v_lshlrev_b32_e32 v3, 20, v3
	v_and_b32_e32 v20, 0x80000000, v20
	v_lshl_add_u32 v22, v22, 23, v31
	v_or3_b32 v3, v20, v22, v3
.LBB6_1693:                             ;   in Loop: Header=BB6_1611 Depth=4
	s_or_b64 exec, exec, s[70:71]
.LBB6_1694:                             ;   in Loop: Header=BB6_1611 Depth=4
	s_or_b64 exec, exec, s[68:69]
.LBB6_1695:                             ;   in Loop: Header=BB6_1611 Depth=4
	s_or_b64 exec, exec, s[30:31]
	v_add_f32_e32 v20, v21, v3
	v_and_b32_sdwa v3, v20, s91 dst_sel:DWORD dst_unused:UNUSED_PAD src0_sel:BYTE_3 src1_sel:DWORD
	v_and_b32_e32 v32, 0x7f800000, v20
	v_mov_b32_e32 v33, v27
	v_and_b32_e32 v26, 0x7fffff, v20
	v_or_b32_e32 v37, 0x7e, v3
	v_cmp_ne_u64_e64 s[28:29], s[52:53], v[32:33]
	s_and_saveexec_b64 s[30:31], s[28:29]
	s_xor_b64 s[68:69], exec, s[30:31]
	s_cbranch_execz .LBB6_1705
; %bb.1696:                             ;   in Loop: Header=BB6_1611 Depth=4
	v_and_b32_e32 v32, 0x7fffffff, v20
	v_mov_b32_e32 v33, v27
	v_cmp_gt_u64_e64 s[28:29], s[54:55], v[32:33]
	s_and_saveexec_b64 s[70:71], s[28:29]
	s_cbranch_execz .LBB6_1704
; %bb.1697:                             ;   in Loop: Header=BB6_1611 Depth=4
	v_cmp_ne_u32_e64 s[28:29], 0, v20
	v_mov_b32_e32 v37, 0
	s_and_saveexec_b64 s[72:73], s[28:29]
	s_cbranch_execz .LBB6_1703
; %bb.1698:                             ;   in Loop: Header=BB6_1611 Depth=4
	v_bfe_u32 v20, v20, 23, 8
	v_cmp_eq_u32_e64 s[28:29], 0, v20
	v_add_u32_e32 v21, 0xffffff81, v20
	v_cmp_gt_u32_e64 s[30:31], s93, v20
	v_sub_u32_e32 v20, 0x79, v20
	v_mov_b32_e32 v29, 0xffffff82
	v_cndmask_b32_e64 v20, 0, v20, s[30:31]
	v_cndmask_b32_e64 v29, v21, v29, s[28:29]
	v_mov_b32_e32 v21, 0x78
	v_cndmask_b32_e64 v34, v20, v21, s[28:29]
	v_add_u32_e32 v20, 20, v34
	v_or_b32_e32 v22, 0x800000, v26
	v_lshlrev_b64 v[20:21], v20, -1
	v_cndmask_b32_e64 v26, v22, v26, s[28:29]
	v_not_b32_e32 v21, v21
	v_not_b32_e32 v20, v20
	v_add_u32_e32 v22, 19, v34
	v_and_b32_e32 v21, 0, v21
	v_and_b32_e32 v20, v26, v20
	v_lshlrev_b64 v[32:33], v22, 1
	v_cmp_eq_u64_e64 s[28:29], v[20:21], v[32:33]
	v_lshrrev_b64 v[20:21], v34, v[26:27]
	v_lshrrev_b32_e32 v22, 23, v20
	v_add3_u32 v29, v34, v29, v22
	v_bfe_u32 v22, v20, 20, 1
	v_add_u32_e32 v22, -1, v22
	v_cndmask_b32_e64 v22, 0, v22, s[28:29]
	v_add_u32_e32 v22, v22, v20
	v_and_b32_e32 v22, 0xfffff, v22
	v_add_co_u32_e64 v20, s[28:29], v22, v20
	v_add_u32_e32 v26, 6, v29
	v_addc_co_u32_e64 v21, s[28:29], 0, v21, s[28:29]
	v_cmp_ne_u32_e64 s[28:29], 0, v26
                                        ; implicit-def: $vgpr22
	s_and_saveexec_b64 s[30:31], s[28:29]
	s_xor_b64 s[30:31], exec, s[30:31]
; %bb.1699:                             ;   in Loop: Header=BB6_1611 Depth=4
	v_add_u32_e32 v22, 7, v29
	v_cmp_lt_u64_e64 s[28:29], s[56:57], v[20:21]
	v_cndmask_b32_e64 v22, v26, v22, s[28:29]
	v_cndmask_b32_e64 v26, 0, 1, s[28:29]
	v_lshrrev_b64 v[20:21], v26, v[20:21]
; %bb.1700:                             ;   in Loop: Header=BB6_1611 Depth=4
	s_andn2_saveexec_b64 s[28:29], s[30:31]
; %bb.1701:                             ;   in Loop: Header=BB6_1611 Depth=4
	v_bfe_u32 v22, v20, 23, 1
; %bb.1702:                             ;   in Loop: Header=BB6_1611 Depth=4
	s_or_b64 exec, exec, s[28:29]
	v_lshrrev_b64 v[20:21], 20, v[20:21]
	v_cmp_gt_i32_e64 s[28:29], 16, v22
	v_cndmask_b32_e64 v21, 0, v21, s[28:29]
	v_cndmask_b32_e64 v20, 7, v20, s[28:29]
	v_cmp_eq_u64_e64 s[30:31], 0, v[20:21]
	v_min_i32_e32 v21, 15, v22
	v_cmp_eq_u32_e64 s[28:29], 0, v22
	v_lshlrev_b32_e32 v21, 3, v21
	v_and_or_b32 v20, v20, 7, v21
	s_and_b64 s[28:29], s[28:29], s[30:31]
	v_cndmask_b32_e64 v20, v20, 0, s[28:29]
	v_or_b32_e32 v37, v20, v3
.LBB6_1703:                             ;   in Loop: Header=BB6_1611 Depth=4
	s_or_b64 exec, exec, s[72:73]
.LBB6_1704:                             ;   in Loop: Header=BB6_1611 Depth=4
	s_or_b64 exec, exec, s[70:71]
                                        ; implicit-def: $vgpr20
.LBB6_1705:                             ;   in Loop: Header=BB6_1611 Depth=4
	s_andn2_saveexec_b64 s[30:31], s[68:69]
; %bb.1706:                             ;   in Loop: Header=BB6_1611 Depth=4
	v_or_b32_sdwa v3, v20, s92 dst_sel:DWORD dst_unused:UNUSED_PAD src0_sel:BYTE_3 src1_sel:DWORD
	v_cmp_eq_u64_e64 s[28:29], 0, v[26:27]
	v_cndmask_b32_e64 v37, v3, v37, s[28:29]
; %bb.1707:                             ;   in Loop: Header=BB6_1611 Depth=4
	s_or_b64 exec, exec, s[30:31]
	v_mov_b32_e32 v26, v13
	v_cmp_ne_u16_sdwa s[28:29], v13, v27 src0_sel:BYTE_0 src1_sel:DWORD
	v_mov_b32_e32 v20, 0
	v_mov_b32_e32 v3, 0
	s_and_saveexec_b64 s[30:31], s[28:29]
	s_cbranch_execz .LBB6_1713
; %bb.1708:                             ;   in Loop: Header=BB6_1611 Depth=4
	v_cmp_ne_u16_sdwa s[28:29], v13, s91 src0_sel:BYTE_0 src1_sel:DWORD
	v_bfrev_b32_e32 v3, 1
	s_and_saveexec_b64 s[68:69], s[28:29]
	s_cbranch_execz .LBB6_1712
; %bb.1709:                             ;   in Loop: Header=BB6_1611 Depth=4
	v_and_b32_e32 v21, 0x7f, v13
	v_cmp_ne_u32_e64 s[28:29], s92, v21
	v_mov_b32_e32 v3, 0x7f800001
	s_and_saveexec_b64 s[70:71], s[28:29]
	s_cbranch_execz .LBB6_1711
; %bb.1710:                             ;   in Loop: Header=BB6_1611 Depth=4
	v_and_b32_e32 v3, 7, v13
	v_ffbh_u32_e32 v3, v3
	v_min_u32_e32 v3, 32, v3
	v_lshrrev_b32_e32 v22, 3, v21
	v_cmp_gt_u32_e64 s[28:29], 8, v21
	v_subrev_u32_e32 v21, 28, v3
	v_cndmask_b32_e64 v21, 0, v21, s[28:29]
	v_sub_u32_e32 v3, 29, v3
	v_lshlrev_b64 v[32:33], v21, v[26:27]
	v_cndmask_b32_e64 v3, v22, v3, s[28:29]
	v_lshlrev_b32_e32 v21, 20, v32
	v_lshlrev_b32_e32 v22, 24, v26
	v_and_b32_e32 v21, 0x700000, v21
	v_and_b32_e32 v22, 0x80000000, v22
	v_lshl_add_u32 v3, v3, 23, v31
	v_or3_b32 v3, v22, v3, v21
.LBB6_1711:                             ;   in Loop: Header=BB6_1611 Depth=4
	s_or_b64 exec, exec, s[70:71]
.LBB6_1712:                             ;   in Loop: Header=BB6_1611 Depth=4
	s_or_b64 exec, exec, s[68:69]
.LBB6_1713:                             ;   in Loop: Header=BB6_1611 Depth=4
	s_or_b64 exec, exec, s[30:31]
	v_cmp_ne_u16_sdwa s[28:29], v9, v27 src0_sel:BYTE_0 src1_sel:DWORD
	s_and_saveexec_b64 s[30:31], s[28:29]
	s_cbranch_execz .LBB6_1719
; %bb.1714:                             ;   in Loop: Header=BB6_1611 Depth=4
	v_cmp_ne_u16_sdwa s[28:29], v9, s91 src0_sel:BYTE_0 src1_sel:DWORD
	v_bfrev_b32_e32 v20, 1
	s_and_saveexec_b64 s[68:69], s[28:29]
	s_cbranch_execz .LBB6_1718
; %bb.1715:                             ;   in Loop: Header=BB6_1611 Depth=4
	v_and_b32_e32 v21, 0x7f, v9
	v_cmp_ne_u32_e64 s[28:29], s92, v21
	v_mov_b32_e32 v20, 0x7f800001
	s_and_saveexec_b64 s[70:71], s[28:29]
	s_cbranch_execz .LBB6_1717
; %bb.1716:                             ;   in Loop: Header=BB6_1611 Depth=4
	v_and_b32_e32 v20, 7, v9
	v_ffbh_u32_e32 v20, v20
	v_min_u32_e32 v20, 32, v20
	v_lshrrev_b32_e32 v22, 3, v21
	v_cmp_gt_u32_e64 s[28:29], 8, v21
	v_subrev_u32_e32 v21, 28, v20
	v_sub_u32_e32 v20, 29, v20
	v_mov_b32_e32 v32, v9
	v_mov_b32_e32 v33, v27
	v_cndmask_b32_e64 v22, v22, v20, s[28:29]
	v_cndmask_b32_e64 v20, 0, v21, s[28:29]
	v_lshlrev_b64 v[20:21], v20, v[32:33]
	v_lshlrev_b32_e32 v20, 20, v20
	v_lshlrev_b32_e32 v21, 24, v32
	v_and_b32_e32 v20, 0x700000, v20
	v_and_b32_e32 v21, 0x80000000, v21
	v_lshl_add_u32 v22, v22, 23, v31
	v_or3_b32 v20, v21, v22, v20
.LBB6_1717:                             ;   in Loop: Header=BB6_1611 Depth=4
	s_or_b64 exec, exec, s[70:71]
.LBB6_1718:                             ;   in Loop: Header=BB6_1611 Depth=4
	s_or_b64 exec, exec, s[68:69]
.LBB6_1719:                             ;   in Loop: Header=BB6_1611 Depth=4
	s_or_b64 exec, exec, s[30:31]
	v_add_f32_e32 v22, v3, v20
	v_and_b32_sdwa v3, v22, s91 dst_sel:DWORD dst_unused:UNUSED_PAD src0_sel:BYTE_3 src1_sel:DWORD
	v_and_b32_e32 v32, 0x7f800000, v22
	v_mov_b32_e32 v33, v27
	v_and_b32_e32 v20, 0x7fffff, v22
	v_mov_b32_e32 v21, v27
	v_or_b32_e32 v38, 0x7e, v3
	v_cmp_ne_u64_e64 s[28:29], s[52:53], v[32:33]
	s_and_saveexec_b64 s[30:31], s[28:29]
	s_xor_b64 s[68:69], exec, s[30:31]
	s_cbranch_execz .LBB6_1729
; %bb.1720:                             ;   in Loop: Header=BB6_1611 Depth=4
	v_and_b32_e32 v32, 0x7fffffff, v22
	v_mov_b32_e32 v33, v27
	v_cmp_gt_u64_e64 s[28:29], s[54:55], v[32:33]
	s_and_saveexec_b64 s[70:71], s[28:29]
	s_cbranch_execz .LBB6_1728
; %bb.1721:                             ;   in Loop: Header=BB6_1611 Depth=4
	v_cmp_ne_u32_e64 s[28:29], 0, v22
	v_mov_b32_e32 v38, 0
	s_and_saveexec_b64 s[72:73], s[28:29]
	s_cbranch_execz .LBB6_1727
; %bb.1722:                             ;   in Loop: Header=BB6_1611 Depth=4
	v_bfe_u32 v22, v22, 23, 8
	v_cmp_eq_u32_e64 s[28:29], 0, v22
	v_add_u32_e32 v29, 0xffffff81, v22
	v_cmp_gt_u32_e64 s[30:31], s93, v22
	v_sub_u32_e32 v22, 0x79, v22
	v_mov_b32_e32 v33, 0xffffff82
	v_cndmask_b32_e64 v22, 0, v22, s[30:31]
	v_cndmask_b32_e64 v29, v29, v33, s[28:29]
	v_mov_b32_e32 v33, 0x78
	v_or_b32_e32 v32, 0x800000, v20
	v_cndmask_b32_e64 v22, v22, v33, s[28:29]
	v_cndmask_b32_e64 v20, v32, v20, s[28:29]
	v_add_u32_e32 v32, 20, v22
	v_lshlrev_b64 v[32:33], v32, -1
	v_not_b32_e32 v33, v33
	v_not_b32_e32 v32, v32
	v_add_u32_e32 v34, 19, v22
	v_and_b32_e32 v33, 0, v33
	v_and_b32_e32 v32, v20, v32
	v_lshlrev_b64 v[34:35], v34, 1
	v_lshrrev_b64 v[20:21], v22, v[20:21]
	v_cmp_eq_u64_e64 s[28:29], v[32:33], v[34:35]
	v_lshrrev_b32_e32 v32, 23, v20
	v_add3_u32 v38, v22, v29, v32
	v_bfe_u32 v22, v20, 20, 1
	v_add_u32_e32 v22, -1, v22
	v_cndmask_b32_e64 v22, 0, v22, s[28:29]
	v_add_u32_e32 v22, v22, v20
	v_and_b32_e32 v22, 0xfffff, v22
	v_add_co_u32_e64 v20, s[28:29], v22, v20
	v_add_u32_e32 v29, 6, v38
	v_addc_co_u32_e64 v21, s[28:29], 0, v21, s[28:29]
	v_cmp_ne_u32_e64 s[28:29], 0, v29
                                        ; implicit-def: $vgpr22
	s_and_saveexec_b64 s[30:31], s[28:29]
	s_xor_b64 s[30:31], exec, s[30:31]
; %bb.1723:                             ;   in Loop: Header=BB6_1611 Depth=4
	v_add_u32_e32 v22, 7, v38
	v_cmp_lt_u64_e64 s[28:29], s[56:57], v[20:21]
	v_cndmask_b32_e64 v22, v29, v22, s[28:29]
	v_cndmask_b32_e64 v29, 0, 1, s[28:29]
	v_lshrrev_b64 v[20:21], v29, v[20:21]
; %bb.1724:                             ;   in Loop: Header=BB6_1611 Depth=4
	s_andn2_saveexec_b64 s[28:29], s[30:31]
; %bb.1725:                             ;   in Loop: Header=BB6_1611 Depth=4
	v_bfe_u32 v22, v20, 23, 1
; %bb.1726:                             ;   in Loop: Header=BB6_1611 Depth=4
	s_or_b64 exec, exec, s[28:29]
	v_lshrrev_b64 v[20:21], 20, v[20:21]
	v_cmp_gt_i32_e64 s[28:29], 16, v22
	v_cndmask_b32_e64 v21, 0, v21, s[28:29]
	v_cndmask_b32_e64 v20, 7, v20, s[28:29]
	v_cmp_eq_u64_e64 s[30:31], 0, v[20:21]
	v_min_i32_e32 v21, 15, v22
	v_cmp_eq_u32_e64 s[28:29], 0, v22
	v_lshlrev_b32_e32 v21, 3, v21
	v_and_or_b32 v20, v20, 7, v21
	s_and_b64 s[28:29], s[28:29], s[30:31]
	v_cndmask_b32_e64 v20, v20, 0, s[28:29]
	v_or_b32_e32 v38, v20, v3
.LBB6_1727:                             ;   in Loop: Header=BB6_1611 Depth=4
	s_or_b64 exec, exec, s[72:73]
.LBB6_1728:                             ;   in Loop: Header=BB6_1611 Depth=4
	s_or_b64 exec, exec, s[70:71]
                                        ; implicit-def: $vgpr22
                                        ; implicit-def: $vgpr20_vgpr21
.LBB6_1729:                             ;   in Loop: Header=BB6_1611 Depth=4
	s_andn2_saveexec_b64 s[30:31], s[68:69]
; %bb.1730:                             ;   in Loop: Header=BB6_1611 Depth=4
	v_or_b32_sdwa v3, v22, s92 dst_sel:DWORD dst_unused:UNUSED_PAD src0_sel:BYTE_3 src1_sel:DWORD
	v_cmp_eq_u64_e64 s[28:29], 0, v[20:21]
	v_cndmask_b32_e64 v38, v3, v38, s[28:29]
; %bb.1731:                             ;   in Loop: Header=BB6_1611 Depth=4
	s_or_b64 exec, exec, s[30:31]
	v_lshrrev_b16_e32 v20, 8, v26
	v_cmp_ne_u16_e64 s[28:29], 0, v20
	v_mov_b32_e32 v3, 0
	v_mov_b32_e32 v21, 0
	s_and_saveexec_b64 s[30:31], s[28:29]
	s_cbranch_execz .LBB6_1737
; %bb.1732:                             ;   in Loop: Header=BB6_1611 Depth=4
	v_cmp_ne_u16_e64 s[28:29], s91, v20
	v_bfrev_b32_e32 v21, 1
	s_and_saveexec_b64 s[68:69], s[28:29]
	s_cbranch_execz .LBB6_1736
; %bb.1733:                             ;   in Loop: Header=BB6_1611 Depth=4
	v_and_b32_e32 v22, 0x7f, v20
	v_cmp_ne_u32_e64 s[28:29], s92, v22
	v_mov_b32_e32 v21, 0x7f800001
	s_and_saveexec_b64 s[70:71], s[28:29]
	s_cbranch_execz .LBB6_1735
; %bb.1734:                             ;   in Loop: Header=BB6_1611 Depth=4
	v_and_b32_e32 v29, 7, v20
	v_ffbh_u32_e32 v21, v29
	v_lshrrev_b32_e32 v32, 3, v22
	v_cmp_gt_u32_e64 s[28:29], 8, v22
	v_min_u32_e32 v22, 32, v21
	v_subrev_u32_e32 v21, 28, v22
	v_lshlrev_b64 v[20:21], v21, v[20:21]
	v_sub_u32_e32 v21, 29, v22
	v_and_b32_e32 v20, 7, v20
	v_cndmask_b32_e64 v21, v32, v21, s[28:29]
	v_cndmask_b32_e64 v20, v29, v20, s[28:29]
	v_lshlrev_b32_e32 v22, 16, v26
	v_lshlrev_b32_e32 v20, 20, v20
	v_and_b32_e32 v22, 0x80000000, v22
	v_lshl_add_u32 v21, v21, 23, v31
	v_or3_b32 v21, v22, v21, v20
.LBB6_1735:                             ;   in Loop: Header=BB6_1611 Depth=4
	s_or_b64 exec, exec, s[70:71]
.LBB6_1736:                             ;   in Loop: Header=BB6_1611 Depth=4
	s_or_b64 exec, exec, s[68:69]
.LBB6_1737:                             ;   in Loop: Header=BB6_1611 Depth=4
	s_or_b64 exec, exec, s[30:31]
	v_mov_b32_e32 v20, v9
	v_lshrrev_b16_e32 v22, 8, v20
	v_cmp_ne_u16_e64 s[28:29], 0, v22
	s_and_saveexec_b64 s[30:31], s[28:29]
	s_cbranch_execz .LBB6_1743
; %bb.1738:                             ;   in Loop: Header=BB6_1611 Depth=4
	v_cmp_ne_u16_e64 s[28:29], s91, v22
	v_bfrev_b32_e32 v3, 1
	s_and_saveexec_b64 s[68:69], s[28:29]
	s_cbranch_execz .LBB6_1742
; %bb.1739:                             ;   in Loop: Header=BB6_1611 Depth=4
	v_and_b32_e32 v26, 0x7f, v22
	v_cmp_ne_u32_e64 s[28:29], s92, v26
	v_mov_b32_e32 v3, 0x7f800001
	s_and_saveexec_b64 s[70:71], s[28:29]
	s_cbranch_execz .LBB6_1741
; %bb.1740:                             ;   in Loop: Header=BB6_1611 Depth=4
	v_and_b32_e32 v3, 7, v22
	v_lshrrev_b32_e32 v29, 3, v26
	v_cmp_gt_u32_e64 s[28:29], 8, v26
	v_ffbh_u32_e32 v26, v3
	v_min_u32_e32 v26, 32, v26
	v_subrev_u32_e32 v32, 28, v26
	v_lshlrev_b64 v[32:33], v32, v[22:23]
	v_sub_u32_e32 v22, 29, v26
	v_and_b32_e32 v26, 7, v32
	v_cndmask_b32_e64 v22, v29, v22, s[28:29]
	v_cndmask_b32_e64 v3, v3, v26, s[28:29]
	v_lshlrev_b32_e32 v20, 16, v20
	v_lshlrev_b32_e32 v3, 20, v3
	v_and_b32_e32 v20, 0x80000000, v20
	v_lshl_add_u32 v22, v22, 23, v31
	v_or3_b32 v3, v20, v22, v3
.LBB6_1741:                             ;   in Loop: Header=BB6_1611 Depth=4
	s_or_b64 exec, exec, s[70:71]
.LBB6_1742:                             ;   in Loop: Header=BB6_1611 Depth=4
	s_or_b64 exec, exec, s[68:69]
.LBB6_1743:                             ;   in Loop: Header=BB6_1611 Depth=4
	s_or_b64 exec, exec, s[30:31]
	v_add_f32_e32 v20, v21, v3
	v_and_b32_sdwa v3, v20, s91 dst_sel:DWORD dst_unused:UNUSED_PAD src0_sel:BYTE_3 src1_sel:DWORD
	v_and_b32_e32 v32, 0x7f800000, v20
	v_mov_b32_e32 v33, v27
	v_and_b32_e32 v26, 0x7fffff, v20
	v_or_b32_e32 v22, 0x7e, v3
	v_cmp_ne_u64_e64 s[28:29], s[52:53], v[32:33]
	s_and_saveexec_b64 s[30:31], s[28:29]
	s_xor_b64 s[68:69], exec, s[30:31]
	s_cbranch_execz .LBB6_1753
; %bb.1744:                             ;   in Loop: Header=BB6_1611 Depth=4
	v_and_b32_e32 v32, 0x7fffffff, v20
	v_mov_b32_e32 v33, v27
	v_cmp_gt_u64_e64 s[28:29], s[54:55], v[32:33]
	s_and_saveexec_b64 s[70:71], s[28:29]
	s_cbranch_execz .LBB6_1752
; %bb.1745:                             ;   in Loop: Header=BB6_1611 Depth=4
	v_cmp_ne_u32_e64 s[28:29], 0, v20
	v_mov_b32_e32 v22, 0
	s_and_saveexec_b64 s[72:73], s[28:29]
	s_cbranch_execz .LBB6_1751
; %bb.1746:                             ;   in Loop: Header=BB6_1611 Depth=4
	v_bfe_u32 v20, v20, 23, 8
	v_cmp_eq_u32_e64 s[28:29], 0, v20
	v_add_u32_e32 v21, 0xffffff81, v20
	v_cmp_gt_u32_e64 s[30:31], s93, v20
	v_sub_u32_e32 v20, 0x79, v20
	v_mov_b32_e32 v29, 0xffffff82
	v_cndmask_b32_e64 v20, 0, v20, s[30:31]
	v_cndmask_b32_e64 v29, v21, v29, s[28:29]
	v_mov_b32_e32 v21, 0x78
	v_cndmask_b32_e64 v34, v20, v21, s[28:29]
	v_add_u32_e32 v20, 20, v34
	v_or_b32_e32 v22, 0x800000, v26
	v_lshlrev_b64 v[20:21], v20, -1
	v_cndmask_b32_e64 v26, v22, v26, s[28:29]
	v_not_b32_e32 v21, v21
	v_not_b32_e32 v20, v20
	v_add_u32_e32 v22, 19, v34
	v_and_b32_e32 v21, 0, v21
	v_and_b32_e32 v20, v26, v20
	v_lshlrev_b64 v[32:33], v22, 1
	v_cmp_eq_u64_e64 s[28:29], v[20:21], v[32:33]
	v_lshrrev_b64 v[20:21], v34, v[26:27]
	v_lshrrev_b32_e32 v22, 23, v20
	v_add3_u32 v29, v34, v29, v22
	v_bfe_u32 v22, v20, 20, 1
	v_add_u32_e32 v22, -1, v22
	v_cndmask_b32_e64 v22, 0, v22, s[28:29]
	v_add_u32_e32 v22, v22, v20
	v_and_b32_e32 v22, 0xfffff, v22
	v_add_co_u32_e64 v20, s[28:29], v22, v20
	v_add_u32_e32 v26, 6, v29
	v_addc_co_u32_e64 v21, s[28:29], 0, v21, s[28:29]
	v_cmp_ne_u32_e64 s[28:29], 0, v26
                                        ; implicit-def: $vgpr22
	s_and_saveexec_b64 s[30:31], s[28:29]
	s_xor_b64 s[30:31], exec, s[30:31]
; %bb.1747:                             ;   in Loop: Header=BB6_1611 Depth=4
	v_add_u32_e32 v22, 7, v29
	v_cmp_lt_u64_e64 s[28:29], s[56:57], v[20:21]
	v_cndmask_b32_e64 v22, v26, v22, s[28:29]
	v_cndmask_b32_e64 v26, 0, 1, s[28:29]
	v_lshrrev_b64 v[20:21], v26, v[20:21]
; %bb.1748:                             ;   in Loop: Header=BB6_1611 Depth=4
	s_andn2_saveexec_b64 s[28:29], s[30:31]
; %bb.1749:                             ;   in Loop: Header=BB6_1611 Depth=4
	v_bfe_u32 v22, v20, 23, 1
; %bb.1750:                             ;   in Loop: Header=BB6_1611 Depth=4
	s_or_b64 exec, exec, s[28:29]
	v_lshrrev_b64 v[20:21], 20, v[20:21]
	v_cmp_gt_i32_e64 s[28:29], 16, v22
	v_cndmask_b32_e64 v21, 0, v21, s[28:29]
	v_cndmask_b32_e64 v20, 7, v20, s[28:29]
	v_cmp_eq_u64_e64 s[30:31], 0, v[20:21]
	v_min_i32_e32 v21, 15, v22
	v_cmp_eq_u32_e64 s[28:29], 0, v22
	v_lshlrev_b32_e32 v21, 3, v21
	v_and_or_b32 v20, v20, 7, v21
	s_and_b64 s[28:29], s[28:29], s[30:31]
	v_cndmask_b32_e64 v20, v20, 0, s[28:29]
	v_or_b32_e32 v22, v20, v3
.LBB6_1751:                             ;   in Loop: Header=BB6_1611 Depth=4
	s_or_b64 exec, exec, s[72:73]
.LBB6_1752:                             ;   in Loop: Header=BB6_1611 Depth=4
	s_or_b64 exec, exec, s[70:71]
                                        ; implicit-def: $vgpr20
.LBB6_1753:                             ;   in Loop: Header=BB6_1611 Depth=4
	s_andn2_saveexec_b64 s[30:31], s[68:69]
; %bb.1754:                             ;   in Loop: Header=BB6_1611 Depth=4
	v_or_b32_sdwa v3, v20, s92 dst_sel:DWORD dst_unused:UNUSED_PAD src0_sel:BYTE_3 src1_sel:DWORD
	v_cmp_eq_u64_e64 s[28:29], 0, v[26:27]
	v_cndmask_b32_e64 v22, v3, v22, s[28:29]
; %bb.1755:                             ;   in Loop: Header=BB6_1611 Depth=4
	s_or_b64 exec, exec, s[30:31]
	v_lshrrev_b32_e32 v20, 16, v13
	v_cmp_ne_u16_sdwa s[28:29], v20, v27 src0_sel:BYTE_0 src1_sel:DWORD
	v_mov_b32_e32 v3, 0
	v_mov_b32_e32 v21, 0
	s_and_saveexec_b64 s[30:31], s[28:29]
	s_cbranch_execz .LBB6_1761
; %bb.1756:                             ;   in Loop: Header=BB6_1611 Depth=4
	v_cmp_ne_u16_sdwa s[28:29], v20, s91 src0_sel:BYTE_0 src1_sel:DWORD
	v_bfrev_b32_e32 v21, 1
	s_and_saveexec_b64 s[68:69], s[28:29]
	s_cbranch_execz .LBB6_1760
; %bb.1757:                             ;   in Loop: Header=BB6_1611 Depth=4
	v_bfe_u32 v26, v13, 16, 7
	v_cmp_ne_u32_e64 s[28:29], s92, v26
	v_mov_b32_e32 v21, 0x7f800001
	s_and_saveexec_b64 s[70:71], s[28:29]
	s_cbranch_execz .LBB6_1759
; %bb.1758:                             ;   in Loop: Header=BB6_1611 Depth=4
	v_and_b32_e32 v21, 7, v20
	v_lshrrev_b32_e32 v29, 3, v26
	v_cmp_gt_u32_e64 s[28:29], 8, v26
	v_ffbh_u32_e32 v26, v21
	v_min_u32_e32 v26, 32, v26
	v_subrev_u32_e32 v32, 28, v26
	v_lshlrev_b64 v[32:33], v32, v[20:21]
	v_sub_u32_e32 v26, 29, v26
	v_and_b32_e32 v32, 7, v32
	v_cndmask_b32_e64 v26, v29, v26, s[28:29]
	v_cndmask_b32_e64 v21, v21, v32, s[28:29]
	v_lshlrev_b32_e32 v20, 24, v20
	v_lshlrev_b32_e32 v21, 20, v21
	v_and_b32_e32 v20, 0x80000000, v20
	v_lshl_add_u32 v26, v26, 23, v31
	v_or3_b32 v21, v20, v26, v21
.LBB6_1759:                             ;   in Loop: Header=BB6_1611 Depth=4
	s_or_b64 exec, exec, s[70:71]
.LBB6_1760:                             ;   in Loop: Header=BB6_1611 Depth=4
	s_or_b64 exec, exec, s[68:69]
.LBB6_1761:                             ;   in Loop: Header=BB6_1611 Depth=4
	s_or_b64 exec, exec, s[30:31]
	v_lshrrev_b32_e32 v20, 16, v9
	v_cmp_ne_u16_sdwa s[28:29], v20, v27 src0_sel:BYTE_0 src1_sel:DWORD
	s_and_saveexec_b64 s[30:31], s[28:29]
	s_cbranch_execz .LBB6_1767
; %bb.1762:                             ;   in Loop: Header=BB6_1611 Depth=4
	v_cmp_ne_u16_sdwa s[28:29], v20, s91 src0_sel:BYTE_0 src1_sel:DWORD
	v_bfrev_b32_e32 v3, 1
	s_and_saveexec_b64 s[68:69], s[28:29]
	s_cbranch_execz .LBB6_1766
; %bb.1763:                             ;   in Loop: Header=BB6_1611 Depth=4
	v_bfe_u32 v26, v9, 16, 7
	v_cmp_ne_u32_e64 s[28:29], s92, v26
	v_mov_b32_e32 v3, 0x7f800001
	s_and_saveexec_b64 s[70:71], s[28:29]
	s_cbranch_execz .LBB6_1765
; %bb.1764:                             ;   in Loop: Header=BB6_1611 Depth=4
	v_and_b32_e32 v3, 7, v20
	v_lshrrev_b32_e32 v29, 3, v26
	v_cmp_gt_u32_e64 s[28:29], 8, v26
	v_ffbh_u32_e32 v26, v3
	v_min_u32_e32 v26, 32, v26
	v_subrev_u32_e32 v32, 28, v26
	v_lshlrev_b64 v[32:33], v32, v[20:21]
	v_sub_u32_e32 v20, 29, v26
	v_and_b32_e32 v26, 7, v32
	v_cndmask_b32_e64 v20, v29, v20, s[28:29]
	v_cndmask_b32_e64 v3, v3, v26, s[28:29]
	v_lshlrev_b32_e32 v26, 8, v9
	v_lshlrev_b32_e32 v3, 20, v3
	v_and_b32_e32 v26, 0x80000000, v26
	v_lshl_add_u32 v20, v20, 23, v31
	v_or3_b32 v3, v26, v20, v3
.LBB6_1765:                             ;   in Loop: Header=BB6_1611 Depth=4
	s_or_b64 exec, exec, s[70:71]
.LBB6_1766:                             ;   in Loop: Header=BB6_1611 Depth=4
	s_or_b64 exec, exec, s[68:69]
.LBB6_1767:                             ;   in Loop: Header=BB6_1611 Depth=4
	s_or_b64 exec, exec, s[30:31]
	v_add_f32_e32 v21, v21, v3
	v_and_b32_sdwa v3, v21, s91 dst_sel:DWORD dst_unused:UNUSED_PAD src0_sel:BYTE_3 src1_sel:DWORD
	v_and_b32_e32 v32, 0x7f800000, v21
	v_mov_b32_e32 v33, v27
	v_and_b32_e32 v26, 0x7fffff, v21
	v_or_b32_e32 v20, 0x7e, v3
	v_cmp_ne_u64_e64 s[28:29], s[52:53], v[32:33]
	s_and_saveexec_b64 s[30:31], s[28:29]
	s_xor_b64 s[68:69], exec, s[30:31]
	s_cbranch_execz .LBB6_1777
; %bb.1768:                             ;   in Loop: Header=BB6_1611 Depth=4
	v_and_b32_e32 v32, 0x7fffffff, v21
	v_mov_b32_e32 v33, v27
	v_cmp_gt_u64_e64 s[28:29], s[54:55], v[32:33]
	s_and_saveexec_b64 s[70:71], s[28:29]
	s_cbranch_execz .LBB6_1776
; %bb.1769:                             ;   in Loop: Header=BB6_1611 Depth=4
	v_cmp_ne_u32_e64 s[28:29], 0, v21
	v_mov_b32_e32 v20, 0
	s_and_saveexec_b64 s[72:73], s[28:29]
	s_cbranch_execz .LBB6_1775
; %bb.1770:                             ;   in Loop: Header=BB6_1611 Depth=4
	v_bfe_u32 v20, v21, 23, 8
	v_cmp_eq_u32_e64 s[28:29], 0, v20
	v_add_u32_e32 v21, 0xffffff81, v20
	v_cmp_gt_u32_e64 s[30:31], s93, v20
	v_sub_u32_e32 v20, 0x79, v20
	v_mov_b32_e32 v32, 0xffffff82
	v_cndmask_b32_e64 v20, 0, v20, s[30:31]
	v_cndmask_b32_e64 v34, v21, v32, s[28:29]
	v_mov_b32_e32 v21, 0x78
	v_cndmask_b32_e64 v35, v20, v21, s[28:29]
	v_add_u32_e32 v20, 20, v35
	v_or_b32_e32 v29, 0x800000, v26
	v_lshlrev_b64 v[20:21], v20, -1
	v_cndmask_b32_e64 v26, v29, v26, s[28:29]
	v_not_b32_e32 v21, v21
	v_not_b32_e32 v20, v20
	v_add_u32_e32 v29, 19, v35
	v_and_b32_e32 v21, 0, v21
	v_and_b32_e32 v20, v26, v20
	v_lshlrev_b64 v[32:33], v29, 1
	v_cmp_eq_u64_e64 s[28:29], v[20:21], v[32:33]
	v_lshrrev_b64 v[20:21], v35, v[26:27]
	v_lshrrev_b32_e32 v26, 23, v20
	v_add3_u32 v39, v35, v34, v26
	v_bfe_u32 v26, v20, 20, 1
	v_add_u32_e32 v26, -1, v26
	v_cndmask_b32_e64 v26, 0, v26, s[28:29]
	v_add_u32_e32 v26, v26, v20
	v_and_b32_e32 v26, 0xfffff, v26
	v_add_co_u32_e64 v20, s[28:29], v26, v20
	v_add_u32_e32 v29, 6, v39
	v_addc_co_u32_e64 v21, s[28:29], 0, v21, s[28:29]
	v_cmp_ne_u32_e64 s[28:29], 0, v29
                                        ; implicit-def: $vgpr26
	s_and_saveexec_b64 s[30:31], s[28:29]
	s_xor_b64 s[30:31], exec, s[30:31]
; %bb.1771:                             ;   in Loop: Header=BB6_1611 Depth=4
	v_add_u32_e32 v26, 7, v39
	v_cmp_lt_u64_e64 s[28:29], s[56:57], v[20:21]
	v_cndmask_b32_e64 v26, v29, v26, s[28:29]
	v_cndmask_b32_e64 v29, 0, 1, s[28:29]
	v_lshrrev_b64 v[20:21], v29, v[20:21]
; %bb.1772:                             ;   in Loop: Header=BB6_1611 Depth=4
	s_andn2_saveexec_b64 s[28:29], s[30:31]
; %bb.1773:                             ;   in Loop: Header=BB6_1611 Depth=4
	v_bfe_u32 v26, v20, 23, 1
; %bb.1774:                             ;   in Loop: Header=BB6_1611 Depth=4
	s_or_b64 exec, exec, s[28:29]
	v_lshrrev_b64 v[20:21], 20, v[20:21]
	v_cmp_gt_i32_e64 s[28:29], 16, v26
	v_cndmask_b32_e64 v21, 0, v21, s[28:29]
	v_cndmask_b32_e64 v20, 7, v20, s[28:29]
	v_cmp_eq_u64_e64 s[30:31], 0, v[20:21]
	v_min_i32_e32 v21, 15, v26
	v_lshlrev_b32_e32 v21, 3, v21
	v_cmp_eq_u32_e64 s[28:29], 0, v26
	v_and_b32_e32 v21, 0xf8, v21
	v_and_or_b32 v20, v20, 7, v21
	s_and_b64 s[28:29], s[28:29], s[30:31]
	v_cndmask_b32_e64 v20, v20, 0, s[28:29]
	v_or_b32_e32 v20, v20, v3
.LBB6_1775:                             ;   in Loop: Header=BB6_1611 Depth=4
	s_or_b64 exec, exec, s[72:73]
.LBB6_1776:                             ;   in Loop: Header=BB6_1611 Depth=4
	s_or_b64 exec, exec, s[70:71]
                                        ; implicit-def: $vgpr21
.LBB6_1777:                             ;   in Loop: Header=BB6_1611 Depth=4
	s_andn2_saveexec_b64 s[30:31], s[68:69]
; %bb.1778:                             ;   in Loop: Header=BB6_1611 Depth=4
	v_or_b32_sdwa v3, v21, s92 dst_sel:DWORD dst_unused:UNUSED_PAD src0_sel:BYTE_3 src1_sel:DWORD
	v_cmp_eq_u64_e64 s[28:29], 0, v[26:27]
	v_cndmask_b32_e64 v20, v3, v20, s[28:29]
; %bb.1779:                             ;   in Loop: Header=BB6_1611 Depth=4
	s_or_b64 exec, exec, s[30:31]
	v_cmp_lt_u64_e64 s[28:29], s[42:43], v[12:13]
	v_mov_b32_e32 v3, 0
	v_mov_b32_e32 v21, 0
	s_and_saveexec_b64 s[30:31], s[28:29]
	s_cbranch_execz .LBB6_1785
; %bb.1780:                             ;   in Loop: Header=BB6_1611 Depth=4
	v_lshrrev_b32_e32 v12, 24, v13
	v_cmp_ne_u32_e64 s[28:29], s91, v12
	v_bfrev_b32_e32 v21, 1
	s_and_saveexec_b64 s[68:69], s[28:29]
	s_cbranch_execz .LBB6_1784
; %bb.1781:                             ;   in Loop: Header=BB6_1611 Depth=4
	v_bfe_u32 v13, v13, 24, 7
	v_cmp_ne_u32_e64 s[28:29], s92, v13
	v_mov_b32_e32 v21, 0x7f800001
	s_and_saveexec_b64 s[70:71], s[28:29]
	s_cbranch_execz .LBB6_1783
; %bb.1782:                             ;   in Loop: Header=BB6_1611 Depth=4
	v_and_b32_e32 v21, 7, v12
	v_lshrrev_b32_e32 v26, 3, v13
	v_cmp_gt_u32_e64 s[28:29], 8, v13
	v_ffbh_u32_e32 v13, v21
	v_min_u32_e32 v13, 32, v13
	v_subrev_u32_e32 v29, 28, v13
	v_lshlrev_b64 v[32:33], v29, v[12:13]
	v_sub_u32_e32 v13, 29, v13
	v_and_b32_e32 v29, 7, v32
	v_cndmask_b32_e64 v13, v26, v13, s[28:29]
	v_cndmask_b32_e64 v21, v21, v29, s[28:29]
	v_lshlrev_b32_e32 v12, 24, v12
	v_lshlrev_b32_e32 v21, 20, v21
	v_and_b32_e32 v12, 0x80000000, v12
	v_lshl_add_u32 v13, v13, 23, v31
	v_or3_b32 v21, v12, v13, v21
.LBB6_1783:                             ;   in Loop: Header=BB6_1611 Depth=4
	s_or_b64 exec, exec, s[70:71]
.LBB6_1784:                             ;   in Loop: Header=BB6_1611 Depth=4
	s_or_b64 exec, exec, s[68:69]
.LBB6_1785:                             ;   in Loop: Header=BB6_1611 Depth=4
	s_or_b64 exec, exec, s[30:31]
	v_cmp_lt_u64_e64 s[28:29], s[42:43], v[8:9]
	s_and_saveexec_b64 s[30:31], s[28:29]
	s_cbranch_execz .LBB6_1791
; %bb.1786:                             ;   in Loop: Header=BB6_1611 Depth=4
	v_lshrrev_b32_e32 v8, 24, v9
	v_cmp_ne_u32_e64 s[28:29], s91, v8
	v_bfrev_b32_e32 v3, 1
	s_and_saveexec_b64 s[68:69], s[28:29]
	s_cbranch_execz .LBB6_1790
; %bb.1787:                             ;   in Loop: Header=BB6_1611 Depth=4
	v_bfe_u32 v9, v9, 24, 7
	v_cmp_ne_u32_e64 s[28:29], s92, v9
	v_mov_b32_e32 v3, 0x7f800001
	s_and_saveexec_b64 s[70:71], s[28:29]
	s_cbranch_execz .LBB6_1789
; %bb.1788:                             ;   in Loop: Header=BB6_1611 Depth=4
	v_and_b32_e32 v3, 7, v8
	v_lshrrev_b32_e32 v26, 3, v9
	v_cmp_gt_u32_e64 s[28:29], 8, v9
	v_ffbh_u32_e32 v9, v3
	v_min_u32_e32 v9, 32, v9
	v_subrev_u32_e32 v12, 28, v9
	v_lshlrev_b64 v[12:13], v12, v[8:9]
	v_sub_u32_e32 v9, 29, v9
	v_and_b32_e32 v12, 7, v12
	v_cndmask_b32_e64 v9, v26, v9, s[28:29]
	v_cndmask_b32_e64 v3, v3, v12, s[28:29]
	v_lshlrev_b32_e32 v8, 24, v8
	v_lshlrev_b32_e32 v3, 20, v3
	v_and_b32_e32 v8, 0x80000000, v8
	v_lshl_add_u32 v9, v9, 23, v31
	v_or3_b32 v3, v8, v9, v3
.LBB6_1789:                             ;   in Loop: Header=BB6_1611 Depth=4
	s_or_b64 exec, exec, s[70:71]
.LBB6_1790:                             ;   in Loop: Header=BB6_1611 Depth=4
	s_or_b64 exec, exec, s[68:69]
.LBB6_1791:                             ;   in Loop: Header=BB6_1611 Depth=4
	s_or_b64 exec, exec, s[30:31]
	v_add_f32_e32 v8, v21, v3
	v_and_b32_sdwa v3, v8, s91 dst_sel:DWORD dst_unused:UNUSED_PAD src0_sel:BYTE_3 src1_sel:DWORD
	v_and_b32_e32 v32, 0x7f800000, v8
	v_mov_b32_e32 v33, v27
	v_and_b32_e32 v26, 0x7fffff, v8
	v_or_b32_e32 v13, 0x7e, v3
	v_cmp_ne_u64_e64 s[28:29], s[52:53], v[32:33]
	s_and_saveexec_b64 s[30:31], s[28:29]
	s_xor_b64 s[68:69], exec, s[30:31]
	s_cbranch_execz .LBB6_1801
; %bb.1792:                             ;   in Loop: Header=BB6_1611 Depth=4
	v_and_b32_e32 v32, 0x7fffffff, v8
	v_mov_b32_e32 v33, v27
	v_cmp_gt_u64_e64 s[28:29], s[54:55], v[32:33]
	s_and_saveexec_b64 s[70:71], s[28:29]
	s_cbranch_execz .LBB6_1800
; %bb.1793:                             ;   in Loop: Header=BB6_1611 Depth=4
	v_cmp_ne_u32_e64 s[28:29], 0, v8
	v_mov_b32_e32 v13, 0
	s_and_saveexec_b64 s[72:73], s[28:29]
	s_cbranch_execz .LBB6_1799
; %bb.1794:                             ;   in Loop: Header=BB6_1611 Depth=4
	v_bfe_u32 v8, v8, 23, 8
	v_cmp_eq_u32_e64 s[28:29], 0, v8
	v_add_u32_e32 v9, 0xffffff81, v8
	v_cmp_gt_u32_e64 s[30:31], s93, v8
	v_sub_u32_e32 v8, 0x79, v8
	v_mov_b32_e32 v13, 0xffffff82
	v_cndmask_b32_e64 v8, 0, v8, s[30:31]
	v_cndmask_b32_e64 v21, v9, v13, s[28:29]
	v_mov_b32_e32 v9, 0x78
	v_cndmask_b32_e64 v29, v8, v9, s[28:29]
	v_add_u32_e32 v8, 20, v29
	v_or_b32_e32 v12, 0x800000, v26
	v_lshlrev_b64 v[8:9], v8, -1
	v_cndmask_b32_e64 v26, v12, v26, s[28:29]
	v_not_b32_e32 v9, v9
	v_not_b32_e32 v8, v8
	v_add_u32_e32 v12, 19, v29
	v_and_b32_e32 v9, 0, v9
	v_and_b32_e32 v8, v26, v8
	v_lshlrev_b64 v[12:13], v12, 1
	v_cmp_eq_u64_e64 s[28:29], v[8:9], v[12:13]
	v_lshrrev_b64 v[8:9], v29, v[26:27]
	v_lshrrev_b32_e32 v12, 23, v8
	v_add3_u32 v21, v29, v21, v12
	v_bfe_u32 v12, v8, 20, 1
	v_add_u32_e32 v12, -1, v12
	v_cndmask_b32_e64 v12, 0, v12, s[28:29]
	v_add_u32_e32 v12, v12, v8
	v_and_b32_e32 v12, 0xfffff, v12
	v_add_co_u32_e64 v8, s[28:29], v12, v8
	v_add_u32_e32 v13, 6, v21
	v_addc_co_u32_e64 v9, s[28:29], 0, v9, s[28:29]
	v_cmp_ne_u32_e64 s[28:29], 0, v13
                                        ; implicit-def: $vgpr12
	s_and_saveexec_b64 s[30:31], s[28:29]
	s_xor_b64 s[30:31], exec, s[30:31]
; %bb.1795:                             ;   in Loop: Header=BB6_1611 Depth=4
	v_add_u32_e32 v12, 7, v21
	v_cmp_lt_u64_e64 s[28:29], s[56:57], v[8:9]
	v_cndmask_b32_e64 v12, v13, v12, s[28:29]
	v_cndmask_b32_e64 v13, 0, 1, s[28:29]
	v_lshrrev_b64 v[8:9], v13, v[8:9]
; %bb.1796:                             ;   in Loop: Header=BB6_1611 Depth=4
	s_andn2_saveexec_b64 s[28:29], s[30:31]
; %bb.1797:                             ;   in Loop: Header=BB6_1611 Depth=4
	v_bfe_u32 v12, v8, 23, 1
; %bb.1798:                             ;   in Loop: Header=BB6_1611 Depth=4
	s_or_b64 exec, exec, s[28:29]
	v_lshrrev_b64 v[8:9], 20, v[8:9]
	v_cmp_gt_i32_e64 s[28:29], 16, v12
	v_cndmask_b32_e64 v9, 0, v9, s[28:29]
	v_cndmask_b32_e64 v8, 7, v8, s[28:29]
	v_cmp_eq_u64_e64 s[30:31], 0, v[8:9]
	v_min_i32_e32 v9, 15, v12
	v_lshlrev_b32_e32 v9, 3, v9
	v_cmp_eq_u32_e64 s[28:29], 0, v12
	v_and_b32_e32 v9, 0xf8, v9
	v_and_or_b32 v8, v8, 7, v9
	s_and_b64 s[28:29], s[28:29], s[30:31]
	v_cndmask_b32_e64 v8, v8, 0, s[28:29]
	v_or_b32_e32 v13, v8, v3
.LBB6_1799:                             ;   in Loop: Header=BB6_1611 Depth=4
	s_or_b64 exec, exec, s[72:73]
.LBB6_1800:                             ;   in Loop: Header=BB6_1611 Depth=4
	s_or_b64 exec, exec, s[70:71]
                                        ; implicit-def: $vgpr8
.LBB6_1801:                             ;   in Loop: Header=BB6_1611 Depth=4
	s_andn2_saveexec_b64 s[30:31], s[68:69]
; %bb.1802:                             ;   in Loop: Header=BB6_1611 Depth=4
	v_or_b32_sdwa v3, v8, s92 dst_sel:DWORD dst_unused:UNUSED_PAD src0_sel:BYTE_3 src1_sel:DWORD
	v_cmp_eq_u64_e64 s[28:29], 0, v[26:27]
	v_cndmask_b32_e64 v13, v3, v13, s[28:29]
; %bb.1803:                             ;   in Loop: Header=BB6_1611 Depth=4
	s_or_b64 exec, exec, s[30:31]
	v_cmp_ne_u16_sdwa s[28:29], v14, v27 src0_sel:BYTE_0 src1_sel:DWORD
	v_mov_b32_e32 v3, 0
	v_mov_b32_e32 v8, 0
	s_and_saveexec_b64 s[30:31], s[28:29]
	s_cbranch_execz .LBB6_1809
; %bb.1804:                             ;   in Loop: Header=BB6_1611 Depth=4
	v_cmp_ne_u16_sdwa s[28:29], v14, s91 src0_sel:BYTE_0 src1_sel:DWORD
	v_bfrev_b32_e32 v8, 1
	s_and_saveexec_b64 s[68:69], s[28:29]
	s_cbranch_execz .LBB6_1808
; %bb.1805:                             ;   in Loop: Header=BB6_1611 Depth=4
	v_and_b32_e32 v9, 0x7f, v14
	v_cmp_ne_u32_e64 s[28:29], s92, v9
	v_mov_b32_e32 v8, 0x7f800001
	s_and_saveexec_b64 s[70:71], s[28:29]
	s_cbranch_execz .LBB6_1807
; %bb.1806:                             ;   in Loop: Header=BB6_1611 Depth=4
	v_and_b32_e32 v8, 7, v14
	v_ffbh_u32_e32 v8, v8
	v_min_u32_e32 v8, 32, v8
	v_lshrrev_b32_e32 v12, 3, v9
	v_cmp_gt_u32_e64 s[28:29], 8, v9
	v_subrev_u32_e32 v9, 28, v8
	v_sub_u32_e32 v8, 29, v8
	v_cndmask_b32_e64 v12, v12, v8, s[28:29]
	v_cndmask_b32_e64 v8, 0, v9, s[28:29]
	v_lshlrev_b64 v[8:9], v8, v[14:15]
	v_lshlrev_b32_e32 v8, 20, v8
	v_lshlrev_b32_e32 v9, 24, v14
	v_and_b32_e32 v8, 0x700000, v8
	v_and_b32_e32 v9, 0x80000000, v9
	v_lshl_add_u32 v12, v12, 23, v31
	v_or3_b32 v8, v9, v12, v8
.LBB6_1807:                             ;   in Loop: Header=BB6_1611 Depth=4
	s_or_b64 exec, exec, s[70:71]
.LBB6_1808:                             ;   in Loop: Header=BB6_1611 Depth=4
	s_or_b64 exec, exec, s[68:69]
.LBB6_1809:                             ;   in Loop: Header=BB6_1611 Depth=4
	s_or_b64 exec, exec, s[30:31]
	v_cmp_ne_u16_sdwa s[28:29], v10, v27 src0_sel:BYTE_0 src1_sel:DWORD
	s_and_saveexec_b64 s[30:31], s[28:29]
	s_cbranch_execz .LBB6_1815
; %bb.1810:                             ;   in Loop: Header=BB6_1611 Depth=4
	v_cmp_ne_u16_sdwa s[28:29], v10, s91 src0_sel:BYTE_0 src1_sel:DWORD
	v_bfrev_b32_e32 v3, 1
	s_and_saveexec_b64 s[68:69], s[28:29]
	s_cbranch_execz .LBB6_1814
; %bb.1811:                             ;   in Loop: Header=BB6_1611 Depth=4
	v_and_b32_e32 v9, 0x7f, v10
	v_cmp_ne_u32_e64 s[28:29], s92, v9
	v_mov_b32_e32 v3, 0x7f800001
	s_and_saveexec_b64 s[70:71], s[28:29]
	s_cbranch_execz .LBB6_1813
; %bb.1812:                             ;   in Loop: Header=BB6_1611 Depth=4
	v_and_b32_e32 v3, 7, v10
	v_ffbh_u32_e32 v3, v3
	v_min_u32_e32 v3, 32, v3
	v_lshrrev_b32_e32 v12, 3, v9
	v_cmp_gt_u32_e64 s[28:29], 8, v9
	v_subrev_u32_e32 v9, 28, v3
	v_cndmask_b32_e64 v9, 0, v9, s[28:29]
	v_sub_u32_e32 v3, 29, v3
	v_lshlrev_b64 v[32:33], v9, v[10:11]
	v_cndmask_b32_e64 v3, v12, v3, s[28:29]
	v_lshlrev_b32_e32 v9, 20, v32
	v_lshlrev_b32_e32 v12, 24, v10
	v_and_b32_e32 v9, 0x700000, v9
	v_and_b32_e32 v12, 0x80000000, v12
	v_lshl_add_u32 v3, v3, 23, v31
	v_or3_b32 v3, v12, v3, v9
.LBB6_1813:                             ;   in Loop: Header=BB6_1611 Depth=4
	s_or_b64 exec, exec, s[70:71]
.LBB6_1814:                             ;   in Loop: Header=BB6_1611 Depth=4
	s_or_b64 exec, exec, s[68:69]
.LBB6_1815:                             ;   in Loop: Header=BB6_1611 Depth=4
	s_or_b64 exec, exec, s[30:31]
	v_add_f32_e32 v8, v8, v3
	v_and_b32_sdwa v3, v8, s91 dst_sel:DWORD dst_unused:UNUSED_PAD src0_sel:BYTE_3 src1_sel:DWORD
	v_and_b32_e32 v32, 0x7f800000, v8
	v_mov_b32_e32 v33, v27
	v_and_b32_e32 v26, 0x7fffff, v8
	v_or_b32_e32 v21, 0x7e, v3
	v_cmp_ne_u64_e64 s[28:29], s[52:53], v[32:33]
	s_and_saveexec_b64 s[30:31], s[28:29]
	s_xor_b64 s[68:69], exec, s[30:31]
	s_cbranch_execz .LBB6_1825
; %bb.1816:                             ;   in Loop: Header=BB6_1611 Depth=4
	v_and_b32_e32 v32, 0x7fffffff, v8
	v_mov_b32_e32 v33, v27
	v_cmp_gt_u64_e64 s[28:29], s[54:55], v[32:33]
	s_and_saveexec_b64 s[70:71], s[28:29]
	s_cbranch_execz .LBB6_1824
; %bb.1817:                             ;   in Loop: Header=BB6_1611 Depth=4
	v_cmp_ne_u32_e64 s[28:29], 0, v8
	v_mov_b32_e32 v21, 0
	s_and_saveexec_b64 s[72:73], s[28:29]
	s_cbranch_execz .LBB6_1823
; %bb.1818:                             ;   in Loop: Header=BB6_1611 Depth=4
	v_bfe_u32 v8, v8, 23, 8
	v_cmp_eq_u32_e64 s[28:29], 0, v8
	v_add_u32_e32 v9, 0xffffff81, v8
	v_cmp_gt_u32_e64 s[30:31], s93, v8
	v_sub_u32_e32 v8, 0x79, v8
	v_mov_b32_e32 v21, 0xffffff82
	v_cndmask_b32_e64 v8, 0, v8, s[30:31]
	v_cndmask_b32_e64 v21, v9, v21, s[28:29]
	v_mov_b32_e32 v9, 0x78
	v_cndmask_b32_e64 v29, v8, v9, s[28:29]
	v_add_u32_e32 v8, 20, v29
	v_or_b32_e32 v12, 0x800000, v26
	v_lshlrev_b64 v[8:9], v8, -1
	v_cndmask_b32_e64 v26, v12, v26, s[28:29]
	v_not_b32_e32 v9, v9
	v_not_b32_e32 v8, v8
	v_add_u32_e32 v12, 19, v29
	v_and_b32_e32 v9, 0, v9
	v_and_b32_e32 v8, v26, v8
	v_lshlrev_b64 v[32:33], v12, 1
	v_cmp_eq_u64_e64 s[28:29], v[8:9], v[32:33]
	v_lshrrev_b64 v[8:9], v29, v[26:27]
	v_lshrrev_b32_e32 v12, 23, v8
	v_add3_u32 v26, v29, v21, v12
	v_bfe_u32 v12, v8, 20, 1
	v_add_u32_e32 v12, -1, v12
	v_cndmask_b32_e64 v12, 0, v12, s[28:29]
	v_add_u32_e32 v12, v12, v8
	v_and_b32_e32 v12, 0xfffff, v12
	v_add_co_u32_e64 v8, s[28:29], v12, v8
	v_add_u32_e32 v21, 6, v26
	v_addc_co_u32_e64 v9, s[28:29], 0, v9, s[28:29]
	v_cmp_ne_u32_e64 s[28:29], 0, v21
                                        ; implicit-def: $vgpr12
	s_and_saveexec_b64 s[30:31], s[28:29]
	s_xor_b64 s[30:31], exec, s[30:31]
; %bb.1819:                             ;   in Loop: Header=BB6_1611 Depth=4
	v_add_u32_e32 v12, 7, v26
	v_cmp_lt_u64_e64 s[28:29], s[56:57], v[8:9]
	v_cndmask_b32_e64 v12, v21, v12, s[28:29]
	v_cndmask_b32_e64 v21, 0, 1, s[28:29]
	v_lshrrev_b64 v[8:9], v21, v[8:9]
; %bb.1820:                             ;   in Loop: Header=BB6_1611 Depth=4
	s_andn2_saveexec_b64 s[28:29], s[30:31]
; %bb.1821:                             ;   in Loop: Header=BB6_1611 Depth=4
	v_bfe_u32 v12, v8, 23, 1
; %bb.1822:                             ;   in Loop: Header=BB6_1611 Depth=4
	s_or_b64 exec, exec, s[28:29]
	v_lshrrev_b64 v[8:9], 20, v[8:9]
	v_cmp_gt_i32_e64 s[28:29], 16, v12
	v_cndmask_b32_e64 v9, 0, v9, s[28:29]
	v_cndmask_b32_e64 v8, 7, v8, s[28:29]
	v_cmp_eq_u64_e64 s[30:31], 0, v[8:9]
	v_min_i32_e32 v9, 15, v12
	v_cmp_eq_u32_e64 s[28:29], 0, v12
	v_lshlrev_b32_e32 v9, 3, v9
	v_and_or_b32 v8, v8, 7, v9
	s_and_b64 s[28:29], s[28:29], s[30:31]
	v_cndmask_b32_e64 v8, v8, 0, s[28:29]
	v_or_b32_e32 v21, v8, v3
.LBB6_1823:                             ;   in Loop: Header=BB6_1611 Depth=4
	s_or_b64 exec, exec, s[72:73]
.LBB6_1824:                             ;   in Loop: Header=BB6_1611 Depth=4
	s_or_b64 exec, exec, s[70:71]
                                        ; implicit-def: $vgpr8
.LBB6_1825:                             ;   in Loop: Header=BB6_1611 Depth=4
	s_andn2_saveexec_b64 s[30:31], s[68:69]
; %bb.1826:                             ;   in Loop: Header=BB6_1611 Depth=4
	v_or_b32_sdwa v3, v8, s92 dst_sel:DWORD dst_unused:UNUSED_PAD src0_sel:BYTE_3 src1_sel:DWORD
	v_cmp_eq_u64_e64 s[28:29], 0, v[26:27]
	v_cndmask_b32_e64 v21, v3, v21, s[28:29]
; %bb.1827:                             ;   in Loop: Header=BB6_1611 Depth=4
	s_or_b64 exec, exec, s[30:31]
	v_lshrrev_b16_e32 v8, 8, v14
	v_cmp_ne_u16_e64 s[28:29], 0, v8
	v_mov_b32_e32 v3, 0
	v_mov_b32_e32 v9, 0
	s_and_saveexec_b64 s[30:31], s[28:29]
	s_cbranch_execz .LBB6_1833
; %bb.1828:                             ;   in Loop: Header=BB6_1611 Depth=4
	v_cmp_ne_u16_e64 s[28:29], s91, v8
	v_bfrev_b32_e32 v9, 1
	s_and_saveexec_b64 s[68:69], s[28:29]
	s_cbranch_execz .LBB6_1832
; %bb.1829:                             ;   in Loop: Header=BB6_1611 Depth=4
	v_and_b32_e32 v12, 0x7f, v8
	v_cmp_ne_u32_e64 s[28:29], s92, v12
	v_mov_b32_e32 v9, 0x7f800001
	s_and_saveexec_b64 s[70:71], s[28:29]
	s_cbranch_execz .LBB6_1831
; %bb.1830:                             ;   in Loop: Header=BB6_1611 Depth=4
	v_and_b32_e32 v26, 7, v8
	v_ffbh_u32_e32 v9, v26
	v_lshrrev_b32_e32 v29, 3, v12
	v_cmp_gt_u32_e64 s[28:29], 8, v12
	v_min_u32_e32 v12, 32, v9
	v_subrev_u32_e32 v9, 28, v12
	v_lshlrev_b64 v[8:9], v9, v[8:9]
	v_sub_u32_e32 v9, 29, v12
	v_and_b32_e32 v8, 7, v8
	v_cndmask_b32_e64 v9, v29, v9, s[28:29]
	v_cndmask_b32_e64 v8, v26, v8, s[28:29]
	v_lshlrev_b32_e32 v12, 16, v14
	v_lshlrev_b32_e32 v8, 20, v8
	v_and_b32_e32 v12, 0x80000000, v12
	v_lshl_add_u32 v9, v9, 23, v31
	v_or3_b32 v9, v12, v9, v8
.LBB6_1831:                             ;   in Loop: Header=BB6_1611 Depth=4
	s_or_b64 exec, exec, s[70:71]
.LBB6_1832:                             ;   in Loop: Header=BB6_1611 Depth=4
	s_or_b64 exec, exec, s[68:69]
.LBB6_1833:                             ;   in Loop: Header=BB6_1611 Depth=4
	s_or_b64 exec, exec, s[30:31]
	v_lshrrev_b16_e32 v8, 8, v10
	v_cmp_ne_u16_e64 s[28:29], 0, v8
	s_and_saveexec_b64 s[30:31], s[28:29]
	s_cbranch_execz .LBB6_1839
; %bb.1834:                             ;   in Loop: Header=BB6_1611 Depth=4
	v_cmp_ne_u16_e64 s[28:29], s91, v8
	v_bfrev_b32_e32 v3, 1
	s_and_saveexec_b64 s[68:69], s[28:29]
	s_cbranch_execz .LBB6_1838
; %bb.1835:                             ;   in Loop: Header=BB6_1611 Depth=4
	v_and_b32_e32 v12, 0x7f, v8
	v_cmp_ne_u32_e64 s[28:29], s92, v12
	v_mov_b32_e32 v3, 0x7f800001
	s_and_saveexec_b64 s[70:71], s[28:29]
	s_cbranch_execz .LBB6_1837
; %bb.1836:                             ;   in Loop: Header=BB6_1611 Depth=4
	v_and_b32_e32 v3, 7, v8
	v_lshrrev_b32_e32 v26, 3, v12
	v_cmp_gt_u32_e64 s[28:29], 8, v12
	v_ffbh_u32_e32 v12, v3
	v_min_u32_e32 v12, 32, v12
	v_subrev_u32_e32 v29, 28, v12
	v_lshlrev_b64 v[32:33], v29, v[8:9]
	v_sub_u32_e32 v8, 29, v12
	v_and_b32_e32 v12, 7, v32
	v_cndmask_b32_e64 v8, v26, v8, s[28:29]
	v_cndmask_b32_e64 v3, v3, v12, s[28:29]
	v_lshlrev_b32_e32 v12, 16, v10
	v_lshlrev_b32_e32 v3, 20, v3
	v_and_b32_e32 v12, 0x80000000, v12
	v_lshl_add_u32 v8, v8, 23, v31
	v_or3_b32 v3, v12, v8, v3
.LBB6_1837:                             ;   in Loop: Header=BB6_1611 Depth=4
	s_or_b64 exec, exec, s[70:71]
.LBB6_1838:                             ;   in Loop: Header=BB6_1611 Depth=4
	s_or_b64 exec, exec, s[68:69]
.LBB6_1839:                             ;   in Loop: Header=BB6_1611 Depth=4
	s_or_b64 exec, exec, s[30:31]
	v_add_f32_e32 v8, v9, v3
	v_and_b32_sdwa v3, v8, s91 dst_sel:DWORD dst_unused:UNUSED_PAD src0_sel:BYTE_3 src1_sel:DWORD
	v_and_b32_e32 v32, 0x7f800000, v8
	v_mov_b32_e32 v33, v27
	v_and_b32_e32 v26, 0x7fffff, v8
	v_or_b32_e32 v39, 0x7e, v3
	v_cmp_ne_u64_e64 s[28:29], s[52:53], v[32:33]
	s_and_saveexec_b64 s[30:31], s[28:29]
	s_xor_b64 s[68:69], exec, s[30:31]
	s_cbranch_execz .LBB6_1849
; %bb.1840:                             ;   in Loop: Header=BB6_1611 Depth=4
	v_and_b32_e32 v32, 0x7fffffff, v8
	v_mov_b32_e32 v33, v27
	v_cmp_gt_u64_e64 s[28:29], s[54:55], v[32:33]
	s_and_saveexec_b64 s[70:71], s[28:29]
	s_cbranch_execz .LBB6_1848
; %bb.1841:                             ;   in Loop: Header=BB6_1611 Depth=4
	v_cmp_ne_u32_e64 s[28:29], 0, v8
	v_mov_b32_e32 v39, 0
	s_and_saveexec_b64 s[72:73], s[28:29]
	s_cbranch_execz .LBB6_1847
; %bb.1842:                             ;   in Loop: Header=BB6_1611 Depth=4
	v_bfe_u32 v8, v8, 23, 8
	v_cmp_eq_u32_e64 s[28:29], 0, v8
	v_add_u32_e32 v9, 0xffffff81, v8
	v_cmp_gt_u32_e64 s[30:31], s93, v8
	v_sub_u32_e32 v8, 0x79, v8
	v_mov_b32_e32 v29, 0xffffff82
	v_cndmask_b32_e64 v8, 0, v8, s[30:31]
	v_cndmask_b32_e64 v29, v9, v29, s[28:29]
	v_mov_b32_e32 v9, 0x78
	v_cndmask_b32_e64 v34, v8, v9, s[28:29]
	v_add_u32_e32 v8, 20, v34
	v_or_b32_e32 v12, 0x800000, v26
	v_lshlrev_b64 v[8:9], v8, -1
	v_cndmask_b32_e64 v26, v12, v26, s[28:29]
	v_not_b32_e32 v9, v9
	v_not_b32_e32 v8, v8
	v_add_u32_e32 v12, 19, v34
	v_and_b32_e32 v9, 0, v9
	v_and_b32_e32 v8, v26, v8
	v_lshlrev_b64 v[32:33], v12, 1
	v_cmp_eq_u64_e64 s[28:29], v[8:9], v[32:33]
	v_lshrrev_b64 v[8:9], v34, v[26:27]
	v_lshrrev_b32_e32 v12, 23, v8
	v_add3_u32 v29, v34, v29, v12
	v_bfe_u32 v12, v8, 20, 1
	v_add_u32_e32 v12, -1, v12
	v_cndmask_b32_e64 v12, 0, v12, s[28:29]
	v_add_u32_e32 v12, v12, v8
	v_and_b32_e32 v12, 0xfffff, v12
	v_add_co_u32_e64 v8, s[28:29], v12, v8
	v_add_u32_e32 v26, 6, v29
	v_addc_co_u32_e64 v9, s[28:29], 0, v9, s[28:29]
	v_cmp_ne_u32_e64 s[28:29], 0, v26
                                        ; implicit-def: $vgpr12
	s_and_saveexec_b64 s[30:31], s[28:29]
	s_xor_b64 s[30:31], exec, s[30:31]
; %bb.1843:                             ;   in Loop: Header=BB6_1611 Depth=4
	v_add_u32_e32 v12, 7, v29
	v_cmp_lt_u64_e64 s[28:29], s[56:57], v[8:9]
	v_cndmask_b32_e64 v12, v26, v12, s[28:29]
	v_cndmask_b32_e64 v26, 0, 1, s[28:29]
	v_lshrrev_b64 v[8:9], v26, v[8:9]
; %bb.1844:                             ;   in Loop: Header=BB6_1611 Depth=4
	s_andn2_saveexec_b64 s[28:29], s[30:31]
; %bb.1845:                             ;   in Loop: Header=BB6_1611 Depth=4
	v_bfe_u32 v12, v8, 23, 1
; %bb.1846:                             ;   in Loop: Header=BB6_1611 Depth=4
	s_or_b64 exec, exec, s[28:29]
	v_lshrrev_b64 v[8:9], 20, v[8:9]
	v_cmp_gt_i32_e64 s[28:29], 16, v12
	v_cndmask_b32_e64 v9, 0, v9, s[28:29]
	v_cndmask_b32_e64 v8, 7, v8, s[28:29]
	v_cmp_eq_u64_e64 s[30:31], 0, v[8:9]
	v_min_i32_e32 v9, 15, v12
	v_cmp_eq_u32_e64 s[28:29], 0, v12
	v_lshlrev_b32_e32 v9, 3, v9
	v_and_or_b32 v8, v8, 7, v9
	s_and_b64 s[28:29], s[28:29], s[30:31]
	v_cndmask_b32_e64 v8, v8, 0, s[28:29]
	v_or_b32_e32 v39, v8, v3
.LBB6_1847:                             ;   in Loop: Header=BB6_1611 Depth=4
	s_or_b64 exec, exec, s[72:73]
.LBB6_1848:                             ;   in Loop: Header=BB6_1611 Depth=4
	s_or_b64 exec, exec, s[70:71]
                                        ; implicit-def: $vgpr8
.LBB6_1849:                             ;   in Loop: Header=BB6_1611 Depth=4
	s_andn2_saveexec_b64 s[30:31], s[68:69]
; %bb.1850:                             ;   in Loop: Header=BB6_1611 Depth=4
	v_or_b32_sdwa v3, v8, s92 dst_sel:DWORD dst_unused:UNUSED_PAD src0_sel:BYTE_3 src1_sel:DWORD
	v_cmp_eq_u64_e64 s[28:29], 0, v[26:27]
	v_cndmask_b32_e64 v39, v3, v39, s[28:29]
; %bb.1851:                             ;   in Loop: Header=BB6_1611 Depth=4
	s_or_b64 exec, exec, s[30:31]
	v_lshrrev_b32_e32 v8, 16, v14
	v_cmp_ne_u16_sdwa s[28:29], v8, v27 src0_sel:BYTE_0 src1_sel:DWORD
	v_mov_b32_e32 v3, 0
	v_mov_b32_e32 v9, 0
	s_and_saveexec_b64 s[30:31], s[28:29]
	s_cbranch_execz .LBB6_1857
; %bb.1852:                             ;   in Loop: Header=BB6_1611 Depth=4
	v_cmp_ne_u16_sdwa s[28:29], v8, s91 src0_sel:BYTE_0 src1_sel:DWORD
	v_bfrev_b32_e32 v9, 1
	s_and_saveexec_b64 s[68:69], s[28:29]
	s_cbranch_execz .LBB6_1856
; %bb.1853:                             ;   in Loop: Header=BB6_1611 Depth=4
	v_bfe_u32 v12, v14, 16, 7
	v_cmp_ne_u32_e64 s[28:29], s92, v12
	v_mov_b32_e32 v9, 0x7f800001
	s_and_saveexec_b64 s[70:71], s[28:29]
	s_cbranch_execz .LBB6_1855
; %bb.1854:                             ;   in Loop: Header=BB6_1611 Depth=4
	v_and_b32_e32 v9, 7, v8
	v_lshrrev_b32_e32 v26, 3, v12
	v_cmp_gt_u32_e64 s[28:29], 8, v12
	v_ffbh_u32_e32 v12, v9
	v_min_u32_e32 v12, 32, v12
	v_subrev_u32_e32 v29, 28, v12
	v_lshlrev_b64 v[32:33], v29, v[8:9]
	v_sub_u32_e32 v12, 29, v12
	v_and_b32_e32 v29, 7, v32
	v_cndmask_b32_e64 v12, v26, v12, s[28:29]
	v_cndmask_b32_e64 v9, v9, v29, s[28:29]
	v_lshlrev_b32_e32 v8, 24, v8
	v_lshlrev_b32_e32 v9, 20, v9
	v_and_b32_e32 v8, 0x80000000, v8
	v_lshl_add_u32 v12, v12, 23, v31
	v_or3_b32 v9, v8, v12, v9
.LBB6_1855:                             ;   in Loop: Header=BB6_1611 Depth=4
	s_or_b64 exec, exec, s[70:71]
.LBB6_1856:                             ;   in Loop: Header=BB6_1611 Depth=4
	s_or_b64 exec, exec, s[68:69]
.LBB6_1857:                             ;   in Loop: Header=BB6_1611 Depth=4
	s_or_b64 exec, exec, s[30:31]
	v_lshrrev_b32_e32 v8, 16, v10
	v_cmp_ne_u16_sdwa s[28:29], v8, v27 src0_sel:BYTE_0 src1_sel:DWORD
	s_and_saveexec_b64 s[30:31], s[28:29]
	s_cbranch_execz .LBB6_1863
; %bb.1858:                             ;   in Loop: Header=BB6_1611 Depth=4
	v_cmp_ne_u16_sdwa s[28:29], v8, s91 src0_sel:BYTE_0 src1_sel:DWORD
	v_bfrev_b32_e32 v3, 1
	s_and_saveexec_b64 s[68:69], s[28:29]
	s_cbranch_execz .LBB6_1862
; %bb.1859:                             ;   in Loop: Header=BB6_1611 Depth=4
	v_bfe_u32 v12, v10, 16, 7
	v_cmp_ne_u32_e64 s[28:29], s92, v12
	v_mov_b32_e32 v3, 0x7f800001
	s_and_saveexec_b64 s[70:71], s[28:29]
	s_cbranch_execz .LBB6_1861
; %bb.1860:                             ;   in Loop: Header=BB6_1611 Depth=4
	v_and_b32_e32 v3, 7, v8
	v_lshrrev_b32_e32 v26, 3, v12
	v_cmp_gt_u32_e64 s[28:29], 8, v12
	v_ffbh_u32_e32 v12, v3
	v_min_u32_e32 v12, 32, v12
	v_subrev_u32_e32 v29, 28, v12
	v_lshlrev_b64 v[32:33], v29, v[8:9]
	v_sub_u32_e32 v8, 29, v12
	v_and_b32_e32 v12, 7, v32
	v_cndmask_b32_e64 v8, v26, v8, s[28:29]
	v_cndmask_b32_e64 v3, v3, v12, s[28:29]
	v_lshlrev_b32_e32 v12, 8, v10
	v_lshlrev_b32_e32 v3, 20, v3
	v_and_b32_e32 v12, 0x80000000, v12
	v_lshl_add_u32 v8, v8, 23, v31
	v_or3_b32 v3, v12, v8, v3
.LBB6_1861:                             ;   in Loop: Header=BB6_1611 Depth=4
	s_or_b64 exec, exec, s[70:71]
.LBB6_1862:                             ;   in Loop: Header=BB6_1611 Depth=4
	s_or_b64 exec, exec, s[68:69]
.LBB6_1863:                             ;   in Loop: Header=BB6_1611 Depth=4
	s_or_b64 exec, exec, s[30:31]
	v_add_f32_e32 v8, v9, v3
	v_and_b32_sdwa v3, v8, s91 dst_sel:DWORD dst_unused:UNUSED_PAD src0_sel:BYTE_3 src1_sel:DWORD
	v_and_b32_e32 v32, 0x7f800000, v8
	v_mov_b32_e32 v33, v27
	v_and_b32_e32 v26, 0x7fffff, v8
	v_or_b32_e32 v52, 0x7e, v3
	v_cmp_ne_u64_e64 s[28:29], s[52:53], v[32:33]
	s_and_saveexec_b64 s[30:31], s[28:29]
	s_xor_b64 s[68:69], exec, s[30:31]
	s_cbranch_execz .LBB6_1873
; %bb.1864:                             ;   in Loop: Header=BB6_1611 Depth=4
	v_and_b32_e32 v32, 0x7fffffff, v8
	v_mov_b32_e32 v33, v27
	v_cmp_gt_u64_e64 s[28:29], s[54:55], v[32:33]
	s_and_saveexec_b64 s[70:71], s[28:29]
	s_cbranch_execz .LBB6_1872
; %bb.1865:                             ;   in Loop: Header=BB6_1611 Depth=4
	v_cmp_ne_u32_e64 s[28:29], 0, v8
	v_mov_b32_e32 v52, 0
	s_and_saveexec_b64 s[72:73], s[28:29]
	s_cbranch_execz .LBB6_1871
; %bb.1866:                             ;   in Loop: Header=BB6_1611 Depth=4
	v_bfe_u32 v8, v8, 23, 8
	v_cmp_eq_u32_e64 s[28:29], 0, v8
	v_add_u32_e32 v9, 0xffffff81, v8
	v_cmp_gt_u32_e64 s[30:31], s93, v8
	v_sub_u32_e32 v8, 0x79, v8
	v_mov_b32_e32 v29, 0xffffff82
	v_cndmask_b32_e64 v8, 0, v8, s[30:31]
	v_cndmask_b32_e64 v29, v9, v29, s[28:29]
	v_mov_b32_e32 v9, 0x78
	v_cndmask_b32_e64 v34, v8, v9, s[28:29]
	v_add_u32_e32 v8, 20, v34
	v_or_b32_e32 v12, 0x800000, v26
	v_lshlrev_b64 v[8:9], v8, -1
	v_cndmask_b32_e64 v26, v12, v26, s[28:29]
	v_not_b32_e32 v9, v9
	v_not_b32_e32 v8, v8
	v_add_u32_e32 v12, 19, v34
	v_and_b32_e32 v9, 0, v9
	v_and_b32_e32 v8, v26, v8
	v_lshlrev_b64 v[32:33], v12, 1
	v_cmp_eq_u64_e64 s[28:29], v[8:9], v[32:33]
	v_lshrrev_b64 v[8:9], v34, v[26:27]
	v_lshrrev_b32_e32 v12, 23, v8
	v_add3_u32 v29, v34, v29, v12
	v_bfe_u32 v12, v8, 20, 1
	v_add_u32_e32 v12, -1, v12
	v_cndmask_b32_e64 v12, 0, v12, s[28:29]
	v_add_u32_e32 v12, v12, v8
	v_and_b32_e32 v12, 0xfffff, v12
	v_add_co_u32_e64 v8, s[28:29], v12, v8
	v_add_u32_e32 v26, 6, v29
	v_addc_co_u32_e64 v9, s[28:29], 0, v9, s[28:29]
	v_cmp_ne_u32_e64 s[28:29], 0, v26
                                        ; implicit-def: $vgpr12
	s_and_saveexec_b64 s[30:31], s[28:29]
	s_xor_b64 s[30:31], exec, s[30:31]
; %bb.1867:                             ;   in Loop: Header=BB6_1611 Depth=4
	v_add_u32_e32 v12, 7, v29
	v_cmp_lt_u64_e64 s[28:29], s[56:57], v[8:9]
	v_cndmask_b32_e64 v12, v26, v12, s[28:29]
	v_cndmask_b32_e64 v26, 0, 1, s[28:29]
	v_lshrrev_b64 v[8:9], v26, v[8:9]
; %bb.1868:                             ;   in Loop: Header=BB6_1611 Depth=4
	s_andn2_saveexec_b64 s[28:29], s[30:31]
; %bb.1869:                             ;   in Loop: Header=BB6_1611 Depth=4
	v_bfe_u32 v12, v8, 23, 1
; %bb.1870:                             ;   in Loop: Header=BB6_1611 Depth=4
	s_or_b64 exec, exec, s[28:29]
	v_lshrrev_b64 v[8:9], 20, v[8:9]
	v_cmp_gt_i32_e64 s[28:29], 16, v12
	v_cndmask_b32_e64 v9, 0, v9, s[28:29]
	v_cndmask_b32_e64 v8, 7, v8, s[28:29]
	v_cmp_eq_u64_e64 s[30:31], 0, v[8:9]
	v_min_i32_e32 v9, 15, v12
	v_cmp_eq_u32_e64 s[28:29], 0, v12
	v_lshlrev_b32_e32 v9, 3, v9
	v_and_or_b32 v8, v8, 7, v9
	s_and_b64 s[28:29], s[28:29], s[30:31]
	v_cndmask_b32_e64 v8, v8, 0, s[28:29]
	v_or_b32_e32 v52, v8, v3
.LBB6_1871:                             ;   in Loop: Header=BB6_1611 Depth=4
	s_or_b64 exec, exec, s[72:73]
.LBB6_1872:                             ;   in Loop: Header=BB6_1611 Depth=4
	s_or_b64 exec, exec, s[70:71]
                                        ; implicit-def: $vgpr8
.LBB6_1873:                             ;   in Loop: Header=BB6_1611 Depth=4
	s_andn2_saveexec_b64 s[30:31], s[68:69]
; %bb.1874:                             ;   in Loop: Header=BB6_1611 Depth=4
	v_or_b32_sdwa v3, v8, s92 dst_sel:DWORD dst_unused:UNUSED_PAD src0_sel:BYTE_3 src1_sel:DWORD
	v_cmp_eq_u64_e64 s[28:29], 0, v[26:27]
	v_cndmask_b32_e64 v52, v3, v52, s[28:29]
; %bb.1875:                             ;   in Loop: Header=BB6_1611 Depth=4
	s_or_b64 exec, exec, s[30:31]
	v_cmp_lt_u32_e64 s[28:29], s43, v14
	v_mov_b32_e32 v3, 0
	v_mov_b32_e32 v9, 0
	s_and_saveexec_b64 s[30:31], s[28:29]
	s_cbranch_execz .LBB6_1881
; %bb.1876:                             ;   in Loop: Header=BB6_1611 Depth=4
	v_lshrrev_b32_e32 v8, 24, v14
	v_cmp_ne_u32_e64 s[28:29], s91, v8
	v_bfrev_b32_e32 v9, 1
	s_and_saveexec_b64 s[68:69], s[28:29]
	s_cbranch_execz .LBB6_1880
; %bb.1877:                             ;   in Loop: Header=BB6_1611 Depth=4
	v_bfe_u32 v12, v14, 24, 7
	v_cmp_ne_u32_e64 s[28:29], s92, v12
	v_mov_b32_e32 v9, 0x7f800001
	s_and_saveexec_b64 s[70:71], s[28:29]
	s_cbranch_execz .LBB6_1879
; %bb.1878:                             ;   in Loop: Header=BB6_1611 Depth=4
	v_and_b32_e32 v9, 7, v8
	v_lshrrev_b32_e32 v26, 3, v12
	v_cmp_gt_u32_e64 s[28:29], 8, v12
	v_ffbh_u32_e32 v12, v9
	v_min_u32_e32 v12, 32, v12
	v_subrev_u32_e32 v29, 28, v12
	v_lshlrev_b64 v[32:33], v29, v[8:9]
	v_sub_u32_e32 v12, 29, v12
	v_and_b32_e32 v29, 7, v32
	v_cndmask_b32_e64 v12, v26, v12, s[28:29]
	v_cndmask_b32_e64 v9, v9, v29, s[28:29]
	v_lshlrev_b32_e32 v8, 24, v8
	v_lshlrev_b32_e32 v9, 20, v9
	v_and_b32_e32 v8, 0x80000000, v8
	v_lshl_add_u32 v12, v12, 23, v31
	v_or3_b32 v9, v8, v12, v9
.LBB6_1879:                             ;   in Loop: Header=BB6_1611 Depth=4
	s_or_b64 exec, exec, s[70:71]
.LBB6_1880:                             ;   in Loop: Header=BB6_1611 Depth=4
	s_or_b64 exec, exec, s[68:69]
.LBB6_1881:                             ;   in Loop: Header=BB6_1611 Depth=4
	s_or_b64 exec, exec, s[30:31]
	v_cmp_lt_u32_e64 s[28:29], s43, v10
	s_and_saveexec_b64 s[30:31], s[28:29]
	s_cbranch_execz .LBB6_1887
; %bb.1882:                             ;   in Loop: Header=BB6_1611 Depth=4
	v_lshrrev_b32_e32 v8, 24, v10
	v_cmp_ne_u32_e64 s[28:29], s91, v8
	v_bfrev_b32_e32 v3, 1
	s_and_saveexec_b64 s[68:69], s[28:29]
	s_cbranch_execz .LBB6_1886
; %bb.1883:                             ;   in Loop: Header=BB6_1611 Depth=4
	v_bfe_u32 v12, v10, 24, 7
	v_cmp_ne_u32_e64 s[28:29], s92, v12
	v_mov_b32_e32 v3, 0x7f800001
	s_and_saveexec_b64 s[70:71], s[28:29]
	s_cbranch_execz .LBB6_1885
; %bb.1884:                             ;   in Loop: Header=BB6_1611 Depth=4
	v_and_b32_e32 v3, 7, v8
	v_lshrrev_b32_e32 v26, 3, v12
	v_cmp_gt_u32_e64 s[28:29], 8, v12
	v_ffbh_u32_e32 v12, v3
	v_min_u32_e32 v12, 32, v12
	v_subrev_u32_e32 v29, 28, v12
	v_lshlrev_b64 v[32:33], v29, v[8:9]
	v_sub_u32_e32 v12, 29, v12
	v_and_b32_e32 v29, 7, v32
	v_cndmask_b32_e64 v12, v26, v12, s[28:29]
	v_cndmask_b32_e64 v3, v3, v29, s[28:29]
	v_lshlrev_b32_e32 v8, 24, v8
	v_lshlrev_b32_e32 v3, 20, v3
	v_and_b32_e32 v8, 0x80000000, v8
	v_lshl_add_u32 v12, v12, 23, v31
	v_or3_b32 v3, v8, v12, v3
.LBB6_1885:                             ;   in Loop: Header=BB6_1611 Depth=4
	s_or_b64 exec, exec, s[70:71]
.LBB6_1886:                             ;   in Loop: Header=BB6_1611 Depth=4
	s_or_b64 exec, exec, s[68:69]
.LBB6_1887:                             ;   in Loop: Header=BB6_1611 Depth=4
	s_or_b64 exec, exec, s[30:31]
	v_add_f32_e32 v8, v9, v3
	v_and_b32_sdwa v12, v8, s91 dst_sel:DWORD dst_unused:UNUSED_PAD src0_sel:BYTE_3 src1_sel:DWORD
	v_and_b32_e32 v32, 0x7f800000, v8
	v_mov_b32_e32 v33, v27
	v_and_b32_e32 v26, 0x7fffff, v8
	v_or_b32_e32 v3, 0x7e, v12
	v_cmp_ne_u64_e64 s[28:29], s[52:53], v[32:33]
	s_and_saveexec_b64 s[30:31], s[28:29]
	s_xor_b64 s[68:69], exec, s[30:31]
	s_cbranch_execz .LBB6_1897
; %bb.1888:                             ;   in Loop: Header=BB6_1611 Depth=4
	v_and_b32_e32 v32, 0x7fffffff, v8
	v_mov_b32_e32 v33, v27
	v_cmp_gt_u64_e64 s[28:29], s[54:55], v[32:33]
	s_and_saveexec_b64 s[70:71], s[28:29]
	s_cbranch_execz .LBB6_1896
; %bb.1889:                             ;   in Loop: Header=BB6_1611 Depth=4
	v_cmp_ne_u32_e64 s[28:29], 0, v8
	v_mov_b32_e32 v3, 0
	s_and_saveexec_b64 s[72:73], s[28:29]
	s_cbranch_execz .LBB6_1895
; %bb.1890:                             ;   in Loop: Header=BB6_1611 Depth=4
	v_bfe_u32 v3, v8, 23, 8
	v_cmp_eq_u32_e64 s[28:29], 0, v3
	v_add_u32_e32 v8, 0xffffff81, v3
	v_cmp_gt_u32_e64 s[30:31], s93, v3
	v_sub_u32_e32 v3, 0x79, v3
	v_mov_b32_e32 v29, 0xffffff82
	v_cndmask_b32_e64 v3, 0, v3, s[30:31]
	v_cndmask_b32_e64 v29, v8, v29, s[28:29]
	v_mov_b32_e32 v8, 0x78
	v_cndmask_b32_e64 v3, v3, v8, s[28:29]
	v_or_b32_e32 v9, 0x800000, v26
	v_add_u32_e32 v8, 20, v3
	v_cndmask_b32_e64 v26, v9, v26, s[28:29]
	v_lshlrev_b64 v[8:9], v8, -1
	v_not_b32_e32 v9, v9
	v_not_b32_e32 v8, v8
	v_add_u32_e32 v32, 19, v3
	v_and_b32_e32 v9, 0, v9
	v_and_b32_e32 v8, v26, v8
	v_lshlrev_b64 v[32:33], v32, 1
	v_cmp_eq_u64_e64 s[28:29], v[8:9], v[32:33]
	v_lshrrev_b64 v[8:9], v3, v[26:27]
	v_lshrrev_b32_e32 v26, 23, v8
	v_add3_u32 v29, v3, v29, v26
	v_bfe_u32 v3, v8, 20, 1
	v_add_u32_e32 v3, -1, v3
	v_cndmask_b32_e64 v3, 0, v3, s[28:29]
	v_add_u32_e32 v3, v3, v8
	v_and_b32_e32 v3, 0xfffff, v3
	v_add_co_u32_e64 v8, s[28:29], v3, v8
	v_add_u32_e32 v26, 6, v29
	v_addc_co_u32_e64 v9, s[28:29], 0, v9, s[28:29]
	v_cmp_ne_u32_e64 s[28:29], 0, v26
                                        ; implicit-def: $vgpr3
	s_and_saveexec_b64 s[30:31], s[28:29]
	s_xor_b64 s[30:31], exec, s[30:31]
; %bb.1891:                             ;   in Loop: Header=BB6_1611 Depth=4
	v_add_u32_e32 v3, 7, v29
	v_cmp_lt_u64_e64 s[28:29], s[56:57], v[8:9]
	v_cndmask_b32_e64 v3, v26, v3, s[28:29]
	v_cndmask_b32_e64 v26, 0, 1, s[28:29]
	v_lshrrev_b64 v[8:9], v26, v[8:9]
; %bb.1892:                             ;   in Loop: Header=BB6_1611 Depth=4
	s_andn2_saveexec_b64 s[28:29], s[30:31]
; %bb.1893:                             ;   in Loop: Header=BB6_1611 Depth=4
	v_bfe_u32 v3, v8, 23, 1
; %bb.1894:                             ;   in Loop: Header=BB6_1611 Depth=4
	s_or_b64 exec, exec, s[28:29]
	v_lshrrev_b64 v[8:9], 20, v[8:9]
	v_cmp_gt_i32_e64 s[28:29], 16, v3
	v_cndmask_b32_e64 v9, 0, v9, s[28:29]
	v_cndmask_b32_e64 v8, 7, v8, s[28:29]
	v_cmp_eq_u32_e64 s[28:29], 0, v3
	v_min_i32_e32 v3, 15, v3
	v_cmp_eq_u64_e64 s[30:31], 0, v[8:9]
	v_lshlrev_b32_e32 v3, 3, v3
	v_and_or_b32 v3, v8, 7, v3
	s_and_b64 s[28:29], s[28:29], s[30:31]
	v_cndmask_b32_e64 v3, v3, 0, s[28:29]
	v_or_b32_e32 v3, v3, v12
.LBB6_1895:                             ;   in Loop: Header=BB6_1611 Depth=4
	s_or_b64 exec, exec, s[72:73]
.LBB6_1896:                             ;   in Loop: Header=BB6_1611 Depth=4
	s_or_b64 exec, exec, s[70:71]
                                        ; implicit-def: $vgpr8
.LBB6_1897:                             ;   in Loop: Header=BB6_1611 Depth=4
	s_andn2_saveexec_b64 s[30:31], s[68:69]
; %bb.1898:                             ;   in Loop: Header=BB6_1611 Depth=4
	v_or_b32_sdwa v8, v8, s92 dst_sel:DWORD dst_unused:UNUSED_PAD src0_sel:BYTE_3 src1_sel:DWORD
	v_cmp_eq_u64_e64 s[28:29], 0, v[26:27]
	v_cndmask_b32_e64 v3, v8, v3, s[28:29]
; %bb.1899:                             ;   in Loop: Header=BB6_1611 Depth=4
	s_or_b64 exec, exec, s[30:31]
	v_mov_b32_e32 v26, v15
	v_cmp_ne_u16_sdwa s[28:29], v15, v27 src0_sel:BYTE_0 src1_sel:DWORD
	v_mov_b32_e32 v9, 0
	v_mov_b32_e32 v8, 0
	s_and_saveexec_b64 s[30:31], s[28:29]
	s_cbranch_execz .LBB6_1905
; %bb.1900:                             ;   in Loop: Header=BB6_1611 Depth=4
	v_cmp_ne_u16_sdwa s[28:29], v15, s91 src0_sel:BYTE_0 src1_sel:DWORD
	v_bfrev_b32_e32 v8, 1
	s_and_saveexec_b64 s[68:69], s[28:29]
	s_cbranch_execz .LBB6_1904
; %bb.1901:                             ;   in Loop: Header=BB6_1611 Depth=4
	v_and_b32_e32 v12, 0x7f, v15
	v_cmp_ne_u32_e64 s[28:29], s92, v12
	v_mov_b32_e32 v8, 0x7f800001
	s_and_saveexec_b64 s[70:71], s[28:29]
	s_cbranch_execz .LBB6_1903
; %bb.1902:                             ;   in Loop: Header=BB6_1611 Depth=4
	v_and_b32_e32 v8, 7, v15
	v_ffbh_u32_e32 v8, v8
	v_min_u32_e32 v8, 32, v8
	v_lshrrev_b32_e32 v29, 3, v12
	v_cmp_gt_u32_e64 s[28:29], 8, v12
	v_subrev_u32_e32 v12, 28, v8
	v_cndmask_b32_e64 v12, 0, v12, s[28:29]
	v_sub_u32_e32 v8, 29, v8
	v_lshlrev_b64 v[32:33], v12, v[26:27]
	v_cndmask_b32_e64 v8, v29, v8, s[28:29]
	v_lshlrev_b32_e32 v12, 20, v32
	v_lshlrev_b32_e32 v29, 24, v26
	v_and_b32_e32 v12, 0x700000, v12
	v_and_b32_e32 v29, 0x80000000, v29
	v_lshl_add_u32 v8, v8, 23, v31
	v_or3_b32 v8, v29, v8, v12
.LBB6_1903:                             ;   in Loop: Header=BB6_1611 Depth=4
	s_or_b64 exec, exec, s[70:71]
.LBB6_1904:                             ;   in Loop: Header=BB6_1611 Depth=4
	s_or_b64 exec, exec, s[68:69]
.LBB6_1905:                             ;   in Loop: Header=BB6_1611 Depth=4
	s_or_b64 exec, exec, s[30:31]
	v_cmp_ne_u16_sdwa s[28:29], v11, v27 src0_sel:BYTE_0 src1_sel:DWORD
	s_and_saveexec_b64 s[30:31], s[28:29]
	s_cbranch_execz .LBB6_1911
; %bb.1906:                             ;   in Loop: Header=BB6_1611 Depth=4
	v_cmp_ne_u16_sdwa s[28:29], v11, s91 src0_sel:BYTE_0 src1_sel:DWORD
	v_bfrev_b32_e32 v9, 1
	s_and_saveexec_b64 s[68:69], s[28:29]
	s_cbranch_execz .LBB6_1910
; %bb.1907:                             ;   in Loop: Header=BB6_1611 Depth=4
	v_and_b32_e32 v12, 0x7f, v11
	v_cmp_ne_u32_e64 s[28:29], s92, v12
	v_mov_b32_e32 v9, 0x7f800001
	s_and_saveexec_b64 s[70:71], s[28:29]
	s_cbranch_execz .LBB6_1909
; %bb.1908:                             ;   in Loop: Header=BB6_1611 Depth=4
	v_and_b32_e32 v9, 7, v11
	v_ffbh_u32_e32 v9, v9
	v_min_u32_e32 v9, 32, v9
	v_lshrrev_b32_e32 v29, 3, v12
	v_cmp_gt_u32_e64 s[28:29], 8, v12
	v_subrev_u32_e32 v12, 28, v9
	v_mov_b32_e32 v32, v11
	v_mov_b32_e32 v33, v27
	v_cndmask_b32_e64 v12, 0, v12, s[28:29]
	v_sub_u32_e32 v9, 29, v9
	v_lshlrev_b64 v[34:35], v12, v[32:33]
	v_cndmask_b32_e64 v9, v29, v9, s[28:29]
	v_lshlrev_b32_e32 v12, 20, v34
	v_lshlrev_b32_e32 v29, 24, v32
	v_and_b32_e32 v12, 0x700000, v12
	v_and_b32_e32 v29, 0x80000000, v29
	v_lshl_add_u32 v9, v9, 23, v31
	v_or3_b32 v9, v29, v9, v12
.LBB6_1909:                             ;   in Loop: Header=BB6_1611 Depth=4
	s_or_b64 exec, exec, s[70:71]
.LBB6_1910:                             ;   in Loop: Header=BB6_1611 Depth=4
	s_or_b64 exec, exec, s[68:69]
.LBB6_1911:                             ;   in Loop: Header=BB6_1611 Depth=4
	s_or_b64 exec, exec, s[30:31]
	v_add_f32_e32 v29, v8, v9
	v_and_b32_sdwa v12, v29, s91 dst_sel:DWORD dst_unused:UNUSED_PAD src0_sel:BYTE_3 src1_sel:DWORD
	v_and_b32_e32 v32, 0x7f800000, v29
	v_mov_b32_e32 v33, v27
	v_and_b32_e32 v8, 0x7fffff, v29
	v_mov_b32_e32 v9, v27
	v_or_b32_e32 v53, 0x7e, v12
	v_cmp_ne_u64_e64 s[28:29], s[52:53], v[32:33]
	s_and_saveexec_b64 s[30:31], s[28:29]
	s_xor_b64 s[68:69], exec, s[30:31]
	s_cbranch_execz .LBB6_1921
; %bb.1912:                             ;   in Loop: Header=BB6_1611 Depth=4
	v_and_b32_e32 v32, 0x7fffffff, v29
	v_mov_b32_e32 v33, v27
	v_cmp_gt_u64_e64 s[28:29], s[54:55], v[32:33]
	s_and_saveexec_b64 s[70:71], s[28:29]
	s_cbranch_execz .LBB6_1920
; %bb.1913:                             ;   in Loop: Header=BB6_1611 Depth=4
	v_cmp_ne_u32_e64 s[28:29], 0, v29
	v_mov_b32_e32 v53, 0
	s_and_saveexec_b64 s[72:73], s[28:29]
	s_cbranch_execz .LBB6_1919
; %bb.1914:                             ;   in Loop: Header=BB6_1611 Depth=4
	v_bfe_u32 v29, v29, 23, 8
	v_cmp_eq_u32_e64 s[28:29], 0, v29
	v_add_u32_e32 v32, 0xffffff81, v29
	v_cmp_gt_u32_e64 s[30:31], s93, v29
	v_sub_u32_e32 v29, 0x79, v29
	v_mov_b32_e32 v34, 0xffffff82
	v_cndmask_b32_e64 v29, 0, v29, s[30:31]
	v_cndmask_b32_e64 v50, v32, v34, s[28:29]
	v_mov_b32_e32 v32, 0x78
	v_cndmask_b32_e64 v29, v29, v32, s[28:29]
	v_or_b32_e32 v33, 0x800000, v8
	v_add_u32_e32 v32, 20, v29
	v_cndmask_b32_e64 v8, v33, v8, s[28:29]
	v_lshlrev_b64 v[32:33], v32, -1
	v_not_b32_e32 v33, v33
	v_not_b32_e32 v32, v32
	v_add_u32_e32 v34, 19, v29
	v_and_b32_e32 v33, 0, v33
	v_and_b32_e32 v32, v8, v32
	v_lshlrev_b64 v[34:35], v34, 1
	v_lshrrev_b64 v[8:9], v29, v[8:9]
	v_cmp_eq_u64_e64 s[28:29], v[32:33], v[34:35]
	v_lshrrev_b32_e32 v32, 23, v8
	v_add3_u32 v51, v29, v50, v32
	v_bfe_u32 v29, v8, 20, 1
	v_add_u32_e32 v29, -1, v29
	v_cndmask_b32_e64 v29, 0, v29, s[28:29]
	v_add_u32_e32 v29, v29, v8
	v_and_b32_e32 v29, 0xfffff, v29
	v_add_co_u32_e64 v8, s[28:29], v29, v8
	v_add_u32_e32 v50, 6, v51
	v_addc_co_u32_e64 v9, s[28:29], 0, v9, s[28:29]
	v_cmp_ne_u32_e64 s[28:29], 0, v50
                                        ; implicit-def: $vgpr29
	s_and_saveexec_b64 s[30:31], s[28:29]
	s_xor_b64 s[30:31], exec, s[30:31]
; %bb.1915:                             ;   in Loop: Header=BB6_1611 Depth=4
	v_cmp_lt_u64_e64 s[28:29], s[56:57], v[8:9]
	v_add_u32_e32 v29, 7, v51
	v_cndmask_b32_e64 v32, 0, 1, s[28:29]
	v_cndmask_b32_e64 v29, v50, v29, s[28:29]
	v_lshrrev_b64 v[8:9], v32, v[8:9]
; %bb.1916:                             ;   in Loop: Header=BB6_1611 Depth=4
	s_andn2_saveexec_b64 s[28:29], s[30:31]
; %bb.1917:                             ;   in Loop: Header=BB6_1611 Depth=4
	v_bfe_u32 v29, v8, 23, 1
; %bb.1918:                             ;   in Loop: Header=BB6_1611 Depth=4
	s_or_b64 exec, exec, s[28:29]
	v_lshrrev_b64 v[8:9], 20, v[8:9]
	v_cmp_gt_i32_e64 s[28:29], 16, v29
	v_cndmask_b32_e64 v9, 0, v9, s[28:29]
	v_cndmask_b32_e64 v8, 7, v8, s[28:29]
	v_cmp_eq_u64_e64 s[30:31], 0, v[8:9]
	v_min_i32_e32 v9, 15, v29
	v_cmp_eq_u32_e64 s[28:29], 0, v29
	v_lshlrev_b32_e32 v9, 3, v9
	v_and_or_b32 v8, v8, 7, v9
	s_and_b64 s[28:29], s[28:29], s[30:31]
	v_cndmask_b32_e64 v8, v8, 0, s[28:29]
	v_or_b32_e32 v53, v8, v12
.LBB6_1919:                             ;   in Loop: Header=BB6_1611 Depth=4
	s_or_b64 exec, exec, s[72:73]
.LBB6_1920:                             ;   in Loop: Header=BB6_1611 Depth=4
	s_or_b64 exec, exec, s[70:71]
                                        ; implicit-def: $vgpr29
                                        ; implicit-def: $vgpr8_vgpr9
.LBB6_1921:                             ;   in Loop: Header=BB6_1611 Depth=4
	s_andn2_saveexec_b64 s[30:31], s[68:69]
; %bb.1922:                             ;   in Loop: Header=BB6_1611 Depth=4
	v_or_b32_sdwa v12, v29, s92 dst_sel:DWORD dst_unused:UNUSED_PAD src0_sel:BYTE_3 src1_sel:DWORD
	v_cmp_eq_u64_e64 s[28:29], 0, v[8:9]
	v_cndmask_b32_e64 v53, v12, v53, s[28:29]
; %bb.1923:                             ;   in Loop: Header=BB6_1611 Depth=4
	s_or_b64 exec, exec, s[30:31]
	v_lshrrev_b16_e32 v8, 8, v26
	v_cmp_ne_u16_e64 s[28:29], 0, v8
	v_mov_b32_e32 v9, 0
	v_mov_b32_e32 v29, 0
	s_and_saveexec_b64 s[30:31], s[28:29]
	s_cbranch_execz .LBB6_1929
; %bb.1924:                             ;   in Loop: Header=BB6_1611 Depth=4
	v_cmp_ne_u16_e64 s[28:29], s91, v8
	v_bfrev_b32_e32 v29, 1
	s_and_saveexec_b64 s[68:69], s[28:29]
	s_cbranch_execz .LBB6_1928
; %bb.1925:                             ;   in Loop: Header=BB6_1611 Depth=4
	v_and_b32_e32 v12, 0x7f, v8
	v_cmp_ne_u32_e64 s[28:29], s92, v12
	v_mov_b32_e32 v29, 0x7f800001
	s_and_saveexec_b64 s[70:71], s[28:29]
	s_cbranch_execz .LBB6_1927
; %bb.1926:                             ;   in Loop: Header=BB6_1611 Depth=4
	v_and_b32_e32 v29, 7, v8
	v_lshrrev_b32_e32 v34, 3, v12
	v_cmp_gt_u32_e64 s[28:29], 8, v12
	v_ffbh_u32_e32 v12, v29
	v_min_u32_e32 v12, 32, v12
	v_subrev_u32_e32 v32, 28, v12
	v_lshlrev_b64 v[32:33], v32, v[8:9]
	v_sub_u32_e32 v8, 29, v12
	v_and_b32_e32 v12, 7, v32
	v_cndmask_b32_e64 v8, v34, v8, s[28:29]
	v_cndmask_b32_e64 v12, v29, v12, s[28:29]
	v_lshlrev_b32_e32 v26, 16, v26
	v_lshlrev_b32_e32 v12, 20, v12
	v_and_b32_e32 v26, 0x80000000, v26
	v_lshl_add_u32 v8, v8, 23, v31
	v_or3_b32 v29, v26, v8, v12
.LBB6_1927:                             ;   in Loop: Header=BB6_1611 Depth=4
	s_or_b64 exec, exec, s[70:71]
.LBB6_1928:                             ;   in Loop: Header=BB6_1611 Depth=4
	s_or_b64 exec, exec, s[68:69]
.LBB6_1929:                             ;   in Loop: Header=BB6_1611 Depth=4
	s_or_b64 exec, exec, s[30:31]
	v_mov_b32_e32 v8, v11
	v_lshrrev_b16_e32 v12, 8, v8
	v_cmp_ne_u16_e64 s[28:29], 0, v12
	s_and_saveexec_b64 s[30:31], s[28:29]
	s_cbranch_execz .LBB6_1935
; %bb.1930:                             ;   in Loop: Header=BB6_1611 Depth=4
	v_cmp_ne_u16_e64 s[28:29], s91, v12
	v_bfrev_b32_e32 v9, 1
	s_and_saveexec_b64 s[68:69], s[28:29]
	s_cbranch_execz .LBB6_1934
; %bb.1931:                             ;   in Loop: Header=BB6_1611 Depth=4
	v_and_b32_e32 v26, 0x7f, v12
	v_cmp_ne_u32_e64 s[28:29], s92, v26
	v_mov_b32_e32 v9, 0x7f800001
	s_and_saveexec_b64 s[70:71], s[28:29]
	s_cbranch_execz .LBB6_1933
; %bb.1932:                             ;   in Loop: Header=BB6_1611 Depth=4
	v_and_b32_e32 v9, 7, v12
	v_lshrrev_b32_e32 v34, 3, v26
	v_cmp_gt_u32_e64 s[28:29], 8, v26
	v_ffbh_u32_e32 v26, v9
	v_min_u32_e32 v26, 32, v26
	v_subrev_u32_e32 v32, 28, v26
	v_lshlrev_b64 v[32:33], v32, v[12:13]
	v_sub_u32_e32 v12, 29, v26
	v_and_b32_e32 v26, 7, v32
	v_cndmask_b32_e64 v12, v34, v12, s[28:29]
	v_cndmask_b32_e64 v9, v9, v26, s[28:29]
	v_lshlrev_b32_e32 v8, 16, v8
	v_lshlrev_b32_e32 v9, 20, v9
	v_and_b32_e32 v8, 0x80000000, v8
	v_lshl_add_u32 v12, v12, 23, v31
	v_or3_b32 v9, v8, v12, v9
.LBB6_1933:                             ;   in Loop: Header=BB6_1611 Depth=4
	s_or_b64 exec, exec, s[70:71]
.LBB6_1934:                             ;   in Loop: Header=BB6_1611 Depth=4
	s_or_b64 exec, exec, s[68:69]
.LBB6_1935:                             ;   in Loop: Header=BB6_1611 Depth=4
	s_or_b64 exec, exec, s[30:31]
	v_add_f32_e32 v8, v29, v9
	v_and_b32_sdwa v29, v8, s91 dst_sel:DWORD dst_unused:UNUSED_PAD src0_sel:BYTE_3 src1_sel:DWORD
	v_and_b32_e32 v32, 0x7f800000, v8
	v_mov_b32_e32 v33, v27
	v_and_b32_e32 v26, 0x7fffff, v8
	v_or_b32_e32 v12, 0x7e, v29
	v_cmp_ne_u64_e64 s[28:29], s[52:53], v[32:33]
	s_and_saveexec_b64 s[30:31], s[28:29]
	s_xor_b64 s[68:69], exec, s[30:31]
	s_cbranch_execz .LBB6_1945
; %bb.1936:                             ;   in Loop: Header=BB6_1611 Depth=4
	v_and_b32_e32 v32, 0x7fffffff, v8
	v_mov_b32_e32 v33, v27
	v_cmp_gt_u64_e64 s[28:29], s[54:55], v[32:33]
	s_and_saveexec_b64 s[70:71], s[28:29]
	s_cbranch_execz .LBB6_1944
; %bb.1937:                             ;   in Loop: Header=BB6_1611 Depth=4
	v_cmp_ne_u32_e64 s[28:29], 0, v8
	v_mov_b32_e32 v12, 0
	s_and_saveexec_b64 s[72:73], s[28:29]
	s_cbranch_execz .LBB6_1943
; %bb.1938:                             ;   in Loop: Header=BB6_1611 Depth=4
	v_bfe_u32 v8, v8, 23, 8
	v_cmp_eq_u32_e64 s[28:29], 0, v8
	v_add_u32_e32 v9, 0xffffff81, v8
	v_cmp_gt_u32_e64 s[30:31], s93, v8
	v_sub_u32_e32 v8, 0x79, v8
	v_mov_b32_e32 v32, 0xffffff82
	v_cndmask_b32_e64 v8, 0, v8, s[30:31]
	v_cndmask_b32_e64 v34, v9, v32, s[28:29]
	v_mov_b32_e32 v9, 0x78
	v_cndmask_b32_e64 v35, v8, v9, s[28:29]
	v_add_u32_e32 v8, 20, v35
	v_or_b32_e32 v12, 0x800000, v26
	v_lshlrev_b64 v[8:9], v8, -1
	v_cndmask_b32_e64 v26, v12, v26, s[28:29]
	v_not_b32_e32 v9, v9
	v_not_b32_e32 v8, v8
	v_add_u32_e32 v12, 19, v35
	v_and_b32_e32 v9, 0, v9
	v_and_b32_e32 v8, v26, v8
	v_lshlrev_b64 v[32:33], v12, 1
	v_cmp_eq_u64_e64 s[28:29], v[8:9], v[32:33]
	v_lshrrev_b64 v[8:9], v35, v[26:27]
	v_lshrrev_b32_e32 v12, 23, v8
	v_add3_u32 v50, v35, v34, v12
	v_bfe_u32 v12, v8, 20, 1
	v_add_u32_e32 v12, -1, v12
	v_cndmask_b32_e64 v12, 0, v12, s[28:29]
	v_add_u32_e32 v12, v12, v8
	v_and_b32_e32 v12, 0xfffff, v12
	v_add_co_u32_e64 v8, s[28:29], v12, v8
	v_add_u32_e32 v26, 6, v50
	v_addc_co_u32_e64 v9, s[28:29], 0, v9, s[28:29]
	v_cmp_ne_u32_e64 s[28:29], 0, v26
                                        ; implicit-def: $vgpr12
	s_and_saveexec_b64 s[30:31], s[28:29]
	s_xor_b64 s[30:31], exec, s[30:31]
; %bb.1939:                             ;   in Loop: Header=BB6_1611 Depth=4
	v_add_u32_e32 v12, 7, v50
	v_cmp_lt_u64_e64 s[28:29], s[56:57], v[8:9]
	v_cndmask_b32_e64 v12, v26, v12, s[28:29]
	v_cndmask_b32_e64 v26, 0, 1, s[28:29]
	v_lshrrev_b64 v[8:9], v26, v[8:9]
; %bb.1940:                             ;   in Loop: Header=BB6_1611 Depth=4
	s_andn2_saveexec_b64 s[28:29], s[30:31]
; %bb.1941:                             ;   in Loop: Header=BB6_1611 Depth=4
	v_bfe_u32 v12, v8, 23, 1
; %bb.1942:                             ;   in Loop: Header=BB6_1611 Depth=4
	s_or_b64 exec, exec, s[28:29]
	v_lshrrev_b64 v[8:9], 20, v[8:9]
	v_cmp_gt_i32_e64 s[28:29], 16, v12
	v_cndmask_b32_e64 v9, 0, v9, s[28:29]
	v_cndmask_b32_e64 v8, 7, v8, s[28:29]
	v_cmp_eq_u64_e64 s[30:31], 0, v[8:9]
	v_min_i32_e32 v9, 15, v12
	v_cmp_eq_u32_e64 s[28:29], 0, v12
	v_lshlrev_b32_e32 v9, 3, v9
	v_and_or_b32 v8, v8, 7, v9
	s_and_b64 s[28:29], s[28:29], s[30:31]
	v_cndmask_b32_e64 v8, v8, 0, s[28:29]
	v_or_b32_e32 v12, v8, v29
.LBB6_1943:                             ;   in Loop: Header=BB6_1611 Depth=4
	s_or_b64 exec, exec, s[72:73]
.LBB6_1944:                             ;   in Loop: Header=BB6_1611 Depth=4
	s_or_b64 exec, exec, s[70:71]
                                        ; implicit-def: $vgpr8
.LBB6_1945:                             ;   in Loop: Header=BB6_1611 Depth=4
	s_andn2_saveexec_b64 s[30:31], s[68:69]
; %bb.1946:                             ;   in Loop: Header=BB6_1611 Depth=4
	v_or_b32_sdwa v8, v8, s92 dst_sel:DWORD dst_unused:UNUSED_PAD src0_sel:BYTE_3 src1_sel:DWORD
	v_cmp_eq_u64_e64 s[28:29], 0, v[26:27]
	v_cndmask_b32_e64 v12, v8, v12, s[28:29]
; %bb.1947:                             ;   in Loop: Header=BB6_1611 Depth=4
	s_or_b64 exec, exec, s[30:31]
	v_lshrrev_b32_e32 v8, 16, v15
	v_cmp_ne_u16_sdwa s[28:29], v8, v27 src0_sel:BYTE_0 src1_sel:DWORD
	v_mov_b32_e32 v9, 0
	v_mov_b32_e32 v26, 0
	s_and_saveexec_b64 s[30:31], s[28:29]
	s_cbranch_execz .LBB6_1953
; %bb.1948:                             ;   in Loop: Header=BB6_1611 Depth=4
	v_cmp_ne_u16_sdwa s[28:29], v8, s91 src0_sel:BYTE_0 src1_sel:DWORD
	v_bfrev_b32_e32 v26, 1
	s_and_saveexec_b64 s[68:69], s[28:29]
	s_cbranch_execz .LBB6_1952
; %bb.1949:                             ;   in Loop: Header=BB6_1611 Depth=4
	v_bfe_u32 v29, v15, 16, 7
	v_cmp_ne_u32_e64 s[28:29], s92, v29
	v_mov_b32_e32 v26, 0x7f800001
	s_and_saveexec_b64 s[70:71], s[28:29]
	s_cbranch_execz .LBB6_1951
; %bb.1950:                             ;   in Loop: Header=BB6_1611 Depth=4
	v_and_b32_e32 v26, 7, v8
	v_lshrrev_b32_e32 v34, 3, v29
	v_cmp_gt_u32_e64 s[28:29], 8, v29
	v_ffbh_u32_e32 v29, v26
	v_min_u32_e32 v29, 32, v29
	v_subrev_u32_e32 v32, 28, v29
	v_lshlrev_b64 v[32:33], v32, v[8:9]
	v_sub_u32_e32 v29, 29, v29
	v_and_b32_e32 v32, 7, v32
	v_cndmask_b32_e64 v29, v34, v29, s[28:29]
	v_cndmask_b32_e64 v26, v26, v32, s[28:29]
	v_lshlrev_b32_e32 v8, 24, v8
	v_lshlrev_b32_e32 v26, 20, v26
	v_and_b32_e32 v8, 0x80000000, v8
	v_lshl_add_u32 v29, v29, 23, v31
	v_or3_b32 v26, v8, v29, v26
.LBB6_1951:                             ;   in Loop: Header=BB6_1611 Depth=4
	s_or_b64 exec, exec, s[70:71]
.LBB6_1952:                             ;   in Loop: Header=BB6_1611 Depth=4
	s_or_b64 exec, exec, s[68:69]
.LBB6_1953:                             ;   in Loop: Header=BB6_1611 Depth=4
	s_or_b64 exec, exec, s[30:31]
	v_lshrrev_b32_e32 v8, 16, v11
	v_cmp_ne_u16_sdwa s[28:29], v8, v27 src0_sel:BYTE_0 src1_sel:DWORD
	s_and_saveexec_b64 s[30:31], s[28:29]
	s_cbranch_execz .LBB6_1959
; %bb.1954:                             ;   in Loop: Header=BB6_1611 Depth=4
	v_cmp_ne_u16_sdwa s[28:29], v8, s91 src0_sel:BYTE_0 src1_sel:DWORD
	v_bfrev_b32_e32 v9, 1
	s_and_saveexec_b64 s[68:69], s[28:29]
	s_cbranch_execz .LBB6_1958
; %bb.1955:                             ;   in Loop: Header=BB6_1611 Depth=4
	v_bfe_u32 v29, v11, 16, 7
	v_cmp_ne_u32_e64 s[28:29], s92, v29
	v_mov_b32_e32 v9, 0x7f800001
	s_and_saveexec_b64 s[70:71], s[28:29]
	s_cbranch_execz .LBB6_1957
; %bb.1956:                             ;   in Loop: Header=BB6_1611 Depth=4
	v_and_b32_e32 v32, 7, v8
	v_ffbh_u32_e32 v9, v32
	v_lshrrev_b32_e32 v33, 3, v29
	v_cmp_gt_u32_e64 s[28:29], 8, v29
	v_min_u32_e32 v29, 32, v9
	v_subrev_u32_e32 v9, 28, v29
	v_lshlrev_b64 v[8:9], v9, v[8:9]
	v_sub_u32_e32 v9, 29, v29
	v_and_b32_e32 v8, 7, v8
	v_cndmask_b32_e64 v9, v33, v9, s[28:29]
	v_cndmask_b32_e64 v8, v32, v8, s[28:29]
	v_lshlrev_b32_e32 v29, 8, v11
	v_lshlrev_b32_e32 v8, 20, v8
	v_and_b32_e32 v29, 0x80000000, v29
	v_lshl_add_u32 v9, v9, 23, v31
	v_or3_b32 v9, v29, v9, v8
.LBB6_1957:                             ;   in Loop: Header=BB6_1611 Depth=4
	s_or_b64 exec, exec, s[70:71]
.LBB6_1958:                             ;   in Loop: Header=BB6_1611 Depth=4
	s_or_b64 exec, exec, s[68:69]
.LBB6_1959:                             ;   in Loop: Header=BB6_1611 Depth=4
	s_or_b64 exec, exec, s[30:31]
	v_add_f32_e32 v8, v26, v9
	v_and_b32_sdwa v54, v8, s91 dst_sel:DWORD dst_unused:UNUSED_PAD src0_sel:BYTE_3 src1_sel:DWORD
	v_and_b32_e32 v32, 0x7f800000, v8
	v_mov_b32_e32 v33, v27
	v_and_b32_e32 v26, 0x7fffff, v8
	v_or_b32_e32 v29, 0x7e, v54
	v_cmp_ne_u64_e64 s[28:29], s[52:53], v[32:33]
	s_and_saveexec_b64 s[30:31], s[28:29]
	s_xor_b64 s[68:69], exec, s[30:31]
	s_cbranch_execz .LBB6_1969
; %bb.1960:                             ;   in Loop: Header=BB6_1611 Depth=4
	v_and_b32_e32 v32, 0x7fffffff, v8
	v_mov_b32_e32 v33, v27
	v_cmp_gt_u64_e64 s[28:29], s[54:55], v[32:33]
	s_and_saveexec_b64 s[70:71], s[28:29]
	s_cbranch_execz .LBB6_1968
; %bb.1961:                             ;   in Loop: Header=BB6_1611 Depth=4
	v_cmp_ne_u32_e64 s[28:29], 0, v8
	v_mov_b32_e32 v29, 0
	s_and_saveexec_b64 s[72:73], s[28:29]
	s_cbranch_execz .LBB6_1967
; %bb.1962:                             ;   in Loop: Header=BB6_1611 Depth=4
	v_bfe_u32 v8, v8, 23, 8
	v_cmp_eq_u32_e64 s[28:29], 0, v8
	v_add_u32_e32 v9, 0xffffff81, v8
	v_cmp_gt_u32_e64 s[30:31], s93, v8
	v_sub_u32_e32 v8, 0x79, v8
	v_mov_b32_e32 v32, 0xffffff82
	v_cndmask_b32_e64 v8, 0, v8, s[30:31]
	v_cndmask_b32_e64 v34, v9, v32, s[28:29]
	v_mov_b32_e32 v9, 0x78
	v_cndmask_b32_e64 v35, v8, v9, s[28:29]
	v_add_u32_e32 v8, 20, v35
	v_or_b32_e32 v29, 0x800000, v26
	v_lshlrev_b64 v[8:9], v8, -1
	v_cndmask_b32_e64 v26, v29, v26, s[28:29]
	v_not_b32_e32 v9, v9
	v_not_b32_e32 v8, v8
	v_add_u32_e32 v29, 19, v35
	v_and_b32_e32 v9, 0, v9
	v_and_b32_e32 v8, v26, v8
	v_lshlrev_b64 v[32:33], v29, 1
	v_cmp_eq_u64_e64 s[28:29], v[8:9], v[32:33]
	v_lshrrev_b64 v[8:9], v35, v[26:27]
	v_lshrrev_b32_e32 v26, 23, v8
	v_add3_u32 v50, v35, v34, v26
	v_bfe_u32 v26, v8, 20, 1
	v_add_u32_e32 v26, -1, v26
	v_cndmask_b32_e64 v26, 0, v26, s[28:29]
	v_add_u32_e32 v26, v26, v8
	v_and_b32_e32 v26, 0xfffff, v26
	v_add_co_u32_e64 v8, s[28:29], v26, v8
	v_add_u32_e32 v29, 6, v50
	v_addc_co_u32_e64 v9, s[28:29], 0, v9, s[28:29]
	v_cmp_ne_u32_e64 s[28:29], 0, v29
                                        ; implicit-def: $vgpr26
	s_and_saveexec_b64 s[30:31], s[28:29]
	s_xor_b64 s[30:31], exec, s[30:31]
; %bb.1963:                             ;   in Loop: Header=BB6_1611 Depth=4
	v_add_u32_e32 v26, 7, v50
	v_cmp_lt_u64_e64 s[28:29], s[56:57], v[8:9]
	v_cndmask_b32_e64 v26, v29, v26, s[28:29]
	v_cndmask_b32_e64 v29, 0, 1, s[28:29]
	v_lshrrev_b64 v[8:9], v29, v[8:9]
; %bb.1964:                             ;   in Loop: Header=BB6_1611 Depth=4
	s_andn2_saveexec_b64 s[28:29], s[30:31]
; %bb.1965:                             ;   in Loop: Header=BB6_1611 Depth=4
	v_bfe_u32 v26, v8, 23, 1
; %bb.1966:                             ;   in Loop: Header=BB6_1611 Depth=4
	s_or_b64 exec, exec, s[28:29]
	v_lshrrev_b64 v[8:9], 20, v[8:9]
	v_cmp_gt_i32_e64 s[28:29], 16, v26
	v_cndmask_b32_e64 v9, 0, v9, s[28:29]
	v_cndmask_b32_e64 v8, 7, v8, s[28:29]
	v_cmp_eq_u64_e64 s[30:31], 0, v[8:9]
	v_min_i32_e32 v9, 15, v26
	v_lshlrev_b32_e32 v9, 3, v9
	v_cmp_eq_u32_e64 s[28:29], 0, v26
	v_and_b32_e32 v9, 0xf8, v9
	v_and_or_b32 v8, v8, 7, v9
	s_and_b64 s[28:29], s[28:29], s[30:31]
	v_cndmask_b32_e64 v8, v8, 0, s[28:29]
	v_or_b32_e32 v29, v8, v54
.LBB6_1967:                             ;   in Loop: Header=BB6_1611 Depth=4
	s_or_b64 exec, exec, s[72:73]
.LBB6_1968:                             ;   in Loop: Header=BB6_1611 Depth=4
	s_or_b64 exec, exec, s[70:71]
                                        ; implicit-def: $vgpr8
.LBB6_1969:                             ;   in Loop: Header=BB6_1611 Depth=4
	s_andn2_saveexec_b64 s[30:31], s[68:69]
; %bb.1970:                             ;   in Loop: Header=BB6_1611 Depth=4
	v_or_b32_sdwa v8, v8, s92 dst_sel:DWORD dst_unused:UNUSED_PAD src0_sel:BYTE_3 src1_sel:DWORD
	v_cmp_eq_u64_e64 s[28:29], 0, v[26:27]
	v_cndmask_b32_e64 v29, v8, v29, s[28:29]
; %bb.1971:                             ;   in Loop: Header=BB6_1611 Depth=4
	s_or_b64 exec, exec, s[30:31]
	v_cmp_lt_u64_e64 s[28:29], s[42:43], v[14:15]
	v_mov_b32_e32 v9, 0
	v_mov_b32_e32 v14, 0
	s_and_saveexec_b64 s[30:31], s[28:29]
	s_cbranch_execz .LBB6_1977
; %bb.1972:                             ;   in Loop: Header=BB6_1611 Depth=4
	v_lshrrev_b32_e32 v8, 24, v15
	v_cmp_ne_u32_e64 s[28:29], s91, v8
	v_bfrev_b32_e32 v14, 1
	s_and_saveexec_b64 s[68:69], s[28:29]
	s_cbranch_execz .LBB6_1976
; %bb.1973:                             ;   in Loop: Header=BB6_1611 Depth=4
	v_bfe_u32 v15, v15, 24, 7
	v_cmp_ne_u32_e64 s[28:29], s92, v15
	v_mov_b32_e32 v14, 0x7f800001
	s_and_saveexec_b64 s[70:71], s[28:29]
	s_cbranch_execz .LBB6_1975
; %bb.1974:                             ;   in Loop: Header=BB6_1611 Depth=4
	v_and_b32_e32 v26, 7, v8
	v_ffbh_u32_e32 v14, v26
	v_min_u32_e32 v33, 32, v14
	v_subrev_u32_e32 v14, 28, v33
	v_lshrrev_b32_e32 v32, 3, v15
	v_cmp_gt_u32_e64 s[28:29], 8, v15
	v_lshlrev_b64 v[14:15], v14, v[8:9]
	v_sub_u32_e32 v15, 29, v33
	v_and_b32_e32 v14, 7, v14
	v_cndmask_b32_e64 v15, v32, v15, s[28:29]
	v_cndmask_b32_e64 v14, v26, v14, s[28:29]
	v_lshlrev_b32_e32 v8, 24, v8
	v_lshlrev_b32_e32 v14, 20, v14
	v_and_b32_e32 v8, 0x80000000, v8
	v_lshl_add_u32 v15, v15, 23, v31
	v_or3_b32 v14, v8, v15, v14
.LBB6_1975:                             ;   in Loop: Header=BB6_1611 Depth=4
	s_or_b64 exec, exec, s[70:71]
.LBB6_1976:                             ;   in Loop: Header=BB6_1611 Depth=4
	s_or_b64 exec, exec, s[68:69]
.LBB6_1977:                             ;   in Loop: Header=BB6_1611 Depth=4
	s_or_b64 exec, exec, s[30:31]
	v_cmp_lt_u64_e64 s[28:29], s[42:43], v[10:11]
	s_and_saveexec_b64 s[30:31], s[28:29]
	s_cbranch_execz .LBB6_1983
; %bb.1978:                             ;   in Loop: Header=BB6_1611 Depth=4
	v_lshrrev_b32_e32 v8, 24, v11
	v_cmp_ne_u32_e64 s[28:29], s91, v8
	v_bfrev_b32_e32 v9, 1
	s_and_saveexec_b64 s[68:69], s[28:29]
	s_cbranch_execz .LBB6_1982
; %bb.1979:                             ;   in Loop: Header=BB6_1611 Depth=4
	v_bfe_u32 v10, v11, 24, 7
	v_cmp_ne_u32_e64 s[28:29], s92, v10
	v_mov_b32_e32 v9, 0x7f800001
	s_and_saveexec_b64 s[70:71], s[28:29]
	s_cbranch_execz .LBB6_1981
; %bb.1980:                             ;   in Loop: Header=BB6_1611 Depth=4
	v_and_b32_e32 v9, 7, v8
	v_lshrrev_b32_e32 v15, 3, v10
	v_cmp_gt_u32_e64 s[28:29], 8, v10
	v_ffbh_u32_e32 v10, v9
	v_min_u32_e32 v26, 32, v10
	v_subrev_u32_e32 v10, 28, v26
	v_lshlrev_b64 v[10:11], v10, v[8:9]
	v_sub_u32_e32 v11, 29, v26
	v_and_b32_e32 v10, 7, v10
	v_cndmask_b32_e64 v11, v15, v11, s[28:29]
	v_cndmask_b32_e64 v9, v9, v10, s[28:29]
	v_lshlrev_b32_e32 v8, 24, v8
	v_lshlrev_b32_e32 v9, 20, v9
	v_and_b32_e32 v8, 0x80000000, v8
	v_lshl_add_u32 v10, v11, 23, v31
	v_or3_b32 v9, v8, v10, v9
.LBB6_1981:                             ;   in Loop: Header=BB6_1611 Depth=4
	s_or_b64 exec, exec, s[70:71]
.LBB6_1982:                             ;   in Loop: Header=BB6_1611 Depth=4
	s_or_b64 exec, exec, s[68:69]
.LBB6_1983:                             ;   in Loop: Header=BB6_1611 Depth=4
	s_or_b64 exec, exec, s[30:31]
	v_add_f32_e32 v9, v14, v9
	v_and_b32_sdwa v10, v9, s91 dst_sel:DWORD dst_unused:UNUSED_PAD src0_sel:BYTE_3 src1_sel:DWORD
	v_and_b32_e32 v14, 0x7f800000, v9
	v_mov_b32_e32 v15, v27
	v_and_b32_e32 v26, 0x7fffff, v9
	v_or_b32_e32 v8, 0x7e, v10
	v_cmp_ne_u64_e64 s[28:29], s[52:53], v[14:15]
	s_and_saveexec_b64 s[30:31], s[28:29]
	s_xor_b64 s[68:69], exec, s[30:31]
	s_cbranch_execz .LBB6_1993
; %bb.1984:                             ;   in Loop: Header=BB6_1611 Depth=4
	v_and_b32_e32 v14, 0x7fffffff, v9
	v_mov_b32_e32 v15, v27
	v_cmp_gt_u64_e64 s[28:29], s[54:55], v[14:15]
	s_and_saveexec_b64 s[70:71], s[28:29]
	s_cbranch_execz .LBB6_1992
; %bb.1985:                             ;   in Loop: Header=BB6_1611 Depth=4
	v_cmp_ne_u32_e64 s[28:29], 0, v9
	v_mov_b32_e32 v8, 0
	s_and_saveexec_b64 s[72:73], s[28:29]
	s_cbranch_execz .LBB6_1991
; %bb.1986:                             ;   in Loop: Header=BB6_1611 Depth=4
	v_bfe_u32 v8, v9, 23, 8
	v_cmp_eq_u32_e64 s[28:29], 0, v8
	v_add_u32_e32 v9, 0xffffff81, v8
	v_cmp_gt_u32_e64 s[30:31], s93, v8
	v_sub_u32_e32 v8, 0x79, v8
	v_mov_b32_e32 v14, 0xffffff82
	v_cndmask_b32_e64 v8, 0, v8, s[30:31]
	v_cndmask_b32_e64 v32, v9, v14, s[28:29]
	v_mov_b32_e32 v9, 0x78
	v_cndmask_b32_e64 v33, v8, v9, s[28:29]
	v_add_u32_e32 v8, 20, v33
	v_or_b32_e32 v11, 0x800000, v26
	v_lshlrev_b64 v[8:9], v8, -1
	v_cndmask_b32_e64 v26, v11, v26, s[28:29]
	v_not_b32_e32 v9, v9
	v_not_b32_e32 v8, v8
	v_add_u32_e32 v11, 19, v33
	v_and_b32_e32 v9, 0, v9
	v_and_b32_e32 v8, v26, v8
	v_lshlrev_b64 v[14:15], v11, 1
	v_cmp_eq_u64_e64 s[28:29], v[8:9], v[14:15]
	v_lshrrev_b64 v[8:9], v33, v[26:27]
	v_lshrrev_b32_e32 v11, 23, v8
	v_add3_u32 v15, v33, v32, v11
	v_bfe_u32 v11, v8, 20, 1
	v_add_u32_e32 v11, -1, v11
	v_cndmask_b32_e64 v11, 0, v11, s[28:29]
	v_add_u32_e32 v11, v11, v8
	v_and_b32_e32 v11, 0xfffff, v11
	v_add_co_u32_e64 v8, s[28:29], v11, v8
	v_add_u32_e32 v14, 6, v15
	v_addc_co_u32_e64 v9, s[28:29], 0, v9, s[28:29]
	v_cmp_ne_u32_e64 s[28:29], 0, v14
                                        ; implicit-def: $vgpr11
	s_and_saveexec_b64 s[30:31], s[28:29]
	s_xor_b64 s[30:31], exec, s[30:31]
; %bb.1987:                             ;   in Loop: Header=BB6_1611 Depth=4
	v_add_u32_e32 v11, 7, v15
	v_cmp_lt_u64_e64 s[28:29], s[56:57], v[8:9]
	v_cndmask_b32_e64 v11, v14, v11, s[28:29]
	v_cndmask_b32_e64 v14, 0, 1, s[28:29]
	v_lshrrev_b64 v[8:9], v14, v[8:9]
; %bb.1988:                             ;   in Loop: Header=BB6_1611 Depth=4
	s_andn2_saveexec_b64 s[28:29], s[30:31]
; %bb.1989:                             ;   in Loop: Header=BB6_1611 Depth=4
	v_bfe_u32 v11, v8, 23, 1
; %bb.1990:                             ;   in Loop: Header=BB6_1611 Depth=4
	s_or_b64 exec, exec, s[28:29]
	v_lshrrev_b64 v[8:9], 20, v[8:9]
	v_cmp_gt_i32_e64 s[28:29], 16, v11
	v_cndmask_b32_e64 v9, 0, v9, s[28:29]
	v_cndmask_b32_e64 v8, 7, v8, s[28:29]
	v_cmp_eq_u64_e64 s[30:31], 0, v[8:9]
	v_min_i32_e32 v9, 15, v11
	v_lshlrev_b32_e32 v9, 3, v9
	v_cmp_eq_u32_e64 s[28:29], 0, v11
	v_and_b32_e32 v9, 0xf8, v9
	v_and_or_b32 v8, v8, 7, v9
	s_and_b64 s[28:29], s[28:29], s[30:31]
	v_cndmask_b32_e64 v8, v8, 0, s[28:29]
	v_or_b32_e32 v8, v8, v10
.LBB6_1991:                             ;   in Loop: Header=BB6_1611 Depth=4
	s_or_b64 exec, exec, s[72:73]
.LBB6_1992:                             ;   in Loop: Header=BB6_1611 Depth=4
	s_or_b64 exec, exec, s[70:71]
                                        ; implicit-def: $vgpr9
.LBB6_1993:                             ;   in Loop: Header=BB6_1611 Depth=4
	s_andn2_saveexec_b64 s[30:31], s[68:69]
	s_cbranch_execz .LBB6_1610
; %bb.1994:                             ;   in Loop: Header=BB6_1611 Depth=4
	v_or_b32_sdwa v9, v9, s92 dst_sel:DWORD dst_unused:UNUSED_PAD src0_sel:BYTE_3 src1_sel:DWORD
	v_cmp_eq_u64_e64 s[28:29], 0, v[26:27]
	v_cndmask_b32_e64 v8, v9, v8, s[28:29]
	s_branch .LBB6_1610
.LBB6_1995:                             ;   in Loop: Header=BB6_274 Depth=3
	s_or_b64 exec, exec, s[66:67]
.LBB6_1996:                             ;   in Loop: Header=BB6_274 Depth=3
	s_or_b64 exec, exec, s[64:65]
	v_and_b32_e32 v3, 15, v44
	v_cndmask_b32_e32 v7, v30, v3, vcc
	v_cmp_ne_u32_e64 s[28:29], 0, v7
	s_mov_b64 s[30:31], 0
	v_mov_b32_e32 v6, 0
                                        ; implicit-def: $vgpr14
                                        ; implicit-def: $vgpr1
	s_and_saveexec_b64 s[64:65], s[28:29]
	s_cbranch_execz .LBB6_1998
; %bb.1997:                             ;   in Loop: Header=BB6_274 Depth=3
	v_sub_u32_e32 v1, v30, v3
	v_cndmask_b32_e32 v1, 0, v1, vcc
	v_cmp_lt_i32_e32 vcc, 0, v28
	v_accvgpr_read_b32 v0, a26
	v_add3_u32 v6, v25, v23, v1
	v_cndmask_b32_e32 v1, 0, v0, vcc
	v_sub_u32_e32 v1, v1, v28
	v_lshl_add_u32 v14, v1, 6, v24
	v_ashrrev_i32_e32 v1, 31, v14
	v_lshrrev_b32_e32 v1, 26, v1
	v_add_u32_e32 v1, v14, v1
	s_mov_b64 s[30:31], exec
	v_ashrrev_i32_e32 v1, 6, v1
.LBB6_1998:                             ;   in Loop: Header=BB6_274 Depth=3
	s_or_b64 exec, exec, s[64:65]
	s_and_b64 s[28:29], s[30:31], exec
.LBB6_1999:                             ;   in Loop: Header=BB6_274 Depth=3
	s_or_b64 exec, exec, s[62:63]
	s_and_saveexec_b64 s[30:31], s[28:29]
	s_cbranch_execnz .LBB6_345
.LBB6_2000:                             ;   in Loop: Header=BB6_274 Depth=3
	s_or_b64 exec, exec, s[30:31]
	s_and_saveexec_b64 s[28:29], s[10:11]
	s_cbranch_execz .LBB6_797
.LBB6_2001:                             ;   in Loop: Header=BB6_274 Depth=3
	s_and_saveexec_b64 vcc, s[44:45]
	s_xor_b64 s[30:31], exec, vcc
	s_cbranch_execz .LBB6_2016
; %bb.2002:                             ;   in Loop: Header=BB6_274 Depth=3
	s_and_saveexec_b64 s[62:63], s[16:17]
	s_cbranch_execz .LBB6_2015
; %bb.2003:                             ;   in Loop: Header=BB6_274 Depth=3
	s_mov_b64 s[66:67], exec
	v_mbcnt_lo_u32_b32 v1, s66, 0
	v_mbcnt_hi_u32_b32 v1, s67, v1
	v_cmp_eq_u32_e32 vcc, 0, v1
	s_waitcnt vmcnt(0) lgkmcnt(0)
	buffer_wbinvl1_vol
	s_and_saveexec_b64 s[64:65], vcc
	s_cbranch_execz .LBB6_2005
; %bb.2004:                             ;   in Loop: Header=BB6_274 Depth=3
	s_bcnt1_i32_b64 vcc_lo, s[66:67]
	v_mov_b32_e32 v26, vcc_lo
	ds_add_u64 v0, v[26:27]
	s_trap 2
.LBB6_2005:                             ;   in Loop: Header=BB6_274 Depth=3
	s_or_b64 exec, exec, s[64:65]
	s_trap 2
	ds_read_b64 v[4:5], v0
	v_accvgpr_read_b32 v6, a16
	v_accvgpr_read_b32 v0, a26
	;; [unrolled: 1-line block ×3, first 2 shown]
	v_add_co_u32_e32 v6, vcc, v6, v0
	v_addc_co_u32_e32 v7, vcc, 0, v7, vcc
	v_accvgpr_write_b32 a17, v7
	v_accvgpr_write_b32 a16, v6
	s_waitcnt lgkmcnt(0)
	v_cmp_lt_u64_e32 vcc, v[4:5], v[6:7]
	s_and_saveexec_b64 s[64:65], vcc
	s_cbranch_execz .LBB6_2014
; %bb.2006:                             ;   in Loop: Header=BB6_274 Depth=3
	s_mov_b32 s86, 0
	s_mov_b64 s[66:67], 0
                                        ; implicit-def: $sgpr68_sgpr69
                                        ; implicit-def: $sgpr70_sgpr71
	s_branch .LBB6_2008
.LBB6_2007:                             ;   in Loop: Header=BB6_2008 Depth=4
	s_or_b64 exec, exec, s[74:75]
	s_and_b64 vcc, exec, vcc
	s_or_b64 s[66:67], vcc, s[66:67]
	s_andn2_b64 vcc, s[68:69], exec
	s_and_b64 s[68:69], s[70:71], exec
	s_or_b64 s[68:69], vcc, s[68:69]
	s_andn2_b64 exec, exec, s[66:67]
	s_cbranch_execz .LBB6_2012
.LBB6_2008:                             ;   Parent Loop BB6_47 Depth=1
                                        ;     Parent Loop BB6_271 Depth=2
                                        ;       Parent Loop BB6_274 Depth=3
                                        ; =>      This Inner Loop Header: Depth=4
	s_add_i32 s86, s86, 1
	s_cmpk_lg_i32 s86, 0x2710
	s_cselect_b64 s[72:73], -1, 0
	s_and_b64 vcc, exec, s[72:73]
                                        ; implicit-def: $sgpr74_sgpr75
	s_cbranch_vccnz .LBB6_2010
; %bb.2009:                             ;   in Loop: Header=BB6_2008 Depth=4
	s_trap 2
	ds_read_b64 v[4:5], v0
	s_andn2_b64 s[72:73], s[72:73], exec
	s_mov_b32 s86, 0
	s_mov_b64 s[74:75], -1
	s_waitcnt lgkmcnt(0)
	flat_load_dword v1, v[4:5] glc
	s_waitcnt vmcnt(0) lgkmcnt(0)
	buffer_invl2
	buffer_wbinvl1_vol
	v_cmp_eq_u32_e32 vcc, 0, v1
	s_and_b64 vcc, vcc, exec
	s_or_b64 s[72:73], s[72:73], vcc
.LBB6_2010:                             ;   in Loop: Header=BB6_2008 Depth=4
	s_andn2_b64 s[70:71], s[70:71], exec
	s_and_b64 s[74:75], s[74:75], exec
	s_mov_b64 vcc, -1
	s_or_b64 s[70:71], s[70:71], s[74:75]
	s_and_saveexec_b64 s[74:75], s[72:73]
	s_cbranch_execz .LBB6_2007
; %bb.2011:                             ;   in Loop: Header=BB6_2008 Depth=4
	s_sleep 1
	s_trap 2
	ds_read_b64 v[4:5], v0
	v_accvgpr_read_b32 v6, a16
	v_accvgpr_read_b32 v7, a17
	s_andn2_b64 s[70:71], s[70:71], exec
	s_waitcnt lgkmcnt(0)
	v_cmp_ge_u64_e32 vcc, v[4:5], v[6:7]
	s_orn2_b64 vcc, vcc, exec
	s_branch .LBB6_2007
.LBB6_2012:                             ;   in Loop: Header=BB6_274 Depth=3
	s_or_b64 exec, exec, s[66:67]
	s_and_saveexec_b64 vcc, s[68:69]
	s_xor_b64 vcc, exec, vcc
	s_cbranch_execz .LBB6_2014
; %bb.2013:                             ;   in Loop: Header=BB6_274 Depth=3
	v_mov_b32_e32 v0, 1
	ds_write_b32 v0, v0
	s_trap 2
.LBB6_2014:                             ;   in Loop: Header=BB6_274 Depth=3
	s_or_b64 exec, exec, s[64:65]
	;;#ASMSTART
	s_wakeup
	;;#ASMEND
.LBB6_2015:                             ;   in Loop: Header=BB6_274 Depth=3
	s_or_b64 exec, exec, s[62:63]
.LBB6_2016:                             ;   in Loop: Header=BB6_274 Depth=3
	s_andn2_saveexec_b64 vcc, s[30:31]
	s_cbranch_execz .LBB6_2018
; %bb.2017:                             ;   in Loop: Header=BB6_274 Depth=3
	s_waitcnt vmcnt(0) lgkmcnt(0)
	buffer_wbinvl1_vol
	s_barrier
.LBB6_2018:                             ;   in Loop: Header=BB6_274 Depth=3
	s_or_b64 exec, exec, vcc
	s_or_b64 exec, exec, s[28:29]
                                        ; implicit-def: $vgpr1
	s_and_saveexec_b64 s[28:29], s[24:25]
	s_xor_b64 s[30:31], exec, s[28:29]
	s_cbranch_execnz .LBB6_798
.LBB6_2019:                             ;   in Loop: Header=BB6_274 Depth=3
	s_andn2_saveexec_b64 s[28:29], s[30:31]
	s_cbranch_execz .LBB6_2038
.LBB6_2020:                             ;   in Loop: Header=BB6_274 Depth=3
	s_and_saveexec_b64 vcc, s[44:45]
	s_xor_b64 s[30:31], exec, vcc
	s_cbranch_execz .LBB6_2035
; %bb.2021:                             ;   in Loop: Header=BB6_274 Depth=3
	s_and_saveexec_b64 s[62:63], s[16:17]
	s_cbranch_execz .LBB6_2034
; %bb.2022:                             ;   in Loop: Header=BB6_274 Depth=3
	s_mov_b64 s[66:67], exec
	v_mbcnt_lo_u32_b32 v1, s66, 0
	v_mbcnt_hi_u32_b32 v1, s67, v1
	v_cmp_eq_u32_e32 vcc, 0, v1
	;;#ASMSTART
	s_waitcnt lgkmcnt(0) vmcnt(0)
	;;#ASMEND
	s_and_saveexec_b64 s[64:65], vcc
	s_cbranch_execz .LBB6_2024
; %bb.2023:                             ;   in Loop: Header=BB6_274 Depth=3
	s_bcnt1_i32_b64 vcc_lo, s[66:67]
	v_mov_b32_e32 v26, vcc_lo
	ds_add_u64 v0, v[26:27]
	s_trap 2
.LBB6_2024:                             ;   in Loop: Header=BB6_274 Depth=3
	s_or_b64 exec, exec, s[64:65]
	s_trap 2
	ds_read_b64 v[4:5], v0
	v_accvgpr_read_b32 v6, a16
	v_accvgpr_read_b32 v0, a26
	;; [unrolled: 1-line block ×3, first 2 shown]
	v_add_co_u32_e32 v6, vcc, v6, v0
	v_addc_co_u32_e32 v7, vcc, 0, v7, vcc
	v_accvgpr_write_b32 a17, v7
	v_accvgpr_write_b32 a16, v6
	s_waitcnt lgkmcnt(0)
	v_cmp_lt_u64_e32 vcc, v[4:5], v[6:7]
	s_and_saveexec_b64 s[64:65], vcc
	s_cbranch_execz .LBB6_2033
; %bb.2025:                             ;   in Loop: Header=BB6_274 Depth=3
	s_mov_b32 s86, 0
	s_mov_b64 s[66:67], 0
                                        ; implicit-def: $sgpr68_sgpr69
                                        ; implicit-def: $sgpr70_sgpr71
	s_branch .LBB6_2027
.LBB6_2026:                             ;   in Loop: Header=BB6_2027 Depth=4
	s_or_b64 exec, exec, s[74:75]
	s_and_b64 vcc, exec, vcc
	s_or_b64 s[66:67], vcc, s[66:67]
	s_andn2_b64 vcc, s[68:69], exec
	s_and_b64 s[68:69], s[70:71], exec
	s_or_b64 s[68:69], vcc, s[68:69]
	s_andn2_b64 exec, exec, s[66:67]
	s_cbranch_execz .LBB6_2031
.LBB6_2027:                             ;   Parent Loop BB6_47 Depth=1
                                        ;     Parent Loop BB6_271 Depth=2
                                        ;       Parent Loop BB6_274 Depth=3
                                        ; =>      This Inner Loop Header: Depth=4
	s_add_i32 s86, s86, 1
	s_cmpk_lg_i32 s86, 0x2710
	s_cselect_b64 s[72:73], -1, 0
	s_and_b64 vcc, exec, s[72:73]
                                        ; implicit-def: $sgpr74_sgpr75
	s_cbranch_vccnz .LBB6_2029
; %bb.2028:                             ;   in Loop: Header=BB6_2027 Depth=4
	s_trap 2
	ds_read_b64 v[4:5], v0
	s_andn2_b64 s[72:73], s[72:73], exec
	s_mov_b32 s86, 0
	s_mov_b64 s[74:75], -1
	s_waitcnt vmcnt(0) lgkmcnt(0)
	flat_load_dword v1, v[4:5] glc
	s_waitcnt vmcnt(0) lgkmcnt(0)
	buffer_invl2
	buffer_wbinvl1_vol
	v_cmp_eq_u32_e32 vcc, 0, v1
	s_and_b64 vcc, vcc, exec
	s_or_b64 s[72:73], s[72:73], vcc
.LBB6_2029:                             ;   in Loop: Header=BB6_2027 Depth=4
	s_andn2_b64 s[70:71], s[70:71], exec
	s_and_b64 s[74:75], s[74:75], exec
	s_mov_b64 vcc, -1
	s_or_b64 s[70:71], s[70:71], s[74:75]
	s_and_saveexec_b64 s[74:75], s[72:73]
	s_cbranch_execz .LBB6_2026
; %bb.2030:                             ;   in Loop: Header=BB6_2027 Depth=4
	s_sleep 1
	s_trap 2
	ds_read_b64 v[4:5], v0
	v_accvgpr_read_b32 v6, a16
	v_accvgpr_read_b32 v7, a17
	s_andn2_b64 s[70:71], s[70:71], exec
	s_waitcnt lgkmcnt(0)
	v_cmp_ge_u64_e32 vcc, v[4:5], v[6:7]
	s_orn2_b64 vcc, vcc, exec
	s_branch .LBB6_2026
.LBB6_2031:                             ;   in Loop: Header=BB6_274 Depth=3
	s_or_b64 exec, exec, s[66:67]
	s_and_saveexec_b64 vcc, s[68:69]
	s_xor_b64 vcc, exec, vcc
	s_cbranch_execz .LBB6_2033
; %bb.2032:                             ;   in Loop: Header=BB6_274 Depth=3
	v_mov_b32_e32 v0, 1
	ds_write_b32 v0, v0
	s_trap 2
.LBB6_2033:                             ;   in Loop: Header=BB6_274 Depth=3
	s_or_b64 exec, exec, s[64:65]
	;;#ASMSTART
	s_wakeup
	;;#ASMEND
.LBB6_2034:                             ;   in Loop: Header=BB6_274 Depth=3
	s_or_b64 exec, exec, s[62:63]
.LBB6_2035:                             ;   in Loop: Header=BB6_274 Depth=3
	s_andn2_saveexec_b64 vcc, s[30:31]
	s_cbranch_execz .LBB6_2037
; %bb.2036:                             ;   in Loop: Header=BB6_274 Depth=3
	;;#ASMSTART
	s_waitcnt lgkmcnt(0) vmcnt(0)
	;;#ASMEND
	s_barrier
.LBB6_2037:                             ;   in Loop: Header=BB6_274 Depth=3
	s_or_b64 exec, exec, vcc
	v_and_b32_e32 v1, 16, v60
.LBB6_2038:                             ;   in Loop: Header=BB6_274 Depth=3
	s_or_b64 exec, exec, s[28:29]
	v_cmp_ne_u32_e32 vcc, 0, v1
	s_xor_b64 s[28:29], s[12:13], -1
	s_and_b64 vcc, vcc, s[28:29]
	s_and_saveexec_b64 s[28:29], vcc
	s_cbranch_execz .LBB6_2040
; %bb.2039:                             ;   in Loop: Header=BB6_274 Depth=3
	v_accvgpr_read_b32 v4, a24
	v_accvgpr_read_b32 v5, a25
	v_mov_b32_e32 v0, 1
	flat_store_dword v[4:5], v0
.LBB6_2040:                             ;   in Loop: Header=BB6_274 Depth=3
	s_or_b64 exec, exec, s[28:29]
	v_and_b32_e32 v1, 48, v60
	v_cmp_ne_u32_e32 vcc, 0, v1
	s_and_saveexec_b64 s[28:29], vcc
	s_cbranch_execz .LBB6_273
; %bb.2041:                             ;   in Loop: Header=BB6_274 Depth=3
	v_accvgpr_read_b32 v4, a12
	v_accvgpr_read_b32 v5, a13
	v_add_co_u32_e32 v4, vcc, 2, v4
	v_addc_co_u32_e32 v5, vcc, 0, v5, vcc
	v_accvgpr_write_b32 a13, v5
	v_accvgpr_read_b32 v6, a18
	v_accvgpr_write_b32 a12, v4
	v_accvgpr_read_b32 v7, a19
	flat_store_dwordx2 v[6:7], v[4:5]
	s_branch .LBB6_273
.LBB6_2042:                             ;   in Loop: Header=BB6_271 Depth=2
	s_or_b64 exec, exec, s[34:35]
	v_cmp_gt_i32_e32 vcc, 2, v1
	s_and_saveexec_b64 s[30:31], vcc
	s_cbranch_execz .LBB6_270
	s_branch .LBB6_2044
.LBB6_2043:                             ;   in Loop: Header=BB6_271 Depth=2
	s_or_b64 exec, exec, s[58:59]
	s_or_b64 exec, exec, s[34:35]
	v_cmp_gt_i32_e32 vcc, 2, v1
	s_and_saveexec_b64 s[30:31], vcc
	s_cbranch_execz .LBB6_270
.LBB6_2044:                             ;   in Loop: Header=BB6_271 Depth=2
	v_cmp_eq_u32_e64 s[28:29], 0, v1
	s_mov_b64 s[34:35], 0
	s_branch .LBB6_2046
.LBB6_2045:                             ;   in Loop: Header=BB6_2046 Depth=3
	s_or_b64 exec, exec, s[28:29]
	v_add_u32_e32 v47, v2, v47
	s_mov_b64 s[28:29], 0
	s_andn2_b64 exec, exec, s[34:35]
	s_cbranch_execz .LBB6_269
.LBB6_2046:                             ;   Parent Loop BB6_47 Depth=1
                                        ;     Parent Loop BB6_271 Depth=2
                                        ; =>    This Loop Header: Depth=3
                                        ;         Child Loop BB6_2052 Depth 4
                                        ;         Child Loop BB6_2090 Depth 4
	;; [unrolled: 1-line block ×3, first 2 shown]
	v_and_b32_e32 v1, 12, v60
	s_mov_b64 s[60:61], -1
	v_cmp_ne_u32_e32 vcc, 0, v1
	s_and_saveexec_b64 s[58:59], vcc
	s_cbranch_execz .LBB6_2058
; %bb.2047:                             ;   in Loop: Header=BB6_2046 Depth=3
	v_and_b32_e32 v4, 8, v60
	v_add_co_u32_e32 v6, vcc, v48, v4
	v_addc_co_u32_e32 v7, vcc, 0, v49, vcc
	v_accvgpr_read_b32 v8, a12
	v_accvgpr_read_b32 v9, a13
	v_add_co_u32_e32 v8, vcc, 2, v8
	v_addc_co_u32_e32 v9, vcc, 0, v9, vcc
	v_cmp_lt_u64_e32 vcc, v[6:7], v[8:9]
	v_mov_b32_e32 v1, 1
	s_and_saveexec_b64 s[60:61], vcc
	s_cbranch_execz .LBB6_2057
; %bb.2048:                             ;   in Loop: Header=BB6_2046 Depth=3
	s_mov_b64 s[62:63], 0
	v_mov_b32_e32 v1, 0
                                        ; implicit-def: $sgpr64_sgpr65
	s_branch .LBB6_2052
.LBB6_2049:                             ;   in Loop: Header=BB6_2052 Depth=4
	s_or_b64 exec, exec, s[72:73]
	v_mov_b32_e32 v3, 0
	s_orn2_b64 s[70:71], s[70:71], exec
.LBB6_2050:                             ;   in Loop: Header=BB6_2052 Depth=4
	s_or_b64 exec, exec, s[68:69]
	s_andn2_b64 vcc, s[64:65], exec
	s_and_b64 s[64:65], s[70:71], exec
	s_or_b64 s[64:65], vcc, s[64:65]
	v_mov_b32_e32 v1, v3
.LBB6_2051:                             ;   in Loop: Header=BB6_2052 Depth=4
	s_or_b64 exec, exec, s[66:67]
	s_waitcnt vmcnt(0) lgkmcnt(0)
	v_add_co_u32_e32 v6, vcc, v48, v4
	v_addc_co_u32_e32 v7, vcc, 0, v49, vcc
	v_cmp_ge_u64_e32 vcc, v[6:7], v[8:9]
	s_xor_b64 s[66:67], s[64:65], -1
	s_or_b64 vcc, s[66:67], vcc
	s_and_b64 vcc, exec, vcc
	s_or_b64 s[62:63], vcc, s[62:63]
	s_andn2_b64 exec, exec, s[62:63]
	s_cbranch_execz .LBB6_2056
.LBB6_2052:                             ;   Parent Loop BB6_47 Depth=1
                                        ;     Parent Loop BB6_271 Depth=2
                                        ;       Parent Loop BB6_2046 Depth=3
                                        ; =>      This Inner Loop Header: Depth=4
	v_accvgpr_read_b32 v6, a18
	v_accvgpr_read_b32 v7, a19
	s_sleep 1
	flat_load_dwordx2 v[48:49], v[6:7] glc
	v_and_b32_e32 v3, 64, v60
	v_cmp_eq_u32_e32 vcc, 0, v3
	s_andn2_b64 s[64:65], s[64:65], exec
	s_and_saveexec_b64 s[66:67], vcc
	s_cbranch_execz .LBB6_2051
; %bb.2053:                             ;   in Loop: Header=BB6_2052 Depth=4
	v_add_u32_e32 v3, 1, v1
	v_cmp_lt_i32_e32 vcc, s89, v1
	s_mov_b64 s[70:71], -1
	s_and_saveexec_b64 s[68:69], vcc
	s_cbranch_execz .LBB6_2050
; %bb.2054:                             ;   in Loop: Header=BB6_2052 Depth=4
	s_trap 2
	ds_read_b64 v[6:7], v0
	s_waitcnt vmcnt(0) lgkmcnt(0)
	flat_load_dword v1, v[6:7] glc
	s_waitcnt vmcnt(0) lgkmcnt(0)
	buffer_invl2
	buffer_wbinvl1_vol
	v_cmp_ne_u32_e32 vcc, 0, v1
	s_and_saveexec_b64 s[72:73], vcc
	s_cbranch_execz .LBB6_2049
; %bb.2055:                             ;   in Loop: Header=BB6_2052 Depth=4
	v_or_b32_e32 v60, 64, v60
	s_xor_b64 s[70:71], exec, -1
	ds_write_b32 v0, v1
	s_trap 2
	s_branch .LBB6_2049
.LBB6_2056:                             ;   in Loop: Header=BB6_2046 Depth=3
	s_or_b64 exec, exec, s[62:63]
	v_and_b32_e32 v1, 12, v60
.LBB6_2057:                             ;   in Loop: Header=BB6_2046 Depth=3
	s_or_b64 exec, exec, s[60:61]
	v_cmp_eq_u32_e32 vcc, 0, v1
	s_orn2_b64 s[60:61], vcc, exec
	;;#ASMSTART
	s_wakeup
	;;#ASMEND
.LBB6_2058:                             ;   in Loop: Header=BB6_2046 Depth=3
	s_or_b64 exec, exec, s[58:59]
	s_xor_b64 s[28:29], s[28:29], -1
	s_and_b64 s[28:29], exec, s[28:29]
	s_or_b64 s[34:35], s[28:29], s[34:35]
	v_sub_u32_e32 v1, v40, v47
	s_xor_b64 s[28:29], s[60:61], -1
	v_min_i32_e32 v2, v2, v1
	s_and_saveexec_b64 s[58:59], s[28:29]
	s_cbranch_execz .LBB6_2082
; %bb.2059:                             ;   in Loop: Header=BB6_2046 Depth=3
	v_and_b32_e32 v1, 0x108, v60
	v_accvgpr_read_b32 v4, a12
	v_cmp_ne_u32_e32 vcc, s90, v1
	v_and_b32_e32 v4, 7, v4
	v_accvgpr_read_b32 v5, a13
	s_and_saveexec_b64 s[28:29], vcc
	s_xor_b64 s[28:29], exec, s[28:29]
	s_andn2_saveexec_b64 s[28:29], s[28:29]
	s_cbranch_execz .LBB6_2061
; %bb.2060:                             ;   in Loop: Header=BB6_2046 Depth=3
	v_accvgpr_read_b32 v6, a14
	v_accvgpr_read_b32 v7, a15
	v_mad_u64_u32 v[6:7], vcc, v4, 24, v[6:7]
	v_ashrrev_i32_e32 v3, 31, v2
	flat_store_dwordx2 v[6:7], v[2:3] offset:8
.LBB6_2061:                             ;   in Loop: Header=BB6_2046 Depth=3
	s_or_b64 exec, exec, s[28:29]
	v_and_b32_e32 v1, 0x100, v60
	v_cmp_ne_u32_e32 vcc, 0, v1
	s_mov_b64 s[28:29], -1
                                        ; implicit-def: $vgpr8_vgpr9
	s_and_saveexec_b64 s[60:61], vcc
	s_cbranch_execz .LBB6_2065
; %bb.2062:                             ;   in Loop: Header=BB6_2046 Depth=3
	v_accvgpr_read_b32 v6, a14
	v_accvgpr_read_b32 v7, a15
	v_mad_u64_u32 v[10:11], s[28:29], v4, 24, v[6:7]
	v_mov_b32_e32 v6, v11
	v_mad_u64_u32 v[6:7], s[28:29], v27, 24, v[6:7]
	v_mov_b32_e32 v11, v6
	flat_load_dword v1, v[10:11]
                                        ; implicit-def: $vgpr8_vgpr9
	s_waitcnt vmcnt(0) lgkmcnt(0)
	v_cmp_ne_u32_e32 vcc, 1, v1
	v_cmp_eq_u32_e64 s[28:29], 1, v1
	s_and_saveexec_b64 s[62:63], s[28:29]
	s_cbranch_execz .LBB6_2064
; %bb.2063:                             ;   in Loop: Header=BB6_2046 Depth=3
	flat_load_dword v8, v[10:11] offset:4 glc
	s_waitcnt vmcnt(0) lgkmcnt(0)
	v_ashrrev_i32_e32 v9, 31, v8
.LBB6_2064:                             ;   in Loop: Header=BB6_2046 Depth=3
	s_or_b64 exec, exec, s[62:63]
	s_orn2_b64 s[28:29], vcc, exec
.LBB6_2065:                             ;   in Loop: Header=BB6_2046 Depth=3
	s_or_b64 exec, exec, s[60:61]
	s_and_saveexec_b64 vcc, s[28:29]
; %bb.2066:                             ;   in Loop: Header=BB6_2046 Depth=3
	v_accvgpr_read_b32 v6, a20
	v_accvgpr_read_b32 v3, a21
	v_mul_lo_u32 v1, v27, v6
	v_mul_lo_u32 v3, v4, v3
	v_mad_u64_u32 v[8:9], s[28:29], v4, v6, 0
	v_add3_u32 v9, v9, v3, v1
; %bb.2067:                             ;   in Loop: Header=BB6_2046 Depth=3
	s_or_b64 exec, exec, vcc
	v_accvgpr_read_b32 v4, a22
	v_accvgpr_read_b32 v5, a23
	v_add_co_u32_e32 v4, vcc, v4, v8
	v_addc_co_u32_e32 v5, vcc, v5, v9, vcc
	v_and_b32_e32 v1, 0x2000, v60
	v_cmp_ne_u32_e32 vcc, 0, v1
	s_trap 2
	ds_write_b64 v0, v[4:5]
	s_and_saveexec_b64 s[28:29], vcc
	s_cbranch_execz .LBB6_2069
; %bb.2068:                             ;   in Loop: Header=BB6_2046 Depth=3
	ds_read_b64 v[4:5], v0 offset:584
	s_waitcnt lgkmcnt(0)
	v_add_co_u32_e32 v4, vcc, 1, v4
	v_addc_co_u32_e32 v5, vcc, 0, v5, vcc
	ds_write_b64 v0, v[4:5] offset:584
.LBB6_2069:                             ;   in Loop: Header=BB6_2046 Depth=3
	s_or_b64 exec, exec, s[28:29]
	v_accvgpr_read_b32 v4, a12
	v_accvgpr_read_b32 v5, a13
	v_add_co_u32_e32 v4, vcc, 2, v4
	v_addc_co_u32_e32 v5, vcc, 0, v5, vcc
	v_accvgpr_write_b32 a13, v5
	v_accvgpr_write_b32 a12, v4
	s_or_b64 exec, exec, s[58:59]
	s_and_saveexec_b64 s[28:29], s[10:11]
	s_cbranch_execnz .LBB6_2083
.LBB6_2070:                             ;   in Loop: Header=BB6_2046 Depth=3
	s_or_b64 exec, exec, s[28:29]
                                        ; implicit-def: $vgpr1
	s_and_saveexec_b64 s[28:29], s[48:49]
	s_xor_b64 s[28:29], exec, s[28:29]
	s_cbranch_execz .LBB6_2108
.LBB6_2071:                             ;   in Loop: Header=BB6_2046 Depth=3
	s_and_saveexec_b64 vcc, s[44:45]
	s_xor_b64 s[58:59], exec, vcc
	s_cbranch_execz .LBB6_2098
; %bb.2072:                             ;   in Loop: Header=BB6_2046 Depth=3
	s_and_saveexec_b64 s[60:61], s[16:17]
	s_cbranch_execz .LBB6_2097
; %bb.2073:                             ;   in Loop: Header=BB6_2046 Depth=3
	s_mov_b64 s[64:65], exec
	v_mbcnt_lo_u32_b32 v1, s64, 0
	v_mbcnt_hi_u32_b32 v1, s65, v1
	v_cmp_eq_u32_e32 vcc, 0, v1
	;;#ASMSTART
	s_waitcnt lgkmcnt(0) vmcnt(0)
	;;#ASMEND
	s_and_saveexec_b64 s[62:63], vcc
	s_cbranch_execz .LBB6_2075
; %bb.2074:                             ;   in Loop: Header=BB6_2046 Depth=3
	s_bcnt1_i32_b64 vcc_lo, s[64:65]
	v_mov_b32_e32 v26, vcc_lo
	ds_add_u64 v0, v[26:27]
	s_trap 2
.LBB6_2075:                             ;   in Loop: Header=BB6_2046 Depth=3
	s_or_b64 exec, exec, s[62:63]
	s_trap 2
	ds_read_b64 v[4:5], v0
	v_accvgpr_read_b32 v6, a16
	v_accvgpr_read_b32 v0, a26
	;; [unrolled: 1-line block ×3, first 2 shown]
	v_add_co_u32_e32 v6, vcc, v6, v0
	v_addc_co_u32_e32 v7, vcc, 0, v7, vcc
	v_accvgpr_write_b32 a17, v7
	v_accvgpr_write_b32 a16, v6
	s_waitcnt lgkmcnt(0)
	v_cmp_lt_u64_e32 vcc, v[4:5], v[6:7]
	s_and_saveexec_b64 s[62:63], vcc
	s_cbranch_execz .LBB6_2096
; %bb.2076:                             ;   in Loop: Header=BB6_2046 Depth=3
	s_mov_b32 s74, 0
	s_mov_b64 s[64:65], 0
                                        ; implicit-def: $sgpr66_sgpr67
                                        ; implicit-def: $sgpr68_sgpr69
	s_branch .LBB6_2078
.LBB6_2077:                             ;   in Loop: Header=BB6_2078 Depth=4
	s_or_b64 exec, exec, s[72:73]
	s_and_b64 vcc, exec, vcc
	s_or_b64 s[64:65], vcc, s[64:65]
	s_andn2_b64 vcc, s[66:67], exec
	s_and_b64 s[66:67], s[68:69], exec
	s_or_b64 s[66:67], vcc, s[66:67]
	s_andn2_b64 exec, exec, s[64:65]
	s_cbranch_execz .LBB6_2094
.LBB6_2078:                             ;   Parent Loop BB6_47 Depth=1
                                        ;     Parent Loop BB6_271 Depth=2
                                        ;       Parent Loop BB6_2046 Depth=3
                                        ; =>      This Inner Loop Header: Depth=4
	s_add_i32 s74, s74, 1
	s_cmpk_lg_i32 s74, 0x2710
	s_cselect_b64 s[70:71], -1, 0
	s_and_b64 vcc, exec, s[70:71]
                                        ; implicit-def: $sgpr72_sgpr73
	s_cbranch_vccnz .LBB6_2080
; %bb.2079:                             ;   in Loop: Header=BB6_2078 Depth=4
	s_trap 2
	ds_read_b64 v[4:5], v0
	s_andn2_b64 s[70:71], s[70:71], exec
	s_mov_b32 s74, 0
	s_mov_b64 s[72:73], -1
	s_waitcnt vmcnt(0) lgkmcnt(0)
	flat_load_dword v1, v[4:5] glc
	s_waitcnt vmcnt(0) lgkmcnt(0)
	buffer_invl2
	buffer_wbinvl1_vol
	v_cmp_eq_u32_e32 vcc, 0, v1
	s_and_b64 vcc, vcc, exec
	s_or_b64 s[70:71], s[70:71], vcc
.LBB6_2080:                             ;   in Loop: Header=BB6_2078 Depth=4
	s_andn2_b64 s[68:69], s[68:69], exec
	s_and_b64 s[72:73], s[72:73], exec
	s_mov_b64 vcc, -1
	s_or_b64 s[68:69], s[68:69], s[72:73]
	s_and_saveexec_b64 s[72:73], s[70:71]
	s_cbranch_execz .LBB6_2077
; %bb.2081:                             ;   in Loop: Header=BB6_2078 Depth=4
	s_sleep 1
	s_trap 2
	ds_read_b64 v[4:5], v0
	v_accvgpr_read_b32 v6, a16
	v_accvgpr_read_b32 v7, a17
	s_andn2_b64 s[68:69], s[68:69], exec
	s_waitcnt lgkmcnt(0)
	v_cmp_ge_u64_e32 vcc, v[4:5], v[6:7]
	s_orn2_b64 vcc, vcc, exec
	s_branch .LBB6_2077
.LBB6_2082:                             ;   in Loop: Header=BB6_2046 Depth=3
	s_or_b64 exec, exec, s[58:59]
	s_and_saveexec_b64 s[28:29], s[10:11]
	s_cbranch_execz .LBB6_2070
.LBB6_2083:                             ;   in Loop: Header=BB6_2046 Depth=3
	s_and_saveexec_b64 vcc, s[44:45]
	s_xor_b64 s[58:59], exec, vcc
	s_cbranch_execz .LBB6_2105
; %bb.2084:                             ;   in Loop: Header=BB6_2046 Depth=3
	s_and_saveexec_b64 s[60:61], s[16:17]
	s_cbranch_execz .LBB6_2104
; %bb.2085:                             ;   in Loop: Header=BB6_2046 Depth=3
	s_mov_b64 s[64:65], exec
	v_mbcnt_lo_u32_b32 v1, s64, 0
	v_mbcnt_hi_u32_b32 v1, s65, v1
	v_cmp_eq_u32_e32 vcc, 0, v1
	s_waitcnt vmcnt(0) lgkmcnt(0)
	buffer_wbinvl1_vol
	s_and_saveexec_b64 s[62:63], vcc
	s_cbranch_execz .LBB6_2087
; %bb.2086:                             ;   in Loop: Header=BB6_2046 Depth=3
	s_bcnt1_i32_b64 vcc_lo, s[64:65]
	v_mov_b32_e32 v26, vcc_lo
	ds_add_u64 v0, v[26:27]
	s_trap 2
.LBB6_2087:                             ;   in Loop: Header=BB6_2046 Depth=3
	s_or_b64 exec, exec, s[62:63]
	s_trap 2
	ds_read_b64 v[4:5], v0
	v_accvgpr_read_b32 v6, a16
	v_accvgpr_read_b32 v0, a26
	;; [unrolled: 1-line block ×3, first 2 shown]
	v_add_co_u32_e32 v6, vcc, v6, v0
	v_addc_co_u32_e32 v7, vcc, 0, v7, vcc
	v_accvgpr_write_b32 a17, v7
	v_accvgpr_write_b32 a16, v6
	s_waitcnt lgkmcnt(0)
	v_cmp_lt_u64_e32 vcc, v[4:5], v[6:7]
	s_and_saveexec_b64 s[62:63], vcc
	s_cbranch_execz .LBB6_2103
; %bb.2088:                             ;   in Loop: Header=BB6_2046 Depth=3
	s_mov_b32 s74, 0
	s_mov_b64 s[64:65], 0
                                        ; implicit-def: $sgpr66_sgpr67
                                        ; implicit-def: $sgpr68_sgpr69
	s_branch .LBB6_2090
.LBB6_2089:                             ;   in Loop: Header=BB6_2090 Depth=4
	s_or_b64 exec, exec, s[72:73]
	s_and_b64 vcc, exec, vcc
	s_or_b64 s[64:65], vcc, s[64:65]
	s_andn2_b64 vcc, s[66:67], exec
	s_and_b64 s[66:67], s[68:69], exec
	s_or_b64 s[66:67], vcc, s[66:67]
	s_andn2_b64 exec, exec, s[64:65]
	s_cbranch_execz .LBB6_2101
.LBB6_2090:                             ;   Parent Loop BB6_47 Depth=1
                                        ;     Parent Loop BB6_271 Depth=2
                                        ;       Parent Loop BB6_2046 Depth=3
                                        ; =>      This Inner Loop Header: Depth=4
	s_add_i32 s74, s74, 1
	s_cmpk_lg_i32 s74, 0x2710
	s_cselect_b64 s[70:71], -1, 0
	s_and_b64 vcc, exec, s[70:71]
                                        ; implicit-def: $sgpr72_sgpr73
	s_cbranch_vccnz .LBB6_2092
; %bb.2091:                             ;   in Loop: Header=BB6_2090 Depth=4
	s_trap 2
	ds_read_b64 v[4:5], v0
	s_andn2_b64 s[70:71], s[70:71], exec
	s_mov_b32 s74, 0
	s_mov_b64 s[72:73], -1
	s_waitcnt lgkmcnt(0)
	flat_load_dword v1, v[4:5] glc
	s_waitcnt vmcnt(0) lgkmcnt(0)
	buffer_invl2
	buffer_wbinvl1_vol
	v_cmp_eq_u32_e32 vcc, 0, v1
	s_and_b64 vcc, vcc, exec
	s_or_b64 s[70:71], s[70:71], vcc
.LBB6_2092:                             ;   in Loop: Header=BB6_2090 Depth=4
	s_andn2_b64 s[68:69], s[68:69], exec
	s_and_b64 s[72:73], s[72:73], exec
	s_mov_b64 vcc, -1
	s_or_b64 s[68:69], s[68:69], s[72:73]
	s_and_saveexec_b64 s[72:73], s[70:71]
	s_cbranch_execz .LBB6_2089
; %bb.2093:                             ;   in Loop: Header=BB6_2090 Depth=4
	s_sleep 1
	s_trap 2
	ds_read_b64 v[4:5], v0
	v_accvgpr_read_b32 v6, a16
	v_accvgpr_read_b32 v7, a17
	s_andn2_b64 s[68:69], s[68:69], exec
	s_waitcnt lgkmcnt(0)
	v_cmp_ge_u64_e32 vcc, v[4:5], v[6:7]
	s_orn2_b64 vcc, vcc, exec
	s_branch .LBB6_2089
.LBB6_2094:                             ;   in Loop: Header=BB6_2046 Depth=3
	s_or_b64 exec, exec, s[64:65]
	s_and_saveexec_b64 vcc, s[66:67]
	s_xor_b64 vcc, exec, vcc
	s_cbranch_execz .LBB6_2096
; %bb.2095:                             ;   in Loop: Header=BB6_2046 Depth=3
	v_mov_b32_e32 v0, 1
	ds_write_b32 v0, v0
	s_trap 2
.LBB6_2096:                             ;   in Loop: Header=BB6_2046 Depth=3
	s_or_b64 exec, exec, s[62:63]
	;;#ASMSTART
	s_wakeup
	;;#ASMEND
.LBB6_2097:                             ;   in Loop: Header=BB6_2046 Depth=3
	s_or_b64 exec, exec, s[60:61]
.LBB6_2098:                             ;   in Loop: Header=BB6_2046 Depth=3
	s_andn2_saveexec_b64 vcc, s[58:59]
	s_cbranch_execz .LBB6_2100
; %bb.2099:                             ;   in Loop: Header=BB6_2046 Depth=3
	;;#ASMSTART
	s_waitcnt lgkmcnt(0) vmcnt(0)
	;;#ASMEND
	s_barrier
.LBB6_2100:                             ;   in Loop: Header=BB6_2046 Depth=3
	s_or_b64 exec, exec, vcc
	v_and_b32_e32 v1, 16, v60
	s_andn2_saveexec_b64 s[28:29], s[28:29]
	s_cbranch_execz .LBB6_2112
	s_branch .LBB6_2109
.LBB6_2101:                             ;   in Loop: Header=BB6_2046 Depth=3
	s_or_b64 exec, exec, s[64:65]
	s_and_saveexec_b64 vcc, s[66:67]
	s_xor_b64 vcc, exec, vcc
	s_cbranch_execz .LBB6_2103
; %bb.2102:                             ;   in Loop: Header=BB6_2046 Depth=3
	v_mov_b32_e32 v0, 1
	ds_write_b32 v0, v0
	s_trap 2
.LBB6_2103:                             ;   in Loop: Header=BB6_2046 Depth=3
	s_or_b64 exec, exec, s[62:63]
	;;#ASMSTART
	s_wakeup
	;;#ASMEND
.LBB6_2104:                             ;   in Loop: Header=BB6_2046 Depth=3
	s_or_b64 exec, exec, s[60:61]
.LBB6_2105:                             ;   in Loop: Header=BB6_2046 Depth=3
	s_andn2_saveexec_b64 vcc, s[58:59]
	s_cbranch_execz .LBB6_2107
; %bb.2106:                             ;   in Loop: Header=BB6_2046 Depth=3
	s_waitcnt vmcnt(0) lgkmcnt(0)
	buffer_wbinvl1_vol
	s_barrier
.LBB6_2107:                             ;   in Loop: Header=BB6_2046 Depth=3
	s_or_b64 exec, exec, vcc
	s_or_b64 exec, exec, s[28:29]
                                        ; implicit-def: $vgpr1
	s_and_saveexec_b64 s[28:29], s[48:49]
	s_xor_b64 s[28:29], exec, s[28:29]
	s_cbranch_execnz .LBB6_2071
.LBB6_2108:                             ;   in Loop: Header=BB6_2046 Depth=3
	s_andn2_saveexec_b64 s[28:29], s[28:29]
	s_cbranch_execz .LBB6_2112
.LBB6_2109:                             ;   in Loop: Header=BB6_2046 Depth=3
	s_trap 2
	ds_read_b32 v3, v0
	v_cmp_lt_i32_e32 vcc, 0, v2
	v_and_b32_e32 v4, 16, v60
	v_and_b32_e32 v1, 16, v60
	s_waitcnt lgkmcnt(0)
	v_readfirstlane_b32 s58, v3
	s_cmp_eq_u32 s58, 0
	s_cselect_b64 s[58:59], -1, 0
	s_and_b64 s[58:59], vcc, s[58:59]
	v_cmp_ne_u32_e32 vcc, 0, v4
	s_and_b64 s[58:59], vcc, s[58:59]
	s_and_saveexec_b64 vcc, s[58:59]
	s_cbranch_execz .LBB6_2111
; %bb.2110:                             ;   in Loop: Header=BB6_2046 Depth=3
	v_mov_b32_e32 v1, 1
	s_waitcnt vmcnt(0)
	buffer_wbinvl1_vol
.LBB6_2111:                             ;   in Loop: Header=BB6_2046 Depth=3
	s_or_b64 exec, exec, vcc
.LBB6_2112:                             ;   in Loop: Header=BB6_2046 Depth=3
	s_or_b64 exec, exec, s[28:29]
	v_cmp_ne_u32_e32 vcc, 0, v1
	s_xor_b64 s[28:29], s[12:13], -1
	s_and_b64 vcc, vcc, s[28:29]
	s_and_saveexec_b64 s[28:29], vcc
	s_cbranch_execz .LBB6_2114
; %bb.2113:                             ;   in Loop: Header=BB6_2046 Depth=3
	v_accvgpr_read_b32 v4, a24
	v_accvgpr_read_b32 v5, a25
	v_mov_b32_e32 v0, 1
	flat_store_dword v[4:5], v0
.LBB6_2114:                             ;   in Loop: Header=BB6_2046 Depth=3
	s_or_b64 exec, exec, s[28:29]
	v_and_b32_e32 v1, 48, v60
	v_cmp_ne_u32_e32 vcc, 0, v1
	s_and_saveexec_b64 s[28:29], vcc
	s_cbranch_execz .LBB6_2045
; %bb.2115:                             ;   in Loop: Header=BB6_2046 Depth=3
	v_accvgpr_read_b32 v4, a12
	v_accvgpr_read_b32 v5, a13
	v_add_co_u32_e32 v4, vcc, 2, v4
	v_addc_co_u32_e32 v5, vcc, 0, v5, vcc
	v_accvgpr_write_b32 a13, v5
	v_accvgpr_read_b32 v6, a18
	v_accvgpr_write_b32 a12, v4
	v_accvgpr_read_b32 v7, a19
	flat_store_dwordx2 v[6:7], v[4:5]
	s_branch .LBB6_2045
.LBB6_2116:                             ;   in Loop: Header=BB6_47 Depth=1
	v_accvgpr_read_b32 v6, a52
	v_accvgpr_read_b32 v7, a53
	v_mul_lo_u32 v1, v7, s76
	v_mul_lo_u32 v2, v6, s77
	v_mad_u64_u32 v[4:5], s[28:29], v6, s76, 0
	v_add3_u32 v5, v5, v2, v1
	v_accvgpr_read_b32 v0, a54
	v_accvgpr_read_b32 v1, a55
	v_sub_co_u32_e32 v2, vcc, v0, v4
	v_subb_co_u32_e32 v3, vcc, v1, v5, vcc
	v_cmp_lt_i64_e32 vcc, v[6:7], v[2:3]
	v_cndmask_b32_e32 v1, v2, v6, vcc
	v_max_i32_e32 v35, 0, v1
	v_add_u32_e32 v2, 31, v35
	v_lshrrev_b32_e32 v2, 1, v2
	v_and_b32_e32 v2, 0x3ffffff0, v2
	v_max_i32_e32 v0, s85, v2
	v_cmp_lt_i32_e32 vcc, 0, v1
	v_accvgpr_write_b32 a58, v0
	s_and_b64 s[28:29], s[50:51], vcc
	v_mov_b32_e32 v1, 0
	v_mov_b32_e32 v33, 0
	s_and_saveexec_b64 s[58:59], s[28:29]
	s_cbranch_execz .LBB6_5550
; %bb.2117:                             ;   in Loop: Header=BB6_47 Depth=1
	v_accvgpr_read_b32 v0, a49
	v_add_co_u32_e32 v0, vcc, v4, v0
	v_accvgpr_write_b32 a59, v0
	v_accvgpr_read_b32 v0, a56
	v_addc_co_u32_e32 v0, vcc, v5, v0, vcc
	v_accvgpr_write_b32 a60, v0
	s_mov_b32 s47, 1
	s_mov_b64 s[62:63], -1
	s_mov_b64 s[60:61], 0
	v_mov_b32_e32 v33, 0
	s_branch .LBB6_2119
.LBB6_2118:                             ;   in Loop: Header=BB6_2119 Depth=2
	s_or_b64 exec, exec, s[28:29]
	v_accvgpr_read_b32 v0, a58
	v_add_u32_e32 v33, v0, v33
	v_cmp_ge_i32_e32 vcc, v33, v35
	s_xor_b64 s[28:29], s[62:63], -1
	s_or_b64 s[28:29], s[28:29], vcc
	s_and_b64 s[28:29], exec, s[28:29]
	s_or_b64 s[60:61], s[28:29], s[60:61]
	s_mov_b64 s[62:63], 0
	v_mov_b32_e32 v1, s47
	s_mov_b32 s47, 2
	s_andn2_b64 exec, exec, s[60:61]
	s_cbranch_execz .LBB6_5623
.LBB6_2119:                             ;   Parent Loop BB6_47 Depth=1
                                        ; =>  This Loop Header: Depth=2
                                        ;       Child Loop BB6_2127 Depth 3
                                        ;       Child Loop BB6_2153 Depth 3
	;; [unrolled: 1-line block ×9, first 2 shown]
                                        ;         Child Loop BB6_3399 Depth 4
                                        ;       Child Loop BB6_3409 Depth 3
                                        ;       Child Loop BB6_3861 Depth 3
                                        ;         Child Loop BB6_3890 Depth 4
                                        ;       Child Loop BB6_2200 Depth 3
                                        ;       Child Loop BB6_2995 Depth 3
	s_and_saveexec_b64 s[28:29], s[4:5]
	s_cbranch_execz .LBB6_2121
; %bb.2120:                             ;   in Loop: Header=BB6_2119 Depth=2
	s_trap 2
	ds_read2_b64 v[2:5], v0 offset1:1
	ds_read_b64 v[6:7], v0
	v_accvgpr_read_b32 v0, a59
	v_accvgpr_read_b32 v9, a60
	v_ashrrev_i32_e32 v8, 31, v33
	s_waitcnt lgkmcnt(0)
	v_add_co_u32_e32 v1, vcc, v2, v0
	v_addc_co_u32_e32 v3, vcc, v3, v9, vcc
	v_add_co_u32_e32 v2, vcc, v1, v33
	v_addc_co_u32_e32 v3, vcc, v3, v8, vcc
	v_add_co_u32_e32 v1, vcc, v4, v0
	ds_write_b64 v0, v[2:3]
	v_addc_co_u32_e32 v3, vcc, v5, v9, vcc
	v_add_co_u32_e32 v2, vcc, v1, v33
	v_addc_co_u32_e32 v3, vcc, v3, v8, vcc
	v_add_co_u32_e32 v1, vcc, v6, v0
	ds_write_b64 v0, v[2:3]
	v_addc_co_u32_e32 v2, vcc, v7, v9, vcc
	v_add_co_u32_e32 v1, vcc, v1, v33
	v_addc_co_u32_e32 v2, vcc, v2, v8, vcc
	v_cmp_ne_u64_e32 vcc, 0, v[6:7]
	v_cndmask_b32_e32 v3, 0, v2, vcc
	v_cndmask_b32_e32 v2, 0, v1, vcc
	ds_write_b64 v0, v[2:3]
.LBB6_2121:                             ;   in Loop: Header=BB6_2119 Depth=2
	s_or_b64 exec, exec, s[28:29]
	v_and_b32_e32 v1, 12, v60
	v_cmp_ne_u32_e32 vcc, 0, v1
	s_mov_b64 s[30:31], -1
	s_and_saveexec_b64 s[28:29], vcc
	s_cbranch_execz .LBB6_2133
; %bb.2122:                             ;   in Loop: Header=BB6_2119 Depth=2
	v_and_b32_e32 v4, 8, v60
	v_add_co_u32_e32 v2, vcc, v48, v4
	v_addc_co_u32_e32 v3, vcc, 0, v49, vcc
	v_accvgpr_read_b32 v6, a12
	v_accvgpr_read_b32 v7, a13
	v_add_co_u32_e32 v8, vcc, 2, v6
	v_addc_co_u32_e32 v9, vcc, 0, v7, vcc
	v_cmp_lt_u64_e32 vcc, v[2:3], v[8:9]
	v_mov_b32_e32 v1, 1
	s_and_saveexec_b64 s[30:31], vcc
	s_cbranch_execz .LBB6_2132
; %bb.2123:                             ;   in Loop: Header=BB6_2119 Depth=2
	s_mov_b64 s[34:35], 0
	v_mov_b32_e32 v1, 0
                                        ; implicit-def: $sgpr64_sgpr65
	s_branch .LBB6_2127
.LBB6_2124:                             ;   in Loop: Header=BB6_2127 Depth=3
	s_or_b64 exec, exec, s[72:73]
	v_mov_b32_e32 v2, 0
	s_orn2_b64 s[70:71], s[70:71], exec
.LBB6_2125:                             ;   in Loop: Header=BB6_2127 Depth=3
	s_or_b64 exec, exec, s[68:69]
	s_andn2_b64 vcc, s[64:65], exec
	s_and_b64 s[64:65], s[70:71], exec
	s_or_b64 s[64:65], vcc, s[64:65]
	v_mov_b32_e32 v1, v2
.LBB6_2126:                             ;   in Loop: Header=BB6_2127 Depth=3
	s_or_b64 exec, exec, s[66:67]
	s_waitcnt vmcnt(0) lgkmcnt(0)
	v_add_co_u32_e32 v2, vcc, v48, v4
	v_addc_co_u32_e32 v3, vcc, 0, v49, vcc
	v_cmp_ge_u64_e32 vcc, v[2:3], v[8:9]
	s_xor_b64 s[66:67], s[64:65], -1
	s_or_b64 vcc, s[66:67], vcc
	s_and_b64 vcc, exec, vcc
	s_or_b64 s[34:35], vcc, s[34:35]
	s_andn2_b64 exec, exec, s[34:35]
	s_cbranch_execz .LBB6_2131
.LBB6_2127:                             ;   Parent Loop BB6_47 Depth=1
                                        ;     Parent Loop BB6_2119 Depth=2
                                        ; =>    This Inner Loop Header: Depth=3
	v_accvgpr_read_b32 v2, a18
	v_accvgpr_read_b32 v3, a19
	s_sleep 1
	flat_load_dwordx2 v[48:49], v[2:3] glc
	v_and_b32_e32 v2, 64, v60
	v_cmp_eq_u32_e32 vcc, 0, v2
	s_andn2_b64 s[64:65], s[64:65], exec
	s_and_saveexec_b64 s[66:67], vcc
	s_cbranch_execz .LBB6_2126
; %bb.2128:                             ;   in Loop: Header=BB6_2127 Depth=3
	v_add_u32_e32 v2, 1, v1
	v_cmp_lt_i32_e32 vcc, s89, v1
	s_mov_b64 s[70:71], -1
	s_and_saveexec_b64 s[68:69], vcc
	s_cbranch_execz .LBB6_2125
; %bb.2129:                             ;   in Loop: Header=BB6_2127 Depth=3
	s_trap 2
	ds_read_b64 v[2:3], v0
	s_waitcnt vmcnt(0) lgkmcnt(0)
	flat_load_dword v1, v[2:3] glc
	s_waitcnt vmcnt(0) lgkmcnt(0)
	buffer_invl2
	buffer_wbinvl1_vol
	v_cmp_ne_u32_e32 vcc, 0, v1
	s_and_saveexec_b64 s[72:73], vcc
	s_cbranch_execz .LBB6_2124
; %bb.2130:                             ;   in Loop: Header=BB6_2127 Depth=3
	v_or_b32_e32 v60, 64, v60
	s_xor_b64 s[70:71], exec, -1
	ds_write_b32 v0, v1
	s_trap 2
	s_branch .LBB6_2124
.LBB6_2131:                             ;   in Loop: Header=BB6_2119 Depth=2
	s_or_b64 exec, exec, s[34:35]
	v_and_b32_e32 v1, 12, v60
.LBB6_2132:                             ;   in Loop: Header=BB6_2119 Depth=2
	s_or_b64 exec, exec, s[30:31]
	v_cmp_eq_u32_e32 vcc, 0, v1
	s_orn2_b64 s[30:31], vcc, exec
	;;#ASMSTART
	s_wakeup
	;;#ASMEND
.LBB6_2133:                             ;   in Loop: Header=BB6_2119 Depth=2
	s_or_b64 exec, exec, s[28:29]
	v_sub_u32_e32 v1, v35, v33
	v_accvgpr_read_b32 v0, a58
	v_min_i32_e32 v0, v0, v1
	s_xor_b64 s[28:29], s[30:31], -1
	v_accvgpr_write_b32 a58, v0
	s_and_saveexec_b64 s[30:31], s[28:29]
	s_cbranch_execz .LBB6_2145
; %bb.2134:                             ;   in Loop: Header=BB6_2119 Depth=2
	v_and_b32_e32 v1, 0x108, v60
	v_accvgpr_read_b32 v2, a12
	v_cmp_ne_u32_e32 vcc, s90, v1
	v_and_b32_e32 v4, 7, v2
	v_accvgpr_read_b32 v3, a13
	s_and_saveexec_b64 s[28:29], vcc
	s_xor_b64 s[28:29], exec, s[28:29]
	s_andn2_saveexec_b64 s[28:29], s[28:29]
	s_cbranch_execz .LBB6_2136
; %bb.2135:                             ;   in Loop: Header=BB6_2119 Depth=2
	v_accvgpr_read_b32 v2, a14
	v_accvgpr_read_b32 v3, a15
	;; [unrolled: 1-line block ×3, first 2 shown]
	v_mad_u64_u32 v[2:3], vcc, v4, 24, v[2:3]
	v_ashrrev_i32_e32 v1, 31, v0
	flat_store_dwordx2 v[2:3], v[0:1] offset:8
.LBB6_2136:                             ;   in Loop: Header=BB6_2119 Depth=2
	s_or_b64 exec, exec, s[28:29]
	v_and_b32_e32 v1, 0x100, v60
	v_cmp_ne_u32_e32 vcc, 0, v1
	s_mov_b64 s[28:29], -1
                                        ; implicit-def: $vgpr8_vgpr9
	s_and_saveexec_b64 s[34:35], vcc
	s_cbranch_execz .LBB6_2140
; %bb.2137:                             ;   in Loop: Header=BB6_2119 Depth=2
	v_accvgpr_read_b32 v2, a14
	v_accvgpr_read_b32 v3, a15
	v_mad_u64_u32 v[10:11], s[28:29], v4, 24, v[2:3]
	v_mov_b32_e32 v2, v11
	v_mad_u64_u32 v[2:3], s[28:29], v27, 24, v[2:3]
	v_mov_b32_e32 v11, v2
	flat_load_dword v1, v[10:11]
                                        ; implicit-def: $vgpr8_vgpr9
	s_waitcnt vmcnt(0) lgkmcnt(0)
	v_cmp_ne_u32_e32 vcc, 1, v1
	v_cmp_eq_u32_e64 s[28:29], 1, v1
	s_and_saveexec_b64 s[64:65], s[28:29]
	s_cbranch_execz .LBB6_2139
; %bb.2138:                             ;   in Loop: Header=BB6_2119 Depth=2
	flat_load_dword v8, v[10:11] offset:4 glc
	s_waitcnt vmcnt(0) lgkmcnt(0)
	v_ashrrev_i32_e32 v9, 31, v8
.LBB6_2139:                             ;   in Loop: Header=BB6_2119 Depth=2
	s_or_b64 exec, exec, s[64:65]
	s_orn2_b64 s[28:29], vcc, exec
.LBB6_2140:                             ;   in Loop: Header=BB6_2119 Depth=2
	s_or_b64 exec, exec, s[34:35]
	s_and_saveexec_b64 vcc, s[28:29]
; %bb.2141:                             ;   in Loop: Header=BB6_2119 Depth=2
	v_accvgpr_read_b32 v6, a20
	v_accvgpr_read_b32 v3, a21
	v_mul_lo_u32 v1, v27, v6
	v_mul_lo_u32 v2, v4, v3
	v_mad_u64_u32 v[8:9], s[28:29], v4, v6, 0
	v_add3_u32 v9, v9, v2, v1
; %bb.2142:                             ;   in Loop: Header=BB6_2119 Depth=2
	s_or_b64 exec, exec, vcc
	v_accvgpr_read_b32 v2, a22
	v_accvgpr_read_b32 v3, a23
	v_add_co_u32_e32 v2, vcc, v2, v8
	v_addc_co_u32_e32 v3, vcc, v3, v9, vcc
	v_and_b32_e32 v1, 0x2000, v60
	v_cmp_ne_u32_e32 vcc, 0, v1
	s_trap 2
	ds_write_b64 v0, v[2:3]
	s_and_saveexec_b64 s[28:29], vcc
	s_cbranch_execz .LBB6_2144
; %bb.2143:                             ;   in Loop: Header=BB6_2119 Depth=2
	ds_read_b64 v[2:3], v0 offset:584
	s_waitcnt lgkmcnt(0)
	v_add_co_u32_e32 v2, vcc, 1, v2
	v_addc_co_u32_e32 v3, vcc, 0, v3, vcc
	ds_write_b64 v0, v[2:3] offset:584
.LBB6_2144:                             ;   in Loop: Header=BB6_2119 Depth=2
	s_or_b64 exec, exec, s[28:29]
	v_accvgpr_read_b32 v2, a12
	v_accvgpr_read_b32 v3, a13
	v_add_co_u32_e32 v2, vcc, 2, v2
	v_addc_co_u32_e32 v3, vcc, 0, v3, vcc
	v_accvgpr_write_b32 a13, v3
	v_accvgpr_write_b32 a12, v2
.LBB6_2145:                             ;   in Loop: Header=BB6_2119 Depth=2
	s_or_b64 exec, exec, s[30:31]
	s_and_saveexec_b64 s[28:29], s[10:11]
	s_cbranch_execz .LBB6_2164
; %bb.2146:                             ;   in Loop: Header=BB6_2119 Depth=2
	s_and_saveexec_b64 vcc, s[44:45]
	s_xor_b64 s[30:31], exec, vcc
	s_cbranch_execz .LBB6_2161
; %bb.2147:                             ;   in Loop: Header=BB6_2119 Depth=2
	s_and_saveexec_b64 s[34:35], s[16:17]
	s_cbranch_execz .LBB6_2160
; %bb.2148:                             ;   in Loop: Header=BB6_2119 Depth=2
	s_mov_b64 s[66:67], exec
	v_mbcnt_lo_u32_b32 v1, s66, 0
	v_mbcnt_hi_u32_b32 v1, s67, v1
	v_cmp_eq_u32_e32 vcc, 0, v1
	s_waitcnt vmcnt(0) lgkmcnt(0)
	buffer_wbinvl1_vol
	s_and_saveexec_b64 s[64:65], vcc
	s_cbranch_execz .LBB6_2150
; %bb.2149:                             ;   in Loop: Header=BB6_2119 Depth=2
	s_bcnt1_i32_b64 vcc_lo, s[66:67]
	v_mov_b32_e32 v26, vcc_lo
	ds_add_u64 v0, v[26:27]
	s_trap 2
.LBB6_2150:                             ;   in Loop: Header=BB6_2119 Depth=2
	s_or_b64 exec, exec, s[64:65]
	s_trap 2
	ds_read_b64 v[2:3], v0
	v_accvgpr_read_b32 v4, a16
	v_accvgpr_read_b32 v0, a26
	;; [unrolled: 1-line block ×3, first 2 shown]
	v_add_co_u32_e32 v4, vcc, v4, v0
	v_addc_co_u32_e32 v5, vcc, 0, v5, vcc
	v_accvgpr_write_b32 a17, v5
	v_accvgpr_write_b32 a16, v4
	s_waitcnt lgkmcnt(0)
	v_cmp_lt_u64_e32 vcc, v[2:3], v[4:5]
	s_and_saveexec_b64 s[64:65], vcc
	s_cbranch_execz .LBB6_2159
; %bb.2151:                             ;   in Loop: Header=BB6_2119 Depth=2
	s_mov_b32 s83, 0
	s_mov_b64 s[66:67], 0
                                        ; implicit-def: $sgpr68_sgpr69
                                        ; implicit-def: $sgpr70_sgpr71
	s_branch .LBB6_2153
.LBB6_2152:                             ;   in Loop: Header=BB6_2153 Depth=3
	s_or_b64 exec, exec, s[74:75]
	s_and_b64 vcc, exec, vcc
	s_or_b64 s[66:67], vcc, s[66:67]
	s_andn2_b64 vcc, s[68:69], exec
	s_and_b64 s[68:69], s[70:71], exec
	s_or_b64 s[68:69], vcc, s[68:69]
	s_andn2_b64 exec, exec, s[66:67]
	s_cbranch_execz .LBB6_2157
.LBB6_2153:                             ;   Parent Loop BB6_47 Depth=1
                                        ;     Parent Loop BB6_2119 Depth=2
                                        ; =>    This Inner Loop Header: Depth=3
	s_add_i32 s83, s83, 1
	s_cmpk_lg_i32 s83, 0x2710
	s_cselect_b64 s[72:73], -1, 0
	s_and_b64 vcc, exec, s[72:73]
                                        ; implicit-def: $sgpr74_sgpr75
	s_cbranch_vccnz .LBB6_2155
; %bb.2154:                             ;   in Loop: Header=BB6_2153 Depth=3
	s_trap 2
	ds_read_b64 v[2:3], v0
	s_andn2_b64 s[72:73], s[72:73], exec
	s_mov_b32 s83, 0
	s_mov_b64 s[74:75], -1
	s_waitcnt lgkmcnt(0)
	flat_load_dword v1, v[2:3] glc
	s_waitcnt vmcnt(0) lgkmcnt(0)
	buffer_invl2
	buffer_wbinvl1_vol
	v_cmp_eq_u32_e32 vcc, 0, v1
	s_and_b64 vcc, vcc, exec
	s_or_b64 s[72:73], s[72:73], vcc
.LBB6_2155:                             ;   in Loop: Header=BB6_2153 Depth=3
	s_andn2_b64 s[70:71], s[70:71], exec
	s_and_b64 s[74:75], s[74:75], exec
	s_mov_b64 vcc, -1
	s_or_b64 s[70:71], s[70:71], s[74:75]
	s_and_saveexec_b64 s[74:75], s[72:73]
	s_cbranch_execz .LBB6_2152
; %bb.2156:                             ;   in Loop: Header=BB6_2153 Depth=3
	s_sleep 1
	s_trap 2
	ds_read_b64 v[2:3], v0
	v_accvgpr_read_b32 v4, a16
	v_accvgpr_read_b32 v5, a17
	s_andn2_b64 s[70:71], s[70:71], exec
	s_waitcnt lgkmcnt(0)
	v_cmp_ge_u64_e32 vcc, v[2:3], v[4:5]
	s_orn2_b64 vcc, vcc, exec
	s_branch .LBB6_2152
.LBB6_2157:                             ;   in Loop: Header=BB6_2119 Depth=2
	s_or_b64 exec, exec, s[66:67]
	s_and_saveexec_b64 vcc, s[68:69]
	s_xor_b64 vcc, exec, vcc
	s_cbranch_execz .LBB6_2159
; %bb.2158:                             ;   in Loop: Header=BB6_2119 Depth=2
	v_mov_b32_e32 v0, 1
	ds_write_b32 v0, v0
	s_trap 2
.LBB6_2159:                             ;   in Loop: Header=BB6_2119 Depth=2
	s_or_b64 exec, exec, s[64:65]
	;;#ASMSTART
	s_wakeup
	;;#ASMEND
.LBB6_2160:                             ;   in Loop: Header=BB6_2119 Depth=2
	s_or_b64 exec, exec, s[34:35]
.LBB6_2161:                             ;   in Loop: Header=BB6_2119 Depth=2
	s_andn2_saveexec_b64 vcc, s[30:31]
	s_cbranch_execz .LBB6_2163
; %bb.2162:                             ;   in Loop: Header=BB6_2119 Depth=2
	s_waitcnt vmcnt(0) lgkmcnt(0)
	buffer_wbinvl1_vol
	s_barrier
.LBB6_2163:                             ;   in Loop: Header=BB6_2119 Depth=2
	s_or_b64 exec, exec, vcc
.LBB6_2164:                             ;   in Loop: Header=BB6_2119 Depth=2
	s_or_b64 exec, exec, s[28:29]
	s_trap 2
	ds_read_b32 v1, v0
	v_and_b32_e32 v2, 0x4000, v60
	v_cmp_ne_u32_e32 vcc, 0, v2
	s_xor_b64 s[28:29], s[6:7], -1
	s_and_b64 vcc, s[28:29], vcc
	s_and_saveexec_b64 s[28:29], vcc
	s_cbranch_execz .LBB6_2183
; %bb.2165:                             ;   in Loop: Header=BB6_2119 Depth=2
	s_and_saveexec_b64 vcc, s[44:45]
	s_xor_b64 s[30:31], exec, vcc
	s_cbranch_execz .LBB6_2180
; %bb.2166:                             ;   in Loop: Header=BB6_2119 Depth=2
	s_and_saveexec_b64 s[34:35], s[16:17]
	s_cbranch_execz .LBB6_2179
; %bb.2167:                             ;   in Loop: Header=BB6_2119 Depth=2
	s_mov_b64 s[66:67], exec
	v_mbcnt_lo_u32_b32 v2, s66, 0
	v_mbcnt_hi_u32_b32 v2, s67, v2
	v_cmp_eq_u32_e32 vcc, 0, v2
	s_waitcnt vmcnt(0) lgkmcnt(0)
	buffer_wbinvl1_vol
	s_and_saveexec_b64 s[64:65], vcc
	s_cbranch_execz .LBB6_2169
; %bb.2168:                             ;   in Loop: Header=BB6_2119 Depth=2
	s_bcnt1_i32_b64 vcc_lo, s[66:67]
	v_mov_b32_e32 v26, vcc_lo
	ds_add_u64 v0, v[26:27]
	s_trap 2
.LBB6_2169:                             ;   in Loop: Header=BB6_2119 Depth=2
	s_or_b64 exec, exec, s[64:65]
	s_trap 2
	ds_read_b64 v[2:3], v0
	v_accvgpr_read_b32 v4, a16
	v_accvgpr_read_b32 v0, a26
	;; [unrolled: 1-line block ×3, first 2 shown]
	v_add_co_u32_e32 v4, vcc, v4, v0
	v_addc_co_u32_e32 v5, vcc, 0, v5, vcc
	v_accvgpr_write_b32 a17, v5
	v_accvgpr_write_b32 a16, v4
	s_waitcnt lgkmcnt(0)
	v_cmp_lt_u64_e32 vcc, v[2:3], v[4:5]
	s_and_saveexec_b64 s[64:65], vcc
	s_cbranch_execz .LBB6_2178
; %bb.2170:                             ;   in Loop: Header=BB6_2119 Depth=2
	s_mov_b32 s83, 0
	s_mov_b64 s[66:67], 0
                                        ; implicit-def: $sgpr68_sgpr69
                                        ; implicit-def: $sgpr70_sgpr71
	s_branch .LBB6_2172
.LBB6_2171:                             ;   in Loop: Header=BB6_2172 Depth=3
	s_or_b64 exec, exec, s[74:75]
	s_and_b64 vcc, exec, vcc
	s_or_b64 s[66:67], vcc, s[66:67]
	s_andn2_b64 vcc, s[68:69], exec
	s_and_b64 s[68:69], s[70:71], exec
	s_or_b64 s[68:69], vcc, s[68:69]
	s_andn2_b64 exec, exec, s[66:67]
	s_cbranch_execz .LBB6_2176
.LBB6_2172:                             ;   Parent Loop BB6_47 Depth=1
                                        ;     Parent Loop BB6_2119 Depth=2
                                        ; =>    This Inner Loop Header: Depth=3
	s_add_i32 s83, s83, 1
	s_cmpk_lg_i32 s83, 0x2710
	s_cselect_b64 s[72:73], -1, 0
	s_and_b64 vcc, exec, s[72:73]
                                        ; implicit-def: $sgpr74_sgpr75
	s_cbranch_vccnz .LBB6_2174
; %bb.2173:                             ;   in Loop: Header=BB6_2172 Depth=3
	s_trap 2
	ds_read_b64 v[2:3], v0
	s_andn2_b64 s[72:73], s[72:73], exec
	s_mov_b32 s83, 0
	s_mov_b64 s[74:75], -1
	s_waitcnt lgkmcnt(0)
	flat_load_dword v2, v[2:3] glc
	s_waitcnt vmcnt(0) lgkmcnt(0)
	buffer_invl2
	buffer_wbinvl1_vol
	v_cmp_eq_u32_e32 vcc, 0, v2
	s_and_b64 vcc, vcc, exec
	s_or_b64 s[72:73], s[72:73], vcc
.LBB6_2174:                             ;   in Loop: Header=BB6_2172 Depth=3
	s_andn2_b64 s[70:71], s[70:71], exec
	s_and_b64 s[74:75], s[74:75], exec
	s_mov_b64 vcc, -1
	s_or_b64 s[70:71], s[70:71], s[74:75]
	s_and_saveexec_b64 s[74:75], s[72:73]
	s_cbranch_execz .LBB6_2171
; %bb.2175:                             ;   in Loop: Header=BB6_2172 Depth=3
	s_sleep 1
	s_trap 2
	ds_read_b64 v[2:3], v0
	v_accvgpr_read_b32 v4, a16
	v_accvgpr_read_b32 v5, a17
	s_andn2_b64 s[70:71], s[70:71], exec
	s_waitcnt lgkmcnt(0)
	v_cmp_ge_u64_e32 vcc, v[2:3], v[4:5]
	s_orn2_b64 vcc, vcc, exec
	s_branch .LBB6_2171
.LBB6_2176:                             ;   in Loop: Header=BB6_2119 Depth=2
	s_or_b64 exec, exec, s[66:67]
	s_and_saveexec_b64 vcc, s[68:69]
	s_xor_b64 vcc, exec, vcc
	s_cbranch_execz .LBB6_2178
; %bb.2177:                             ;   in Loop: Header=BB6_2119 Depth=2
	v_mov_b32_e32 v0, 1
	ds_write_b32 v0, v0
	s_trap 2
.LBB6_2178:                             ;   in Loop: Header=BB6_2119 Depth=2
	s_or_b64 exec, exec, s[64:65]
	;;#ASMSTART
	s_wakeup
	;;#ASMEND
.LBB6_2179:                             ;   in Loop: Header=BB6_2119 Depth=2
	s_or_b64 exec, exec, s[34:35]
.LBB6_2180:                             ;   in Loop: Header=BB6_2119 Depth=2
	s_andn2_saveexec_b64 vcc, s[30:31]
	s_cbranch_execz .LBB6_2182
; %bb.2181:                             ;   in Loop: Header=BB6_2119 Depth=2
	s_waitcnt vmcnt(0) lgkmcnt(0)
	buffer_wbinvl1_vol
	s_barrier
.LBB6_2182:                             ;   in Loop: Header=BB6_2119 Depth=2
	s_or_b64 exec, exec, vcc
.LBB6_2183:                             ;   in Loop: Header=BB6_2119 Depth=2
	s_or_b64 exec, exec, s[28:29]
	s_trap 2
	ds_read_b64 v[2:3], v0
	v_mov_b32_e32 v34, 0
	s_waitcnt lgkmcnt(0)
	v_readfirstlane_b32 s28, v2
	v_readfirstlane_b32 s29, v3
	s_cmp_eq_u64 s[28:29], 0
	s_cselect_b64 s[28:29], -1, 0
	s_or_b64 s[28:29], s[28:29], s[28:29]
	s_and_b64 vcc, exec, s[28:29]
	s_cbranch_vccnz .LBB6_2192
; %bb.2184:                             ;   in Loop: Header=BB6_2119 Depth=2
	s_trap 2
	ds_read_b64 v[2:3], v0
	v_cmp_eq_u32_e64 s[28:29], 0, v1
	v_accvgpr_read_b32 v0, a58
	v_cndmask_b32_e64 v34, 0, v0, s[28:29]
	s_waitcnt lgkmcnt(0)
	v_cmp_ne_u64_e32 vcc, 0, v[2:3]
	s_cbranch_vccz .LBB6_2204
; %bb.2185:                             ;   in Loop: Header=BB6_2119 Depth=2
	s_mov_b64 s[30:31], -1
	s_and_saveexec_b64 s[28:29], s[22:23]
	s_cbranch_execz .LBB6_2187
; %bb.2186:                             ;   in Loop: Header=BB6_2119 Depth=2
	ds_read_b32 v1, v0 offset:720
	s_waitcnt lgkmcnt(0)
	v_and_b32_e32 v1, 15, v1
	v_cmp_eq_u32_e32 vcc, 0, v1
	s_orn2_b64 s[30:31], vcc, exec
.LBB6_2187:                             ;   in Loop: Header=BB6_2119 Depth=2
	s_or_b64 exec, exec, s[28:29]
	s_and_saveexec_b64 s[28:29], s[22:23]
	s_cbranch_execz .LBB6_2189
; %bb.2188:                             ;   in Loop: Header=BB6_2119 Depth=2
	ds_read_b32 v1, v0 offset:784
	s_waitcnt lgkmcnt(0)
	v_and_b32_e32 v1, 15, v1
	v_cmp_eq_u32_e32 vcc, 0, v1
	s_and_b64 vcc, s[30:31], vcc
	s_andn2_b64 s[30:31], s[30:31], exec
	s_and_b64 vcc, vcc, exec
	s_or_b64 s[30:31], s[30:31], vcc
.LBB6_2189:                             ;   in Loop: Header=BB6_2119 Depth=2
	s_or_b64 exec, exec, s[28:29]
	s_xor_b64 vcc, s[30:31], -1
	v_cndmask_b32_e64 v1, 0, 1, vcc
	;;#ASMSTART
	;;#ASMEND
	s_mov_b64 s[28:29], -1
	v_cmp_ne_u32_e32 vcc, 0, v1
	v_mov_b32_e32 v12, 0
	v_mov_b32_e32 v4, v34
	;; [unrolled: 1-line block ×3, first 2 shown]
	v_accvgpr_read_b32 v1, a33
	s_cbranch_vccz .LBB6_2205
; %bb.2190:                             ;   in Loop: Header=BB6_2119 Depth=2
	s_and_saveexec_b64 s[34:35], s[28:29]
	s_cbranch_execnz .LBB6_3406
.LBB6_2191:                             ;   in Loop: Header=BB6_2119 Depth=2
	s_or_b64 exec, exec, s[34:35]
.LBB6_2192:                             ;   in Loop: Header=BB6_2119 Depth=2
	s_and_saveexec_b64 s[28:29], s[10:11]
	s_cbranch_execz .LBB6_2983
.LBB6_2193:                             ;   in Loop: Header=BB6_2119 Depth=2
	s_and_saveexec_b64 vcc, s[44:45]
	s_xor_b64 s[30:31], exec, vcc
	s_cbranch_execz .LBB6_2980
; %bb.2194:                             ;   in Loop: Header=BB6_2119 Depth=2
	s_and_saveexec_b64 s[34:35], s[16:17]
	s_cbranch_execz .LBB6_2979
; %bb.2195:                             ;   in Loop: Header=BB6_2119 Depth=2
	s_mov_b64 s[66:67], exec
	v_mbcnt_lo_u32_b32 v1, s66, 0
	v_mbcnt_hi_u32_b32 v1, s67, v1
	v_cmp_eq_u32_e32 vcc, 0, v1
	s_waitcnt vmcnt(0) lgkmcnt(0)
	buffer_wbinvl1_vol
	s_and_saveexec_b64 s[64:65], vcc
	s_cbranch_execz .LBB6_2197
; %bb.2196:                             ;   in Loop: Header=BB6_2119 Depth=2
	s_bcnt1_i32_b64 vcc_lo, s[66:67]
	v_mov_b32_e32 v26, vcc_lo
	ds_add_u64 v0, v[26:27]
	s_trap 2
.LBB6_2197:                             ;   in Loop: Header=BB6_2119 Depth=2
	s_or_b64 exec, exec, s[64:65]
	s_trap 2
	ds_read_b64 v[2:3], v0
	v_accvgpr_read_b32 v4, a16
	v_accvgpr_read_b32 v0, a26
	;; [unrolled: 1-line block ×3, first 2 shown]
	v_add_co_u32_e32 v4, vcc, v4, v0
	v_addc_co_u32_e32 v5, vcc, 0, v5, vcc
	v_accvgpr_write_b32 a17, v5
	v_accvgpr_write_b32 a16, v4
	s_waitcnt lgkmcnt(0)
	v_cmp_lt_u64_e32 vcc, v[2:3], v[4:5]
	s_and_saveexec_b64 s[64:65], vcc
	s_cbranch_execz .LBB6_2978
; %bb.2198:                             ;   in Loop: Header=BB6_2119 Depth=2
	s_mov_b32 s83, 0
	s_mov_b64 s[66:67], 0
                                        ; implicit-def: $sgpr68_sgpr69
                                        ; implicit-def: $sgpr70_sgpr71
	s_branch .LBB6_2200
.LBB6_2199:                             ;   in Loop: Header=BB6_2200 Depth=3
	s_or_b64 exec, exec, s[74:75]
	s_and_b64 vcc, exec, vcc
	s_or_b64 s[66:67], vcc, s[66:67]
	s_andn2_b64 vcc, s[68:69], exec
	s_and_b64 s[68:69], s[70:71], exec
	s_or_b64 s[68:69], vcc, s[68:69]
	s_andn2_b64 exec, exec, s[66:67]
	s_cbranch_execz .LBB6_2976
.LBB6_2200:                             ;   Parent Loop BB6_47 Depth=1
                                        ;     Parent Loop BB6_2119 Depth=2
                                        ; =>    This Inner Loop Header: Depth=3
	s_add_i32 s83, s83, 1
	s_cmpk_lg_i32 s83, 0x2710
	s_cselect_b64 s[72:73], -1, 0
	s_and_b64 vcc, exec, s[72:73]
                                        ; implicit-def: $sgpr74_sgpr75
	s_cbranch_vccnz .LBB6_2202
; %bb.2201:                             ;   in Loop: Header=BB6_2200 Depth=3
	s_trap 2
	ds_read_b64 v[2:3], v0
	s_andn2_b64 s[72:73], s[72:73], exec
	s_mov_b32 s83, 0
	s_mov_b64 s[74:75], -1
	s_waitcnt lgkmcnt(0)
	flat_load_dword v1, v[2:3] glc
	s_waitcnt vmcnt(0) lgkmcnt(0)
	buffer_invl2
	buffer_wbinvl1_vol
	v_cmp_eq_u32_e32 vcc, 0, v1
	s_and_b64 vcc, vcc, exec
	s_or_b64 s[72:73], s[72:73], vcc
.LBB6_2202:                             ;   in Loop: Header=BB6_2200 Depth=3
	s_andn2_b64 s[70:71], s[70:71], exec
	s_and_b64 s[74:75], s[74:75], exec
	s_mov_b64 vcc, -1
	s_or_b64 s[70:71], s[70:71], s[74:75]
	s_and_saveexec_b64 s[74:75], s[72:73]
	s_cbranch_execz .LBB6_2199
; %bb.2203:                             ;   in Loop: Header=BB6_2200 Depth=3
	s_sleep 1
	s_trap 2
	ds_read_b64 v[2:3], v0
	v_accvgpr_read_b32 v4, a16
	v_accvgpr_read_b32 v5, a17
	s_andn2_b64 s[70:71], s[70:71], exec
	s_waitcnt lgkmcnt(0)
	v_cmp_ge_u64_e32 vcc, v[2:3], v[4:5]
	s_orn2_b64 vcc, vcc, exec
	s_branch .LBB6_2199
.LBB6_2204:                             ;   in Loop: Header=BB6_2119 Depth=2
	s_cbranch_execnz .LBB6_3893
	s_branch .LBB6_2192
.LBB6_2205:                             ;   in Loop: Header=BB6_2119 Depth=2
	v_ashrrev_i32_e32 v1, 31, v34
	v_lshrrev_b32_e32 v1, 21, v1
	v_add_u32_e32 v1, v34, v1
	v_ashrrev_i32_e32 v1, 11, v1
	v_accvgpr_read_b32 v0, a33
	v_sub_u32_e32 v46, v1, v0
	v_accvgpr_write_b32 a57, v33
	v_accvgpr_write_b32 a61, v34
	v_cmp_lt_i32_e32 vcc, 0, v46
	s_and_saveexec_b64 s[30:31], vcc
	s_cbranch_execz .LBB6_3011
; %bb.2206:                             ;   in Loop: Header=BB6_2119 Depth=2
	s_trap 2
	ds_read_b128 v[2:5], v0
	v_accvgpr_read_b32 v0, a48
	v_accvgpr_write_b32 a62, v1
	v_accvgpr_read_b32 v1, a47
	s_mov_b64 s[34:35], 0
	s_waitcnt lgkmcnt(0)
	v_add_co_u32_e32 v24, vcc, v2, v0
	v_addc_co_u32_e32 v25, vcc, v3, v1, vcc
	v_add_co_u32_e32 v40, vcc, v4, v0
	v_addc_co_u32_e32 v41, vcc, v5, v1, vcc
	v_pk_mov_b32 v[4:5], v[24:25], v[24:25] op_sel:[0,1]
	v_pk_mov_b32 v[58:59], v[40:41], v[40:41] op_sel:[0,1]
	s_branch .LBB6_2208
.LBB6_2207:                             ;   in Loop: Header=BB6_2208 Depth=3
	s_or_b64 exec, exec, s[28:29]
	v_lshlrev_b32_e32 v6, 8, v28
	v_perm_b32 v6, v6, v47, s94
	v_lshl_or_b32 v6, v45, 16, v6
	v_lshl_or_b32 v51, v21, 24, v6
	v_and_b32_e32 v6, 0xff, v42
	v_lshlrev_b32_e32 v9, 8, v33
	v_lshlrev_b32_e32 v7, 24, v34
	;; [unrolled: 1-line block ×3, first 2 shown]
	v_perm_b32 v9, v9, v55, s94
	v_or3_b32 v50, v7, v6, v9
	v_and_b32_e32 v6, 0xff, v53
	v_lshlrev_b32_e32 v9, 8, v52
	v_lshlrev_b32_e32 v7, 24, v38
	;; [unrolled: 1-line block ×3, first 2 shown]
	v_perm_b32 v9, v9, v30, s94
	v_or3_b32 v52, v7, v6, v9
	v_lshlrev_b32_e32 v6, 8, v20
	v_perm_b32 v3, v6, v3, s94
	v_lshl_or_b32 v2, v2, 16, v3
	v_lshl_or_b32 v53, v1, 24, v2
	v_lshlrev_b32_e32 v1, 8, v18
	v_perm_b32 v1, v1, v56, s94
	v_lshl_or_b32 v1, v16, 16, v1
	v_lshl_or_b32 v15, v13, 24, v1
	v_and_b32_e32 v1, 0xff, v23
	v_lshlrev_b32_e32 v3, 8, v22
	v_lshlrev_b32_e32 v2, 24, v44
	;; [unrolled: 1-line block ×3, first 2 shown]
	v_perm_b32 v3, v3, v19, s94
	v_or3_b32 v14, v2, v1, v3
	v_and_b32_e32 v1, 0xff, v54
	v_lshlrev_b32_e32 v3, 8, v57
	v_lshlrev_b32_e32 v2, 24, v39
	;; [unrolled: 1-line block ×3, first 2 shown]
	v_perm_b32 v3, v3, v17, s94
	v_or3_b32 v16, v2, v1, v3
	v_lshlrev_b32_e32 v1, 8, v12
	v_perm_b32 v1, v1, v43, s94
	v_lshl_or_b32 v1, v29, 16, v1
	v_lshl_or_b32 v17, v8, 24, v1
	v_accvgpr_read_b32 v1, a38
	v_add_co_u32_e32 v24, vcc, v24, v1
	v_accvgpr_read_b32 v2, a39
	v_addc_co_u32_e32 v25, vcc, v25, v2, vcc
	v_add_co_u32_e32 v40, vcc, v40, v1
	v_addc_co_u32_e32 v41, vcc, v41, v2, vcc
	global_store_dwordx4 v[4:5], v[50:53], off glc slc
	global_store_dwordx4 v[4:5], v[14:17], off offset:1024 glc slc
	global_store_dwordx4 v[58:59], v[50:53], off glc slc
	global_store_dwordx4 v[58:59], v[14:17], off offset:1024 glc slc
	v_add_co_u32_e32 v4, vcc, v4, v1
	v_accvgpr_read_b32 v0, a26
	v_addc_co_u32_e32 v5, vcc, v5, v2, vcc
	v_sub_u32_e32 v46, v46, v0
	v_cmp_gt_i32_e32 vcc, 1, v46
	s_or_b64 s[34:35], vcc, s[34:35]
	v_add_co_u32_e32 v58, vcc, v58, v1
	v_addc_co_u32_e32 v59, vcc, v59, v2, vcc
	s_andn2_b64 exec, exec, s[34:35]
	s_cbranch_execz .LBB6_3010
.LBB6_2208:                             ;   Parent Loop BB6_47 Depth=1
                                        ;     Parent Loop BB6_2119 Depth=2
                                        ; =>    This Inner Loop Header: Depth=3
	global_load_dwordx4 v[20:23], v[24:25], off glc slc
	global_load_dwordx4 v[12:15], v[24:25], off offset:1024 glc slc
	global_load_dwordx4 v[16:19], v[40:41], off glc slc
	global_load_dwordx4 v[8:11], v[40:41], off offset:1024 glc slc
	v_mov_b32_e32 v1, 0
	v_mov_b32_e32 v2, 0
	s_waitcnt vmcnt(0)
	v_cmp_ne_u16_sdwa vcc, v20, v27 src0_sel:BYTE_0 src1_sel:DWORD
	s_and_saveexec_b64 s[28:29], vcc
	s_cbranch_execz .LBB6_2214
; %bb.2209:                             ;   in Loop: Header=BB6_2208 Depth=3
	v_cmp_ne_u16_sdwa vcc, v20, s91 src0_sel:BYTE_0 src1_sel:DWORD
	v_bfrev_b32_e32 v2, 1
	s_and_saveexec_b64 s[64:65], vcc
	s_cbranch_execz .LBB6_2213
; %bb.2210:                             ;   in Loop: Header=BB6_2208 Depth=3
	v_and_b32_e32 v3, 0x7f, v20
	v_cmp_ne_u32_e32 vcc, s92, v3
	v_mov_b32_e32 v2, 0x7f800001
	s_and_saveexec_b64 s[66:67], vcc
	s_cbranch_execz .LBB6_2212
; %bb.2211:                             ;   in Loop: Header=BB6_2208 Depth=3
	v_and_b32_e32 v2, 7, v20
	v_ffbh_u32_e32 v2, v2
	v_min_u32_e32 v2, 32, v2
	v_lshrrev_b32_e32 v6, 3, v3
	v_subrev_u32_e32 v7, 28, v2
	v_sub_u32_e32 v2, 29, v2
	v_cmp_gt_u32_e32 vcc, 8, v3
	v_cndmask_b32_e32 v6, v6, v2, vcc
	v_cndmask_b32_e32 v2, 0, v7, vcc
	v_lshlrev_b64 v[2:3], v2, v[20:21]
	v_lshlrev_b32_e32 v2, 20, v2
	v_lshlrev_b32_e32 v3, 24, v20
	v_and_b32_e32 v2, 0x700000, v2
	v_and_b32_e32 v3, 0x80000000, v3
	v_lshl_add_u32 v6, v6, 23, v31
	v_or3_b32 v2, v3, v6, v2
.LBB6_2212:                             ;   in Loop: Header=BB6_2208 Depth=3
	s_or_b64 exec, exec, s[66:67]
.LBB6_2213:                             ;   in Loop: Header=BB6_2208 Depth=3
	s_or_b64 exec, exec, s[64:65]
.LBB6_2214:                             ;   in Loop: Header=BB6_2208 Depth=3
	s_or_b64 exec, exec, s[28:29]
	v_cmp_ne_u16_sdwa vcc, v16, v27 src0_sel:BYTE_0 src1_sel:DWORD
	s_and_saveexec_b64 s[28:29], vcc
	s_cbranch_execz .LBB6_2220
; %bb.2215:                             ;   in Loop: Header=BB6_2208 Depth=3
	v_cmp_ne_u16_sdwa vcc, v16, s91 src0_sel:BYTE_0 src1_sel:DWORD
	v_bfrev_b32_e32 v1, 1
	s_and_saveexec_b64 s[64:65], vcc
	s_cbranch_execz .LBB6_2219
; %bb.2216:                             ;   in Loop: Header=BB6_2208 Depth=3
	v_and_b32_e32 v3, 0x7f, v16
	v_cmp_ne_u32_e32 vcc, s92, v3
	v_mov_b32_e32 v1, 0x7f800001
	s_and_saveexec_b64 s[66:67], vcc
	s_cbranch_execz .LBB6_2218
; %bb.2217:                             ;   in Loop: Header=BB6_2208 Depth=3
	v_and_b32_e32 v1, 7, v16
	v_ffbh_u32_e32 v1, v1
	v_min_u32_e32 v1, 32, v1
	v_subrev_u32_e32 v7, 28, v1
	v_cmp_gt_u32_e32 vcc, 8, v3
	v_lshrrev_b32_e32 v6, 3, v3
	v_sub_u32_e32 v1, 29, v1
	v_cndmask_b32_e32 v3, 0, v7, vcc
	v_cndmask_b32_e32 v1, v6, v1, vcc
	v_lshlrev_b64 v[6:7], v3, v[16:17]
	v_lshlrev_b32_e32 v3, 20, v6
	v_lshlrev_b32_e32 v6, 24, v16
	v_and_b32_e32 v3, 0x700000, v3
	v_and_b32_e32 v6, 0x80000000, v6
	v_lshl_add_u32 v1, v1, 23, v31
	v_or3_b32 v1, v6, v1, v3
.LBB6_2218:                             ;   in Loop: Header=BB6_2208 Depth=3
	s_or_b64 exec, exec, s[66:67]
.LBB6_2219:                             ;   in Loop: Header=BB6_2208 Depth=3
	s_or_b64 exec, exec, s[64:65]
.LBB6_2220:                             ;   in Loop: Header=BB6_2208 Depth=3
	s_or_b64 exec, exec, s[28:29]
	v_add_f32_e32 v2, v2, v1
	v_and_b32_sdwa v1, v2, s91 dst_sel:DWORD dst_unused:UNUSED_PAD src0_sel:BYTE_3 src1_sel:DWORD
	v_and_b32_e32 v6, 0x7f800000, v2
	v_mov_b32_e32 v7, v27
	v_and_b32_e32 v26, 0x7fffff, v2
	v_or_b32_e32 v55, 0x7e, v1
	v_cmp_ne_u64_e32 vcc, s[52:53], v[6:7]
	s_and_saveexec_b64 s[28:29], vcc
	s_xor_b64 s[64:65], exec, s[28:29]
	s_cbranch_execz .LBB6_2230
; %bb.2221:                             ;   in Loop: Header=BB6_2208 Depth=3
	v_and_b32_e32 v6, 0x7fffffff, v2
	v_mov_b32_e32 v7, v27
	v_cmp_gt_u64_e32 vcc, s[54:55], v[6:7]
	s_and_saveexec_b64 s[66:67], vcc
	s_cbranch_execz .LBB6_2229
; %bb.2222:                             ;   in Loop: Header=BB6_2208 Depth=3
	v_cmp_ne_u32_e32 vcc, 0, v2
	v_mov_b32_e32 v55, 0
	s_and_saveexec_b64 s[68:69], vcc
	s_cbranch_execz .LBB6_2228
; %bb.2223:                             ;   in Loop: Header=BB6_2208 Depth=3
	v_bfe_u32 v2, v2, 23, 8
	v_sub_u32_e32 v6, 0x79, v2
	v_cmp_gt_u32_e32 vcc, s93, v2
	v_add_u32_e32 v3, 0xffffff81, v2
	v_cndmask_b32_e32 v6, 0, v6, vcc
	v_cmp_eq_u32_e32 vcc, 0, v2
	v_mov_b32_e32 v0, 0xffffff82
	v_cndmask_b32_e32 v30, v3, v0, vcc
	v_mov_b32_e32 v0, 0x78
	v_cndmask_b32_e32 v6, v6, v0, vcc
	v_add_u32_e32 v2, 20, v6
	v_or_b32_e32 v7, 0x800000, v26
	v_lshlrev_b64 v[2:3], v2, -1
	v_cndmask_b32_e32 v26, v7, v26, vcc
	v_not_b32_e32 v2, v2
	v_and_b32_e32 v28, v26, v2
	v_add_u32_e32 v2, 19, v6
	v_lshrrev_b64 v[38:39], v6, v[26:27]
	v_not_b32_e32 v3, v3
	v_lshlrev_b64 v[36:37], v2, 1
	v_lshrrev_b32_e32 v2, 23, v38
	v_and_b32_e32 v29, 0, v3
	v_add3_u32 v6, v6, v30, v2
	v_bfe_u32 v2, v38, 20, 1
	v_add_u32_e32 v2, -1, v2
	v_cmp_eq_u64_e32 vcc, v[28:29], v[36:37]
	v_cndmask_b32_e32 v2, 0, v2, vcc
	v_add_u32_e32 v2, v2, v38
	v_and_b32_e32 v2, 0xfffff, v2
	v_add_co_u32_e32 v52, vcc, v2, v38
	v_add_u32_e32 v3, 6, v6
	v_addc_co_u32_e32 v53, vcc, 0, v39, vcc
	v_cmp_ne_u32_e32 vcc, 0, v3
                                        ; implicit-def: $vgpr2
	s_and_saveexec_b64 s[28:29], vcc
	s_xor_b64 s[28:29], exec, s[28:29]
; %bb.2224:                             ;   in Loop: Header=BB6_2208 Depth=3
	v_add_u32_e32 v2, 7, v6
	v_cmp_lt_u64_e32 vcc, s[56:57], v[52:53]
	v_cndmask_b32_e32 v2, v3, v2, vcc
	v_cndmask_b32_e64 v3, 0, 1, vcc
	v_lshrrev_b64 v[52:53], v3, v[52:53]
; %bb.2225:                             ;   in Loop: Header=BB6_2208 Depth=3
	s_andn2_saveexec_b64 s[28:29], s[28:29]
; %bb.2226:                             ;   in Loop: Header=BB6_2208 Depth=3
	v_bfe_u32 v2, v52, 23, 1
; %bb.2227:                             ;   in Loop: Header=BB6_2208 Depth=3
	s_or_b64 exec, exec, s[28:29]
	v_lshrrev_b64 v[6:7], 20, v[52:53]
	v_cmp_gt_i32_e32 vcc, 16, v2
	v_cndmask_b32_e32 v7, 0, v7, vcc
	v_cndmask_b32_e32 v6, 7, v6, vcc
	v_cmp_eq_u32_e32 vcc, 0, v2
	v_min_i32_e32 v2, 15, v2
	v_cmp_eq_u64_e64 s[28:29], 0, v[6:7]
	v_lshlrev_b32_e32 v2, 3, v2
	v_and_or_b32 v2, v6, 7, v2
	s_and_b64 s[28:29], vcc, s[28:29]
	v_cndmask_b32_e64 v2, v2, 0, s[28:29]
	v_or_b32_e32 v55, v2, v1
.LBB6_2228:                             ;   in Loop: Header=BB6_2208 Depth=3
	s_or_b64 exec, exec, s[68:69]
.LBB6_2229:                             ;   in Loop: Header=BB6_2208 Depth=3
	s_or_b64 exec, exec, s[66:67]
                                        ; implicit-def: $vgpr2
.LBB6_2230:                             ;   in Loop: Header=BB6_2208 Depth=3
	s_andn2_saveexec_b64 s[28:29], s[64:65]
; %bb.2231:                             ;   in Loop: Header=BB6_2208 Depth=3
	v_or_b32_sdwa v1, v2, s92 dst_sel:DWORD dst_unused:UNUSED_PAD src0_sel:BYTE_3 src1_sel:DWORD
	v_cmp_eq_u64_e32 vcc, 0, v[26:27]
	v_cndmask_b32_e32 v55, v1, v55, vcc
; %bb.2232:                             ;   in Loop: Header=BB6_2208 Depth=3
	s_or_b64 exec, exec, s[28:29]
	v_lshrrev_b16_e32 v26, 8, v20
	v_cmp_ne_u16_e32 vcc, 0, v26
	v_mov_b32_e32 v1, 0
	v_mov_b32_e32 v2, 0
	s_and_saveexec_b64 s[28:29], vcc
	s_cbranch_execz .LBB6_2238
; %bb.2233:                             ;   in Loop: Header=BB6_2208 Depth=3
	v_cmp_ne_u16_e32 vcc, s91, v26
	v_bfrev_b32_e32 v2, 1
	s_and_saveexec_b64 s[64:65], vcc
	s_cbranch_execz .LBB6_2237
; %bb.2234:                             ;   in Loop: Header=BB6_2208 Depth=3
	v_and_b32_e32 v3, 0x7f, v26
	v_cmp_ne_u32_e32 vcc, s92, v3
	v_mov_b32_e32 v2, 0x7f800001
	s_and_saveexec_b64 s[66:67], vcc
	s_cbranch_execz .LBB6_2236
; %bb.2235:                             ;   in Loop: Header=BB6_2208 Depth=3
	v_and_b32_e32 v2, 7, v26
	v_ffbh_u32_e32 v6, v2
	v_min_u32_e32 v29, 32, v6
	v_subrev_u32_e32 v6, 28, v29
	v_lshlrev_b64 v[6:7], v6, v[26:27]
	v_lshrrev_b32_e32 v28, 3, v3
	v_sub_u32_e32 v7, 29, v29
	v_and_b32_e32 v6, 7, v6
	v_cmp_gt_u32_e32 vcc, 8, v3
	v_cndmask_b32_e32 v3, v28, v7, vcc
	v_cndmask_b32_e32 v2, v2, v6, vcc
	v_lshlrev_b32_e32 v6, 16, v20
	v_lshlrev_b32_e32 v2, 20, v2
	v_and_b32_e32 v6, 0x80000000, v6
	v_lshl_add_u32 v3, v3, 23, v31
	v_or3_b32 v2, v6, v3, v2
.LBB6_2236:                             ;   in Loop: Header=BB6_2208 Depth=3
	s_or_b64 exec, exec, s[66:67]
.LBB6_2237:                             ;   in Loop: Header=BB6_2208 Depth=3
	s_or_b64 exec, exec, s[64:65]
.LBB6_2238:                             ;   in Loop: Header=BB6_2208 Depth=3
	s_or_b64 exec, exec, s[28:29]
	v_lshrrev_b16_e32 v26, 8, v16
	v_cmp_ne_u16_e32 vcc, 0, v26
	s_and_saveexec_b64 s[28:29], vcc
	s_cbranch_execz .LBB6_2244
; %bb.2239:                             ;   in Loop: Header=BB6_2208 Depth=3
	v_cmp_ne_u16_e32 vcc, s91, v26
	v_bfrev_b32_e32 v1, 1
	s_and_saveexec_b64 s[64:65], vcc
	s_cbranch_execz .LBB6_2243
; %bb.2240:                             ;   in Loop: Header=BB6_2208 Depth=3
	v_and_b32_e32 v3, 0x7f, v26
	v_cmp_ne_u32_e32 vcc, s92, v3
	v_mov_b32_e32 v1, 0x7f800001
	s_and_saveexec_b64 s[66:67], vcc
	s_cbranch_execz .LBB6_2242
; %bb.2241:                             ;   in Loop: Header=BB6_2208 Depth=3
	v_and_b32_e32 v1, 7, v26
	v_ffbh_u32_e32 v6, v1
	v_min_u32_e32 v29, 32, v6
	v_subrev_u32_e32 v6, 28, v29
	v_lshlrev_b64 v[6:7], v6, v[26:27]
	v_lshrrev_b32_e32 v28, 3, v3
	v_sub_u32_e32 v7, 29, v29
	v_and_b32_e32 v6, 7, v6
	v_cmp_gt_u32_e32 vcc, 8, v3
	v_cndmask_b32_e32 v3, v28, v7, vcc
	v_cndmask_b32_e32 v1, v1, v6, vcc
	v_lshlrev_b32_e32 v6, 16, v16
	v_lshlrev_b32_e32 v1, 20, v1
	v_and_b32_e32 v6, 0x80000000, v6
	v_lshl_add_u32 v3, v3, 23, v31
	v_or3_b32 v1, v6, v3, v1
.LBB6_2242:                             ;   in Loop: Header=BB6_2208 Depth=3
	s_or_b64 exec, exec, s[66:67]
.LBB6_2243:                             ;   in Loop: Header=BB6_2208 Depth=3
	s_or_b64 exec, exec, s[64:65]
.LBB6_2244:                             ;   in Loop: Header=BB6_2208 Depth=3
	s_or_b64 exec, exec, s[28:29]
	v_add_f32_e32 v2, v2, v1
	v_and_b32_sdwa v1, v2, s91 dst_sel:DWORD dst_unused:UNUSED_PAD src0_sel:BYTE_3 src1_sel:DWORD
	v_and_b32_e32 v28, 0x7f800000, v2
	v_mov_b32_e32 v29, v27
	v_and_b32_e32 v26, 0x7fffff, v2
	v_or_b32_e32 v33, 0x7e, v1
	v_cmp_ne_u64_e32 vcc, s[52:53], v[28:29]
	s_and_saveexec_b64 s[28:29], vcc
	s_xor_b64 s[64:65], exec, s[28:29]
	s_cbranch_execz .LBB6_2254
; %bb.2245:                             ;   in Loop: Header=BB6_2208 Depth=3
	v_and_b32_e32 v28, 0x7fffffff, v2
	v_mov_b32_e32 v29, v27
	v_cmp_gt_u64_e32 vcc, s[54:55], v[28:29]
	s_and_saveexec_b64 s[66:67], vcc
	s_cbranch_execz .LBB6_2253
; %bb.2246:                             ;   in Loop: Header=BB6_2208 Depth=3
	v_cmp_ne_u32_e32 vcc, 0, v2
	v_mov_b32_e32 v33, 0
	s_and_saveexec_b64 s[68:69], vcc
	s_cbranch_execz .LBB6_2252
; %bb.2247:                             ;   in Loop: Header=BB6_2208 Depth=3
	v_bfe_u32 v2, v2, 23, 8
	v_sub_u32_e32 v6, 0x79, v2
	v_cmp_gt_u32_e32 vcc, s93, v2
	v_add_u32_e32 v3, 0xffffff81, v2
	v_cndmask_b32_e32 v6, 0, v6, vcc
	v_cmp_eq_u32_e32 vcc, 0, v2
	v_mov_b32_e32 v0, 0xffffff82
	v_cndmask_b32_e32 v30, v3, v0, vcc
	v_mov_b32_e32 v0, 0x78
	v_cndmask_b32_e32 v6, v6, v0, vcc
	v_add_u32_e32 v2, 20, v6
	v_or_b32_e32 v7, 0x800000, v26
	v_lshlrev_b64 v[2:3], v2, -1
	v_cndmask_b32_e32 v26, v7, v26, vcc
	v_not_b32_e32 v2, v2
	v_and_b32_e32 v28, v26, v2
	v_add_u32_e32 v2, 19, v6
	v_lshrrev_b64 v[38:39], v6, v[26:27]
	v_not_b32_e32 v3, v3
	v_lshlrev_b64 v[36:37], v2, 1
	v_lshrrev_b32_e32 v2, 23, v38
	v_and_b32_e32 v29, 0, v3
	v_add3_u32 v6, v6, v30, v2
	v_bfe_u32 v2, v38, 20, 1
	v_add_u32_e32 v2, -1, v2
	v_cmp_eq_u64_e32 vcc, v[28:29], v[36:37]
	v_cndmask_b32_e32 v2, 0, v2, vcc
	v_add_u32_e32 v2, v2, v38
	v_and_b32_e32 v2, 0xfffff, v2
	v_add_co_u32_e32 v52, vcc, v2, v38
	v_add_u32_e32 v3, 6, v6
	v_addc_co_u32_e32 v53, vcc, 0, v39, vcc
	v_cmp_ne_u32_e32 vcc, 0, v3
                                        ; implicit-def: $vgpr2
	s_and_saveexec_b64 s[28:29], vcc
	s_xor_b64 s[28:29], exec, s[28:29]
; %bb.2248:                             ;   in Loop: Header=BB6_2208 Depth=3
	v_add_u32_e32 v2, 7, v6
	v_cmp_lt_u64_e32 vcc, s[56:57], v[52:53]
	v_cndmask_b32_e32 v2, v3, v2, vcc
	v_cndmask_b32_e64 v3, 0, 1, vcc
	v_lshrrev_b64 v[52:53], v3, v[52:53]
; %bb.2249:                             ;   in Loop: Header=BB6_2208 Depth=3
	s_andn2_saveexec_b64 s[28:29], s[28:29]
; %bb.2250:                             ;   in Loop: Header=BB6_2208 Depth=3
	v_bfe_u32 v2, v52, 23, 1
; %bb.2251:                             ;   in Loop: Header=BB6_2208 Depth=3
	s_or_b64 exec, exec, s[28:29]
	v_lshrrev_b64 v[6:7], 20, v[52:53]
	v_cmp_gt_i32_e32 vcc, 16, v2
	v_cndmask_b32_e32 v7, 0, v7, vcc
	v_cndmask_b32_e32 v6, 7, v6, vcc
	v_cmp_eq_u32_e32 vcc, 0, v2
	v_min_i32_e32 v2, 15, v2
	v_cmp_eq_u64_e64 s[28:29], 0, v[6:7]
	v_lshlrev_b32_e32 v2, 3, v2
	v_and_or_b32 v2, v6, 7, v2
	s_and_b64 s[28:29], vcc, s[28:29]
	v_cndmask_b32_e64 v2, v2, 0, s[28:29]
	v_or_b32_e32 v33, v2, v1
.LBB6_2252:                             ;   in Loop: Header=BB6_2208 Depth=3
	s_or_b64 exec, exec, s[68:69]
.LBB6_2253:                             ;   in Loop: Header=BB6_2208 Depth=3
	s_or_b64 exec, exec, s[66:67]
                                        ; implicit-def: $vgpr2
.LBB6_2254:                             ;   in Loop: Header=BB6_2208 Depth=3
	s_andn2_saveexec_b64 s[28:29], s[64:65]
; %bb.2255:                             ;   in Loop: Header=BB6_2208 Depth=3
	v_or_b32_sdwa v1, v2, s92 dst_sel:DWORD dst_unused:UNUSED_PAD src0_sel:BYTE_3 src1_sel:DWORD
	v_cmp_eq_u64_e32 vcc, 0, v[26:27]
	v_cndmask_b32_e32 v33, v1, v33, vcc
; %bb.2256:                             ;   in Loop: Header=BB6_2208 Depth=3
	s_or_b64 exec, exec, s[28:29]
	v_lshrrev_b32_e32 v26, 16, v20
	v_cmp_ne_u16_sdwa vcc, v26, v27 src0_sel:BYTE_0 src1_sel:DWORD
	v_mov_b32_e32 v1, 0
	v_mov_b32_e32 v2, 0
	s_and_saveexec_b64 s[28:29], vcc
	s_cbranch_execz .LBB6_2262
; %bb.2257:                             ;   in Loop: Header=BB6_2208 Depth=3
	v_cmp_ne_u16_sdwa vcc, v26, s91 src0_sel:BYTE_0 src1_sel:DWORD
	v_bfrev_b32_e32 v2, 1
	s_and_saveexec_b64 s[64:65], vcc
	s_cbranch_execz .LBB6_2261
; %bb.2258:                             ;   in Loop: Header=BB6_2208 Depth=3
	v_bfe_u32 v3, v20, 16, 7
	v_cmp_ne_u32_e32 vcc, s92, v3
	v_mov_b32_e32 v2, 0x7f800001
	s_and_saveexec_b64 s[66:67], vcc
	s_cbranch_execz .LBB6_2260
; %bb.2259:                             ;   in Loop: Header=BB6_2208 Depth=3
	v_and_b32_e32 v2, 7, v26
	v_ffbh_u32_e32 v7, v2
	v_min_u32_e32 v7, 32, v7
	v_subrev_u32_e32 v28, 28, v7
	v_lshlrev_b64 v[28:29], v28, v[26:27]
	v_lshrrev_b32_e32 v6, 3, v3
	v_sub_u32_e32 v7, 29, v7
	v_and_b32_e32 v28, 7, v28
	v_cmp_gt_u32_e32 vcc, 8, v3
	v_cndmask_b32_e32 v3, v6, v7, vcc
	v_cndmask_b32_e32 v2, v2, v28, vcc
	v_lshlrev_b32_e32 v6, 24, v26
	v_lshlrev_b32_e32 v2, 20, v2
	v_and_b32_e32 v6, 0x80000000, v6
	v_lshl_add_u32 v3, v3, 23, v31
	v_or3_b32 v2, v6, v3, v2
.LBB6_2260:                             ;   in Loop: Header=BB6_2208 Depth=3
	s_or_b64 exec, exec, s[66:67]
.LBB6_2261:                             ;   in Loop: Header=BB6_2208 Depth=3
	s_or_b64 exec, exec, s[64:65]
.LBB6_2262:                             ;   in Loop: Header=BB6_2208 Depth=3
	s_or_b64 exec, exec, s[28:29]
	v_lshrrev_b32_e32 v26, 16, v16
	v_cmp_ne_u16_sdwa vcc, v26, v27 src0_sel:BYTE_0 src1_sel:DWORD
	s_and_saveexec_b64 s[28:29], vcc
	s_cbranch_execz .LBB6_2268
; %bb.2263:                             ;   in Loop: Header=BB6_2208 Depth=3
	v_cmp_ne_u16_sdwa vcc, v26, s91 src0_sel:BYTE_0 src1_sel:DWORD
	v_bfrev_b32_e32 v1, 1
	s_and_saveexec_b64 s[64:65], vcc
	s_cbranch_execz .LBB6_2267
; %bb.2264:                             ;   in Loop: Header=BB6_2208 Depth=3
	v_bfe_u32 v3, v16, 16, 7
	v_cmp_ne_u32_e32 vcc, s92, v3
	v_mov_b32_e32 v1, 0x7f800001
	s_and_saveexec_b64 s[66:67], vcc
	s_cbranch_execz .LBB6_2266
; %bb.2265:                             ;   in Loop: Header=BB6_2208 Depth=3
	v_and_b32_e32 v1, 7, v26
	v_ffbh_u32_e32 v7, v1
	v_min_u32_e32 v7, 32, v7
	v_subrev_u32_e32 v28, 28, v7
	v_lshlrev_b64 v[28:29], v28, v[26:27]
	v_lshrrev_b32_e32 v6, 3, v3
	v_sub_u32_e32 v7, 29, v7
	v_and_b32_e32 v26, 7, v28
	v_cmp_gt_u32_e32 vcc, 8, v3
	v_cndmask_b32_e32 v3, v6, v7, vcc
	v_cndmask_b32_e32 v1, v1, v26, vcc
	v_lshlrev_b32_e32 v6, 8, v16
	v_lshlrev_b32_e32 v1, 20, v1
	v_and_b32_e32 v6, 0x80000000, v6
	v_lshl_add_u32 v3, v3, 23, v31
	v_or3_b32 v1, v6, v3, v1
.LBB6_2266:                             ;   in Loop: Header=BB6_2208 Depth=3
	s_or_b64 exec, exec, s[66:67]
.LBB6_2267:                             ;   in Loop: Header=BB6_2208 Depth=3
	s_or_b64 exec, exec, s[64:65]
.LBB6_2268:                             ;   in Loop: Header=BB6_2208 Depth=3
	s_or_b64 exec, exec, s[28:29]
	v_add_f32_e32 v2, v2, v1
	v_and_b32_sdwa v1, v2, s91 dst_sel:DWORD dst_unused:UNUSED_PAD src0_sel:BYTE_3 src1_sel:DWORD
	v_and_b32_e32 v28, 0x7f800000, v2
	v_mov_b32_e32 v29, v27
	v_and_b32_e32 v26, 0x7fffff, v2
	v_or_b32_e32 v42, 0x7e, v1
	v_cmp_ne_u64_e32 vcc, s[52:53], v[28:29]
	s_and_saveexec_b64 s[28:29], vcc
	s_xor_b64 s[64:65], exec, s[28:29]
	s_cbranch_execz .LBB6_2278
; %bb.2269:                             ;   in Loop: Header=BB6_2208 Depth=3
	v_and_b32_e32 v28, 0x7fffffff, v2
	v_mov_b32_e32 v29, v27
	v_cmp_gt_u64_e32 vcc, s[54:55], v[28:29]
	s_and_saveexec_b64 s[66:67], vcc
	s_cbranch_execz .LBB6_2277
; %bb.2270:                             ;   in Loop: Header=BB6_2208 Depth=3
	v_cmp_ne_u32_e32 vcc, 0, v2
	v_mov_b32_e32 v42, 0
	s_and_saveexec_b64 s[68:69], vcc
	s_cbranch_execz .LBB6_2276
; %bb.2271:                             ;   in Loop: Header=BB6_2208 Depth=3
	v_bfe_u32 v2, v2, 23, 8
	v_sub_u32_e32 v6, 0x79, v2
	v_cmp_gt_u32_e32 vcc, s93, v2
	v_add_u32_e32 v3, 0xffffff81, v2
	v_cndmask_b32_e32 v6, 0, v6, vcc
	v_cmp_eq_u32_e32 vcc, 0, v2
	v_mov_b32_e32 v0, 0xffffff82
	v_cndmask_b32_e32 v30, v3, v0, vcc
	v_mov_b32_e32 v0, 0x78
	v_cndmask_b32_e32 v6, v6, v0, vcc
	v_add_u32_e32 v2, 20, v6
	v_or_b32_e32 v7, 0x800000, v26
	v_lshlrev_b64 v[2:3], v2, -1
	v_cndmask_b32_e32 v26, v7, v26, vcc
	v_not_b32_e32 v2, v2
	v_and_b32_e32 v28, v26, v2
	v_add_u32_e32 v2, 19, v6
	v_lshrrev_b64 v[38:39], v6, v[26:27]
	v_not_b32_e32 v3, v3
	v_lshlrev_b64 v[36:37], v2, 1
	v_lshrrev_b32_e32 v2, 23, v38
	v_and_b32_e32 v29, 0, v3
	v_add3_u32 v7, v6, v30, v2
	v_bfe_u32 v2, v38, 20, 1
	v_add_u32_e32 v2, -1, v2
	v_cmp_eq_u64_e32 vcc, v[28:29], v[36:37]
	v_cndmask_b32_e32 v2, 0, v2, vcc
	v_add_u32_e32 v2, v2, v38
	v_and_b32_e32 v2, 0xfffff, v2
	v_add_co_u32_e32 v52, vcc, v2, v38
	v_add_u32_e32 v3, 6, v7
	v_addc_co_u32_e32 v53, vcc, 0, v39, vcc
	v_cmp_ne_u32_e32 vcc, 0, v3
                                        ; implicit-def: $vgpr2
	s_and_saveexec_b64 s[28:29], vcc
	s_xor_b64 s[28:29], exec, s[28:29]
; %bb.2272:                             ;   in Loop: Header=BB6_2208 Depth=3
	v_add_u32_e32 v2, 7, v7
	v_cmp_lt_u64_e32 vcc, s[56:57], v[52:53]
	v_cndmask_b32_e32 v2, v3, v2, vcc
	v_cndmask_b32_e64 v3, 0, 1, vcc
	v_lshrrev_b64 v[52:53], v3, v[52:53]
; %bb.2273:                             ;   in Loop: Header=BB6_2208 Depth=3
	s_andn2_saveexec_b64 s[28:29], s[28:29]
; %bb.2274:                             ;   in Loop: Header=BB6_2208 Depth=3
	v_bfe_u32 v2, v52, 23, 1
; %bb.2275:                             ;   in Loop: Header=BB6_2208 Depth=3
	s_or_b64 exec, exec, s[28:29]
	v_lshrrev_b64 v[28:29], 20, v[52:53]
	v_cmp_gt_i32_e32 vcc, 16, v2
	v_cndmask_b32_e32 v29, 0, v29, vcc
	v_cndmask_b32_e32 v28, 7, v28, vcc
	v_cmp_eq_u32_e32 vcc, 0, v2
	v_min_i32_e32 v2, 15, v2
	v_cmp_eq_u64_e64 s[28:29], 0, v[28:29]
	v_lshlrev_b32_e32 v2, 3, v2
	v_and_or_b32 v2, v28, 7, v2
	s_and_b64 s[28:29], vcc, s[28:29]
	v_cndmask_b32_e64 v2, v2, 0, s[28:29]
	v_or_b32_e32 v42, v2, v1
.LBB6_2276:                             ;   in Loop: Header=BB6_2208 Depth=3
	s_or_b64 exec, exec, s[68:69]
.LBB6_2277:                             ;   in Loop: Header=BB6_2208 Depth=3
	s_or_b64 exec, exec, s[66:67]
                                        ; implicit-def: $vgpr2
.LBB6_2278:                             ;   in Loop: Header=BB6_2208 Depth=3
	s_andn2_saveexec_b64 s[28:29], s[64:65]
; %bb.2279:                             ;   in Loop: Header=BB6_2208 Depth=3
	v_or_b32_sdwa v1, v2, s92 dst_sel:DWORD dst_unused:UNUSED_PAD src0_sel:BYTE_3 src1_sel:DWORD
	v_cmp_eq_u64_e32 vcc, 0, v[26:27]
	v_cndmask_b32_e32 v42, v1, v42, vcc
; %bb.2280:                             ;   in Loop: Header=BB6_2208 Depth=3
	s_or_b64 exec, exec, s[28:29]
	v_cmp_lt_u32_e32 vcc, s43, v20
	v_mov_b32_e32 v1, 0
	v_mov_b32_e32 v2, 0
	s_and_saveexec_b64 s[28:29], vcc
	s_cbranch_execz .LBB6_2286
; %bb.2281:                             ;   in Loop: Header=BB6_2208 Depth=3
	v_lshrrev_b32_e32 v26, 24, v20
	v_cmp_ne_u32_e32 vcc, s91, v26
	v_bfrev_b32_e32 v2, 1
	s_and_saveexec_b64 s[64:65], vcc
	s_cbranch_execz .LBB6_2285
; %bb.2282:                             ;   in Loop: Header=BB6_2208 Depth=3
	v_bfe_u32 v3, v20, 24, 7
	v_cmp_ne_u32_e32 vcc, s92, v3
	v_mov_b32_e32 v2, 0x7f800001
	s_and_saveexec_b64 s[66:67], vcc
	s_cbranch_execz .LBB6_2284
; %bb.2283:                             ;   in Loop: Header=BB6_2208 Depth=3
	v_and_b32_e32 v2, 7, v26
	v_ffbh_u32_e32 v7, v2
	v_min_u32_e32 v7, 32, v7
	v_subrev_u32_e32 v28, 28, v7
	v_lshlrev_b64 v[28:29], v28, v[26:27]
	v_lshrrev_b32_e32 v6, 3, v3
	v_sub_u32_e32 v7, 29, v7
	v_and_b32_e32 v28, 7, v28
	v_cmp_gt_u32_e32 vcc, 8, v3
	v_cndmask_b32_e32 v3, v6, v7, vcc
	v_cndmask_b32_e32 v2, v2, v28, vcc
	v_lshlrev_b32_e32 v6, 24, v26
	v_lshlrev_b32_e32 v2, 20, v2
	v_and_b32_e32 v6, 0x80000000, v6
	v_lshl_add_u32 v3, v3, 23, v31
	v_or3_b32 v2, v6, v3, v2
.LBB6_2284:                             ;   in Loop: Header=BB6_2208 Depth=3
	s_or_b64 exec, exec, s[66:67]
.LBB6_2285:                             ;   in Loop: Header=BB6_2208 Depth=3
	s_or_b64 exec, exec, s[64:65]
.LBB6_2286:                             ;   in Loop: Header=BB6_2208 Depth=3
	s_or_b64 exec, exec, s[28:29]
	v_cmp_lt_u32_e32 vcc, s43, v16
	s_and_saveexec_b64 s[28:29], vcc
	s_cbranch_execz .LBB6_2292
; %bb.2287:                             ;   in Loop: Header=BB6_2208 Depth=3
	v_lshrrev_b32_e32 v26, 24, v16
	v_cmp_ne_u32_e32 vcc, s91, v26
	v_bfrev_b32_e32 v1, 1
	s_and_saveexec_b64 s[64:65], vcc
	s_cbranch_execz .LBB6_2291
; %bb.2288:                             ;   in Loop: Header=BB6_2208 Depth=3
	v_bfe_u32 v3, v16, 24, 7
	v_cmp_ne_u32_e32 vcc, s92, v3
	v_mov_b32_e32 v1, 0x7f800001
	s_and_saveexec_b64 s[66:67], vcc
	s_cbranch_execz .LBB6_2290
; %bb.2289:                             ;   in Loop: Header=BB6_2208 Depth=3
	v_and_b32_e32 v1, 7, v26
	v_ffbh_u32_e32 v7, v1
	v_min_u32_e32 v7, 32, v7
	v_subrev_u32_e32 v28, 28, v7
	v_lshlrev_b64 v[28:29], v28, v[26:27]
	v_lshrrev_b32_e32 v6, 3, v3
	v_sub_u32_e32 v7, 29, v7
	v_and_b32_e32 v28, 7, v28
	v_cmp_gt_u32_e32 vcc, 8, v3
	v_cndmask_b32_e32 v3, v6, v7, vcc
	v_cndmask_b32_e32 v1, v1, v28, vcc
	v_lshlrev_b32_e32 v6, 24, v26
	v_lshlrev_b32_e32 v1, 20, v1
	v_and_b32_e32 v6, 0x80000000, v6
	v_lshl_add_u32 v3, v3, 23, v31
	v_or3_b32 v1, v6, v3, v1
.LBB6_2290:                             ;   in Loop: Header=BB6_2208 Depth=3
	s_or_b64 exec, exec, s[66:67]
.LBB6_2291:                             ;   in Loop: Header=BB6_2208 Depth=3
	s_or_b64 exec, exec, s[64:65]
.LBB6_2292:                             ;   in Loop: Header=BB6_2208 Depth=3
	s_or_b64 exec, exec, s[28:29]
	v_add_f32_e32 v2, v2, v1
	v_and_b32_sdwa v1, v2, s91 dst_sel:DWORD dst_unused:UNUSED_PAD src0_sel:BYTE_3 src1_sel:DWORD
	v_and_b32_e32 v28, 0x7f800000, v2
	v_mov_b32_e32 v29, v27
	v_and_b32_e32 v26, 0x7fffff, v2
	v_or_b32_e32 v34, 0x7e, v1
	v_cmp_ne_u64_e32 vcc, s[52:53], v[28:29]
	s_and_saveexec_b64 s[28:29], vcc
	s_xor_b64 s[64:65], exec, s[28:29]
	s_cbranch_execz .LBB6_2302
; %bb.2293:                             ;   in Loop: Header=BB6_2208 Depth=3
	v_and_b32_e32 v28, 0x7fffffff, v2
	v_mov_b32_e32 v29, v27
	v_cmp_gt_u64_e32 vcc, s[54:55], v[28:29]
	s_and_saveexec_b64 s[66:67], vcc
	s_cbranch_execz .LBB6_2301
; %bb.2294:                             ;   in Loop: Header=BB6_2208 Depth=3
	v_cmp_ne_u32_e32 vcc, 0, v2
	v_mov_b32_e32 v34, 0
	s_and_saveexec_b64 s[68:69], vcc
	s_cbranch_execz .LBB6_2300
; %bb.2295:                             ;   in Loop: Header=BB6_2208 Depth=3
	v_bfe_u32 v2, v2, 23, 8
	v_sub_u32_e32 v6, 0x79, v2
	v_cmp_gt_u32_e32 vcc, s93, v2
	v_add_u32_e32 v3, 0xffffff81, v2
	v_cndmask_b32_e32 v6, 0, v6, vcc
	v_cmp_eq_u32_e32 vcc, 0, v2
	v_mov_b32_e32 v0, 0xffffff82
	v_cndmask_b32_e32 v30, v3, v0, vcc
	v_mov_b32_e32 v0, 0x78
	v_cndmask_b32_e32 v6, v6, v0, vcc
	v_add_u32_e32 v2, 20, v6
	v_or_b32_e32 v7, 0x800000, v26
	v_lshlrev_b64 v[2:3], v2, -1
	v_cndmask_b32_e32 v26, v7, v26, vcc
	v_not_b32_e32 v2, v2
	v_and_b32_e32 v28, v26, v2
	v_add_u32_e32 v2, 19, v6
	v_lshrrev_b64 v[38:39], v6, v[26:27]
	v_not_b32_e32 v3, v3
	v_lshlrev_b64 v[36:37], v2, 1
	v_lshrrev_b32_e32 v2, 23, v38
	v_and_b32_e32 v29, 0, v3
	v_add3_u32 v26, v6, v30, v2
	v_bfe_u32 v2, v38, 20, 1
	v_add_u32_e32 v2, -1, v2
	v_cmp_eq_u64_e32 vcc, v[28:29], v[36:37]
	v_cndmask_b32_e32 v2, 0, v2, vcc
	v_add_u32_e32 v2, v2, v38
	v_and_b32_e32 v2, 0xfffff, v2
	v_add_co_u32_e32 v52, vcc, v2, v38
	v_add_u32_e32 v3, 6, v26
	v_addc_co_u32_e32 v53, vcc, 0, v39, vcc
	v_cmp_ne_u32_e32 vcc, 0, v3
                                        ; implicit-def: $vgpr2
	s_and_saveexec_b64 s[28:29], vcc
	s_xor_b64 s[28:29], exec, s[28:29]
; %bb.2296:                             ;   in Loop: Header=BB6_2208 Depth=3
	v_add_u32_e32 v2, 7, v26
	v_cmp_lt_u64_e32 vcc, s[56:57], v[52:53]
	v_cndmask_b32_e32 v2, v3, v2, vcc
	v_cndmask_b32_e64 v3, 0, 1, vcc
	v_lshrrev_b64 v[52:53], v3, v[52:53]
; %bb.2297:                             ;   in Loop: Header=BB6_2208 Depth=3
	s_andn2_saveexec_b64 s[28:29], s[28:29]
; %bb.2298:                             ;   in Loop: Header=BB6_2208 Depth=3
	v_bfe_u32 v2, v52, 23, 1
; %bb.2299:                             ;   in Loop: Header=BB6_2208 Depth=3
	s_or_b64 exec, exec, s[28:29]
	v_lshrrev_b64 v[28:29], 20, v[52:53]
	v_cmp_gt_i32_e32 vcc, 16, v2
	v_cndmask_b32_e32 v29, 0, v29, vcc
	v_cndmask_b32_e32 v28, 7, v28, vcc
	v_cmp_eq_u32_e32 vcc, 0, v2
	v_min_i32_e32 v2, 15, v2
	v_cmp_eq_u64_e64 s[28:29], 0, v[28:29]
	v_lshlrev_b32_e32 v2, 3, v2
	v_and_or_b32 v2, v28, 7, v2
	s_and_b64 s[28:29], vcc, s[28:29]
	v_cndmask_b32_e64 v2, v2, 0, s[28:29]
	v_or_b32_e32 v34, v2, v1
.LBB6_2300:                             ;   in Loop: Header=BB6_2208 Depth=3
	s_or_b64 exec, exec, s[68:69]
.LBB6_2301:                             ;   in Loop: Header=BB6_2208 Depth=3
	s_or_b64 exec, exec, s[66:67]
                                        ; implicit-def: $vgpr2
.LBB6_2302:                             ;   in Loop: Header=BB6_2208 Depth=3
	s_andn2_saveexec_b64 s[28:29], s[64:65]
; %bb.2303:                             ;   in Loop: Header=BB6_2208 Depth=3
	v_or_b32_sdwa v1, v2, s92 dst_sel:DWORD dst_unused:UNUSED_PAD src0_sel:BYTE_3 src1_sel:DWORD
	v_cmp_eq_u64_e32 vcc, 0, v[26:27]
	v_cndmask_b32_e32 v34, v1, v34, vcc
; %bb.2304:                             ;   in Loop: Header=BB6_2208 Depth=3
	s_or_b64 exec, exec, s[28:29]
	v_mov_b32_e32 v26, v21
	v_cmp_ne_u16_sdwa vcc, v21, v27 src0_sel:BYTE_0 src1_sel:DWORD
	v_mov_b32_e32 v2, 0
	v_mov_b32_e32 v1, 0
	s_and_saveexec_b64 s[28:29], vcc
	s_cbranch_execz .LBB6_2310
; %bb.2305:                             ;   in Loop: Header=BB6_2208 Depth=3
	v_cmp_ne_u16_sdwa vcc, v21, s91 src0_sel:BYTE_0 src1_sel:DWORD
	v_bfrev_b32_e32 v1, 1
	s_and_saveexec_b64 s[64:65], vcc
	s_cbranch_execz .LBB6_2309
; %bb.2306:                             ;   in Loop: Header=BB6_2208 Depth=3
	v_and_b32_e32 v3, 0x7f, v21
	v_cmp_ne_u32_e32 vcc, s92, v3
	v_mov_b32_e32 v1, 0x7f800001
	s_and_saveexec_b64 s[66:67], vcc
	s_cbranch_execz .LBB6_2308
; %bb.2307:                             ;   in Loop: Header=BB6_2208 Depth=3
	v_and_b32_e32 v1, 7, v21
	v_ffbh_u32_e32 v1, v1
	v_min_u32_e32 v1, 32, v1
	v_subrev_u32_e32 v7, 28, v1
	v_cmp_gt_u32_e32 vcc, 8, v3
	v_lshrrev_b32_e32 v6, 3, v3
	v_cndmask_b32_e32 v3, 0, v7, vcc
	v_sub_u32_e32 v1, 29, v1
	v_lshlrev_b64 v[28:29], v3, v[26:27]
	v_cndmask_b32_e32 v1, v6, v1, vcc
	v_lshlrev_b32_e32 v3, 20, v28
	v_lshlrev_b32_e32 v6, 24, v26
	v_and_b32_e32 v3, 0x700000, v3
	v_and_b32_e32 v6, 0x80000000, v6
	v_lshl_add_u32 v1, v1, 23, v31
	v_or3_b32 v1, v6, v1, v3
.LBB6_2308:                             ;   in Loop: Header=BB6_2208 Depth=3
	s_or_b64 exec, exec, s[66:67]
.LBB6_2309:                             ;   in Loop: Header=BB6_2208 Depth=3
	s_or_b64 exec, exec, s[64:65]
.LBB6_2310:                             ;   in Loop: Header=BB6_2208 Depth=3
	s_or_b64 exec, exec, s[28:29]
	v_cmp_ne_u16_sdwa vcc, v17, v27 src0_sel:BYTE_0 src1_sel:DWORD
	s_and_saveexec_b64 s[28:29], vcc
	s_cbranch_execz .LBB6_2316
; %bb.2311:                             ;   in Loop: Header=BB6_2208 Depth=3
	v_cmp_ne_u16_sdwa vcc, v17, s91 src0_sel:BYTE_0 src1_sel:DWORD
	v_bfrev_b32_e32 v2, 1
	s_and_saveexec_b64 s[64:65], vcc
	s_cbranch_execz .LBB6_2315
; %bb.2312:                             ;   in Loop: Header=BB6_2208 Depth=3
	v_and_b32_e32 v3, 0x7f, v17
	v_cmp_ne_u32_e32 vcc, s92, v3
	v_mov_b32_e32 v2, 0x7f800001
	s_and_saveexec_b64 s[66:67], vcc
	s_cbranch_execz .LBB6_2314
; %bb.2313:                             ;   in Loop: Header=BB6_2208 Depth=3
	v_and_b32_e32 v2, 7, v17
	v_ffbh_u32_e32 v2, v2
	v_min_u32_e32 v2, 32, v2
	v_lshrrev_b32_e32 v6, 3, v3
	v_subrev_u32_e32 v7, 28, v2
	v_sub_u32_e32 v2, 29, v2
	v_cmp_gt_u32_e32 vcc, 8, v3
	v_mov_b32_e32 v28, v17
	v_mov_b32_e32 v29, v27
	v_cndmask_b32_e32 v6, v6, v2, vcc
	v_cndmask_b32_e32 v2, 0, v7, vcc
	v_lshlrev_b64 v[2:3], v2, v[28:29]
	v_lshlrev_b32_e32 v2, 20, v2
	v_lshlrev_b32_e32 v3, 24, v28
	v_and_b32_e32 v2, 0x700000, v2
	v_and_b32_e32 v3, 0x80000000, v3
	v_lshl_add_u32 v6, v6, 23, v31
	v_or3_b32 v2, v3, v6, v2
.LBB6_2314:                             ;   in Loop: Header=BB6_2208 Depth=3
	s_or_b64 exec, exec, s[66:67]
.LBB6_2315:                             ;   in Loop: Header=BB6_2208 Depth=3
	s_or_b64 exec, exec, s[64:65]
.LBB6_2316:                             ;   in Loop: Header=BB6_2208 Depth=3
	s_or_b64 exec, exec, s[28:29]
	v_add_f32_e32 v2, v1, v2
	v_and_b32_sdwa v1, v2, s91 dst_sel:DWORD dst_unused:UNUSED_PAD src0_sel:BYTE_3 src1_sel:DWORD
	v_and_b32_e32 v28, 0x7f800000, v2
	v_mov_b32_e32 v29, v27
	v_and_b32_e32 v52, 0x7fffff, v2
	v_mov_b32_e32 v53, v27
	v_or_b32_e32 v47, 0x7e, v1
	v_cmp_ne_u64_e32 vcc, s[52:53], v[28:29]
	s_and_saveexec_b64 s[28:29], vcc
	s_xor_b64 s[64:65], exec, s[28:29]
	s_cbranch_execz .LBB6_2326
; %bb.2317:                             ;   in Loop: Header=BB6_2208 Depth=3
	v_and_b32_e32 v28, 0x7fffffff, v2
	v_mov_b32_e32 v29, v27
	v_cmp_gt_u64_e32 vcc, s[54:55], v[28:29]
	s_and_saveexec_b64 s[66:67], vcc
	s_cbranch_execz .LBB6_2325
; %bb.2318:                             ;   in Loop: Header=BB6_2208 Depth=3
	v_cmp_ne_u32_e32 vcc, 0, v2
	v_mov_b32_e32 v47, 0
	s_and_saveexec_b64 s[68:69], vcc
	s_cbranch_execz .LBB6_2324
; %bb.2319:                             ;   in Loop: Header=BB6_2208 Depth=3
	v_bfe_u32 v2, v2, 23, 8
	v_sub_u32_e32 v6, 0x79, v2
	v_cmp_gt_u32_e32 vcc, s93, v2
	v_add_u32_e32 v3, 0xffffff81, v2
	v_cndmask_b32_e32 v6, 0, v6, vcc
	v_cmp_eq_u32_e32 vcc, 0, v2
	v_mov_b32_e32 v0, 0xffffff82
	v_cndmask_b32_e32 v28, v3, v0, vcc
	v_mov_b32_e32 v0, 0x78
	v_cndmask_b32_e32 v6, v6, v0, vcc
	v_add_u32_e32 v2, 20, v6
	v_or_b32_e32 v7, 0x800000, v52
	v_lshlrev_b64 v[2:3], v2, -1
	v_cndmask_b32_e32 v52, v7, v52, vcc
	v_not_b32_e32 v2, v2
	v_and_b32_e32 v36, v52, v2
	v_add_u32_e32 v2, 19, v6
	v_lshrrev_b64 v[50:51], v6, v[52:53]
	v_not_b32_e32 v3, v3
	v_lshlrev_b64 v[38:39], v2, 1
	v_lshrrev_b32_e32 v2, 23, v50
	v_and_b32_e32 v37, 0, v3
	v_add3_u32 v28, v6, v28, v2
	v_bfe_u32 v2, v50, 20, 1
	v_add_u32_e32 v2, -1, v2
	v_cmp_eq_u64_e32 vcc, v[36:37], v[38:39]
	v_cndmask_b32_e32 v2, 0, v2, vcc
	v_add_u32_e32 v2, v2, v50
	v_and_b32_e32 v2, 0xfffff, v2
	v_add_co_u32_e32 v52, vcc, v2, v50
	v_add_u32_e32 v3, 6, v28
	v_addc_co_u32_e32 v53, vcc, 0, v51, vcc
	v_cmp_ne_u32_e32 vcc, 0, v3
                                        ; implicit-def: $vgpr2
	s_and_saveexec_b64 s[28:29], vcc
	s_xor_b64 s[28:29], exec, s[28:29]
; %bb.2320:                             ;   in Loop: Header=BB6_2208 Depth=3
	v_add_u32_e32 v2, 7, v28
	v_cmp_lt_u64_e32 vcc, s[56:57], v[52:53]
	v_cndmask_b32_e32 v2, v3, v2, vcc
	v_cndmask_b32_e64 v3, 0, 1, vcc
	v_lshrrev_b64 v[52:53], v3, v[52:53]
; %bb.2321:                             ;   in Loop: Header=BB6_2208 Depth=3
	s_andn2_saveexec_b64 s[28:29], s[28:29]
; %bb.2322:                             ;   in Loop: Header=BB6_2208 Depth=3
	v_bfe_u32 v2, v52, 23, 1
; %bb.2323:                             ;   in Loop: Header=BB6_2208 Depth=3
	s_or_b64 exec, exec, s[28:29]
	v_lshrrev_b64 v[28:29], 20, v[52:53]
	v_cmp_gt_i32_e32 vcc, 16, v2
	v_cndmask_b32_e32 v29, 0, v29, vcc
	v_cndmask_b32_e32 v28, 7, v28, vcc
	v_cmp_eq_u32_e32 vcc, 0, v2
	v_min_i32_e32 v2, 15, v2
	v_cmp_eq_u64_e64 s[28:29], 0, v[28:29]
	v_lshlrev_b32_e32 v2, 3, v2
	v_and_or_b32 v2, v28, 7, v2
	s_and_b64 s[28:29], vcc, s[28:29]
	v_cndmask_b32_e64 v2, v2, 0, s[28:29]
	v_or_b32_e32 v47, v2, v1
.LBB6_2324:                             ;   in Loop: Header=BB6_2208 Depth=3
	s_or_b64 exec, exec, s[68:69]
.LBB6_2325:                             ;   in Loop: Header=BB6_2208 Depth=3
	s_or_b64 exec, exec, s[66:67]
                                        ; implicit-def: $vgpr2
                                        ; implicit-def: $vgpr52_vgpr53
.LBB6_2326:                             ;   in Loop: Header=BB6_2208 Depth=3
	s_andn2_saveexec_b64 s[28:29], s[64:65]
; %bb.2327:                             ;   in Loop: Header=BB6_2208 Depth=3
	v_or_b32_sdwa v1, v2, s92 dst_sel:DWORD dst_unused:UNUSED_PAD src0_sel:BYTE_3 src1_sel:DWORD
	v_cmp_eq_u64_e32 vcc, 0, v[52:53]
	v_cndmask_b32_e32 v47, v1, v47, vcc
; %bb.2328:                             ;   in Loop: Header=BB6_2208 Depth=3
	s_or_b64 exec, exec, s[28:29]
	v_lshrrev_b16_e32 v52, 8, v26
	v_cmp_ne_u16_e32 vcc, 0, v52
	v_mov_b32_e32 v1, 0
	v_mov_b32_e32 v2, 0
	s_and_saveexec_b64 s[28:29], vcc
	s_cbranch_execz .LBB6_2334
; %bb.2329:                             ;   in Loop: Header=BB6_2208 Depth=3
	v_cmp_ne_u16_e32 vcc, s91, v52
	v_bfrev_b32_e32 v2, 1
	s_and_saveexec_b64 s[64:65], vcc
	s_cbranch_execz .LBB6_2333
; %bb.2330:                             ;   in Loop: Header=BB6_2208 Depth=3
	v_and_b32_e32 v3, 0x7f, v52
	v_cmp_ne_u32_e32 vcc, s92, v3
	v_mov_b32_e32 v2, 0x7f800001
	s_and_saveexec_b64 s[66:67], vcc
	s_cbranch_execz .LBB6_2332
; %bb.2331:                             ;   in Loop: Header=BB6_2208 Depth=3
	v_and_b32_e32 v2, 7, v52
	v_ffbh_u32_e32 v7, v2
	v_min_u32_e32 v7, 32, v7
	v_subrev_u32_e32 v28, 28, v7
	v_lshlrev_b64 v[28:29], v28, v[52:53]
	v_lshrrev_b32_e32 v6, 3, v3
	v_sub_u32_e32 v7, 29, v7
	v_and_b32_e32 v28, 7, v28
	v_cmp_gt_u32_e32 vcc, 8, v3
	v_cndmask_b32_e32 v3, v6, v7, vcc
	v_cndmask_b32_e32 v2, v2, v28, vcc
	v_lshlrev_b32_e32 v6, 16, v26
	v_lshlrev_b32_e32 v2, 20, v2
	v_and_b32_e32 v6, 0x80000000, v6
	v_lshl_add_u32 v3, v3, 23, v31
	v_or3_b32 v2, v6, v3, v2
.LBB6_2332:                             ;   in Loop: Header=BB6_2208 Depth=3
	s_or_b64 exec, exec, s[66:67]
.LBB6_2333:                             ;   in Loop: Header=BB6_2208 Depth=3
	s_or_b64 exec, exec, s[64:65]
.LBB6_2334:                             ;   in Loop: Header=BB6_2208 Depth=3
	s_or_b64 exec, exec, s[28:29]
	v_mov_b32_e32 v26, v17
	v_lshrrev_b16_e32 v52, 8, v26
	v_cmp_ne_u16_e32 vcc, 0, v52
	s_and_saveexec_b64 s[28:29], vcc
	s_cbranch_execz .LBB6_2340
; %bb.2335:                             ;   in Loop: Header=BB6_2208 Depth=3
	v_cmp_ne_u16_e32 vcc, s91, v52
	v_bfrev_b32_e32 v1, 1
	s_and_saveexec_b64 s[64:65], vcc
	s_cbranch_execz .LBB6_2339
; %bb.2336:                             ;   in Loop: Header=BB6_2208 Depth=3
	v_and_b32_e32 v3, 0x7f, v52
	v_cmp_ne_u32_e32 vcc, s92, v3
	v_mov_b32_e32 v1, 0x7f800001
	s_and_saveexec_b64 s[66:67], vcc
	s_cbranch_execz .LBB6_2338
; %bb.2337:                             ;   in Loop: Header=BB6_2208 Depth=3
	v_and_b32_e32 v1, 7, v52
	v_ffbh_u32_e32 v7, v1
	v_min_u32_e32 v7, 32, v7
	v_subrev_u32_e32 v28, 28, v7
	v_lshlrev_b64 v[28:29], v28, v[52:53]
	v_lshrrev_b32_e32 v6, 3, v3
	v_sub_u32_e32 v7, 29, v7
	v_and_b32_e32 v28, 7, v28
	v_cmp_gt_u32_e32 vcc, 8, v3
	v_cndmask_b32_e32 v3, v6, v7, vcc
	v_cndmask_b32_e32 v1, v1, v28, vcc
	v_lshlrev_b32_e32 v6, 16, v26
	v_lshlrev_b32_e32 v1, 20, v1
	v_and_b32_e32 v6, 0x80000000, v6
	v_lshl_add_u32 v3, v3, 23, v31
	v_or3_b32 v1, v6, v3, v1
.LBB6_2338:                             ;   in Loop: Header=BB6_2208 Depth=3
	s_or_b64 exec, exec, s[66:67]
.LBB6_2339:                             ;   in Loop: Header=BB6_2208 Depth=3
	s_or_b64 exec, exec, s[64:65]
.LBB6_2340:                             ;   in Loop: Header=BB6_2208 Depth=3
	s_or_b64 exec, exec, s[28:29]
	v_add_f32_e32 v2, v2, v1
	v_and_b32_sdwa v1, v2, s91 dst_sel:DWORD dst_unused:UNUSED_PAD src0_sel:BYTE_3 src1_sel:DWORD
	v_and_b32_e32 v36, 0x7f800000, v2
	v_mov_b32_e32 v37, v27
	v_and_b32_e32 v26, 0x7fffff, v2
	v_or_b32_e32 v28, 0x7e, v1
	v_cmp_ne_u64_e32 vcc, s[52:53], v[36:37]
	s_and_saveexec_b64 s[28:29], vcc
	s_xor_b64 s[64:65], exec, s[28:29]
	s_cbranch_execz .LBB6_2350
; %bb.2341:                             ;   in Loop: Header=BB6_2208 Depth=3
	v_and_b32_e32 v36, 0x7fffffff, v2
	v_mov_b32_e32 v37, v27
	v_cmp_gt_u64_e32 vcc, s[54:55], v[36:37]
	s_and_saveexec_b64 s[66:67], vcc
	s_cbranch_execz .LBB6_2349
; %bb.2342:                             ;   in Loop: Header=BB6_2208 Depth=3
	v_cmp_ne_u32_e32 vcc, 0, v2
	v_mov_b32_e32 v28, 0
	s_and_saveexec_b64 s[68:69], vcc
	s_cbranch_execz .LBB6_2348
; %bb.2343:                             ;   in Loop: Header=BB6_2208 Depth=3
	v_bfe_u32 v2, v2, 23, 8
	v_sub_u32_e32 v6, 0x79, v2
	v_cmp_gt_u32_e32 vcc, s93, v2
	v_add_u32_e32 v3, 0xffffff81, v2
	v_cndmask_b32_e32 v6, 0, v6, vcc
	v_cmp_eq_u32_e32 vcc, 0, v2
	v_mov_b32_e32 v0, 0xffffff82
	v_cndmask_b32_e32 v30, v3, v0, vcc
	v_mov_b32_e32 v0, 0x78
	v_cndmask_b32_e32 v6, v6, v0, vcc
	v_add_u32_e32 v2, 20, v6
	v_or_b32_e32 v7, 0x800000, v26
	v_lshlrev_b64 v[2:3], v2, -1
	v_cndmask_b32_e32 v26, v7, v26, vcc
	v_not_b32_e32 v2, v2
	v_and_b32_e32 v28, v26, v2
	v_add_u32_e32 v2, 19, v6
	v_lshrrev_b64 v[38:39], v6, v[26:27]
	v_not_b32_e32 v3, v3
	v_lshlrev_b64 v[36:37], v2, 1
	v_lshrrev_b32_e32 v2, 23, v38
	v_and_b32_e32 v29, 0, v3
	v_add3_u32 v26, v6, v30, v2
	v_bfe_u32 v2, v38, 20, 1
	v_add_u32_e32 v2, -1, v2
	v_cmp_eq_u64_e32 vcc, v[28:29], v[36:37]
	v_cndmask_b32_e32 v2, 0, v2, vcc
	v_add_u32_e32 v2, v2, v38
	v_and_b32_e32 v2, 0xfffff, v2
	v_add_co_u32_e32 v52, vcc, v2, v38
	v_add_u32_e32 v3, 6, v26
	v_addc_co_u32_e32 v53, vcc, 0, v39, vcc
	v_cmp_ne_u32_e32 vcc, 0, v3
                                        ; implicit-def: $vgpr2
	s_and_saveexec_b64 s[28:29], vcc
	s_xor_b64 s[28:29], exec, s[28:29]
; %bb.2344:                             ;   in Loop: Header=BB6_2208 Depth=3
	v_add_u32_e32 v2, 7, v26
	v_cmp_lt_u64_e32 vcc, s[56:57], v[52:53]
	v_cndmask_b32_e32 v2, v3, v2, vcc
	v_cndmask_b32_e64 v3, 0, 1, vcc
	v_lshrrev_b64 v[52:53], v3, v[52:53]
; %bb.2345:                             ;   in Loop: Header=BB6_2208 Depth=3
	s_andn2_saveexec_b64 s[28:29], s[28:29]
; %bb.2346:                             ;   in Loop: Header=BB6_2208 Depth=3
	v_bfe_u32 v2, v52, 23, 1
; %bb.2347:                             ;   in Loop: Header=BB6_2208 Depth=3
	s_or_b64 exec, exec, s[28:29]
	v_lshrrev_b64 v[28:29], 20, v[52:53]
	v_cmp_gt_i32_e32 vcc, 16, v2
	v_cndmask_b32_e32 v29, 0, v29, vcc
	v_cndmask_b32_e32 v28, 7, v28, vcc
	v_cmp_eq_u32_e32 vcc, 0, v2
	v_min_i32_e32 v2, 15, v2
	v_cmp_eq_u64_e64 s[28:29], 0, v[28:29]
	v_lshlrev_b32_e32 v2, 3, v2
	v_and_or_b32 v2, v28, 7, v2
	s_and_b64 s[28:29], vcc, s[28:29]
	v_cndmask_b32_e64 v2, v2, 0, s[28:29]
	v_or_b32_e32 v28, v2, v1
.LBB6_2348:                             ;   in Loop: Header=BB6_2208 Depth=3
	s_or_b64 exec, exec, s[68:69]
.LBB6_2349:                             ;   in Loop: Header=BB6_2208 Depth=3
	s_or_b64 exec, exec, s[66:67]
                                        ; implicit-def: $vgpr2
.LBB6_2350:                             ;   in Loop: Header=BB6_2208 Depth=3
	s_andn2_saveexec_b64 s[28:29], s[64:65]
; %bb.2351:                             ;   in Loop: Header=BB6_2208 Depth=3
	v_or_b32_sdwa v1, v2, s92 dst_sel:DWORD dst_unused:UNUSED_PAD src0_sel:BYTE_3 src1_sel:DWORD
	v_cmp_eq_u64_e32 vcc, 0, v[26:27]
	v_cndmask_b32_e32 v28, v1, v28, vcc
; %bb.2352:                             ;   in Loop: Header=BB6_2208 Depth=3
	s_or_b64 exec, exec, s[28:29]
	v_lshrrev_b32_e32 v26, 16, v21
	v_cmp_ne_u16_sdwa vcc, v26, v27 src0_sel:BYTE_0 src1_sel:DWORD
	v_mov_b32_e32 v1, 0
	v_mov_b32_e32 v2, 0
	s_and_saveexec_b64 s[28:29], vcc
	s_cbranch_execz .LBB6_2358
; %bb.2353:                             ;   in Loop: Header=BB6_2208 Depth=3
	v_cmp_ne_u16_sdwa vcc, v26, s91 src0_sel:BYTE_0 src1_sel:DWORD
	v_bfrev_b32_e32 v2, 1
	s_and_saveexec_b64 s[64:65], vcc
	s_cbranch_execz .LBB6_2357
; %bb.2354:                             ;   in Loop: Header=BB6_2208 Depth=3
	v_bfe_u32 v3, v21, 16, 7
	v_cmp_ne_u32_e32 vcc, s92, v3
	v_mov_b32_e32 v2, 0x7f800001
	s_and_saveexec_b64 s[66:67], vcc
	s_cbranch_execz .LBB6_2356
; %bb.2355:                             ;   in Loop: Header=BB6_2208 Depth=3
	v_and_b32_e32 v2, 7, v26
	v_ffbh_u32_e32 v7, v2
	v_min_u32_e32 v7, 32, v7
	v_subrev_u32_e32 v29, 28, v7
	v_lshlrev_b64 v[36:37], v29, v[26:27]
	v_lshrrev_b32_e32 v6, 3, v3
	v_sub_u32_e32 v7, 29, v7
	v_and_b32_e32 v29, 7, v36
	v_cmp_gt_u32_e32 vcc, 8, v3
	v_cndmask_b32_e32 v3, v6, v7, vcc
	v_cndmask_b32_e32 v2, v2, v29, vcc
	v_lshlrev_b32_e32 v6, 24, v26
	v_lshlrev_b32_e32 v2, 20, v2
	v_and_b32_e32 v6, 0x80000000, v6
	v_lshl_add_u32 v3, v3, 23, v31
	v_or3_b32 v2, v6, v3, v2
.LBB6_2356:                             ;   in Loop: Header=BB6_2208 Depth=3
	s_or_b64 exec, exec, s[66:67]
.LBB6_2357:                             ;   in Loop: Header=BB6_2208 Depth=3
	s_or_b64 exec, exec, s[64:65]
.LBB6_2358:                             ;   in Loop: Header=BB6_2208 Depth=3
	s_or_b64 exec, exec, s[28:29]
	v_lshrrev_b32_e32 v26, 16, v17
	v_cmp_ne_u16_sdwa vcc, v26, v27 src0_sel:BYTE_0 src1_sel:DWORD
	s_and_saveexec_b64 s[28:29], vcc
	s_cbranch_execz .LBB6_2364
; %bb.2359:                             ;   in Loop: Header=BB6_2208 Depth=3
	v_cmp_ne_u16_sdwa vcc, v26, s91 src0_sel:BYTE_0 src1_sel:DWORD
	v_bfrev_b32_e32 v1, 1
	s_and_saveexec_b64 s[64:65], vcc
	s_cbranch_execz .LBB6_2363
; %bb.2360:                             ;   in Loop: Header=BB6_2208 Depth=3
	v_bfe_u32 v3, v17, 16, 7
	v_cmp_ne_u32_e32 vcc, s92, v3
	v_mov_b32_e32 v1, 0x7f800001
	s_and_saveexec_b64 s[66:67], vcc
	s_cbranch_execz .LBB6_2362
; %bb.2361:                             ;   in Loop: Header=BB6_2208 Depth=3
	v_and_b32_e32 v1, 7, v26
	v_ffbh_u32_e32 v7, v1
	v_min_u32_e32 v7, 32, v7
	v_subrev_u32_e32 v29, 28, v7
	v_lshlrev_b64 v[36:37], v29, v[26:27]
	v_lshrrev_b32_e32 v6, 3, v3
	v_sub_u32_e32 v7, 29, v7
	v_and_b32_e32 v26, 7, v36
	v_cmp_gt_u32_e32 vcc, 8, v3
	v_cndmask_b32_e32 v3, v6, v7, vcc
	v_cndmask_b32_e32 v1, v1, v26, vcc
	v_lshlrev_b32_e32 v6, 8, v17
	v_lshlrev_b32_e32 v1, 20, v1
	v_and_b32_e32 v6, 0x80000000, v6
	v_lshl_add_u32 v3, v3, 23, v31
	v_or3_b32 v1, v6, v3, v1
.LBB6_2362:                             ;   in Loop: Header=BB6_2208 Depth=3
	s_or_b64 exec, exec, s[66:67]
.LBB6_2363:                             ;   in Loop: Header=BB6_2208 Depth=3
	s_or_b64 exec, exec, s[64:65]
.LBB6_2364:                             ;   in Loop: Header=BB6_2208 Depth=3
	s_or_b64 exec, exec, s[28:29]
	v_add_f32_e32 v2, v2, v1
	v_and_b32_sdwa v1, v2, s91 dst_sel:DWORD dst_unused:UNUSED_PAD src0_sel:BYTE_3 src1_sel:DWORD
	v_and_b32_e32 v38, 0x7f800000, v2
	v_mov_b32_e32 v39, v27
	v_and_b32_e32 v26, 0x7fffff, v2
	v_or_b32_e32 v45, 0x7e, v1
	v_cmp_ne_u64_e32 vcc, s[52:53], v[38:39]
	s_and_saveexec_b64 s[28:29], vcc
	s_xor_b64 s[64:65], exec, s[28:29]
	s_cbranch_execz .LBB6_2374
; %bb.2365:                             ;   in Loop: Header=BB6_2208 Depth=3
	v_and_b32_e32 v38, 0x7fffffff, v2
	v_mov_b32_e32 v39, v27
	v_cmp_gt_u64_e32 vcc, s[54:55], v[38:39]
	s_and_saveexec_b64 s[66:67], vcc
	s_cbranch_execz .LBB6_2373
; %bb.2366:                             ;   in Loop: Header=BB6_2208 Depth=3
	v_cmp_ne_u32_e32 vcc, 0, v2
	v_mov_b32_e32 v45, 0
	s_and_saveexec_b64 s[68:69], vcc
	s_cbranch_execz .LBB6_2372
; %bb.2367:                             ;   in Loop: Header=BB6_2208 Depth=3
	v_bfe_u32 v2, v2, 23, 8
	v_sub_u32_e32 v6, 0x79, v2
	v_cmp_gt_u32_e32 vcc, s93, v2
	v_add_u32_e32 v3, 0xffffff81, v2
	v_cndmask_b32_e32 v6, 0, v6, vcc
	v_cmp_eq_u32_e32 vcc, 0, v2
	v_mov_b32_e32 v0, 0xffffff82
	v_cndmask_b32_e32 v29, v3, v0, vcc
	v_mov_b32_e32 v0, 0x78
	v_cndmask_b32_e32 v6, v6, v0, vcc
	v_add_u32_e32 v2, 20, v6
	v_or_b32_e32 v7, 0x800000, v26
	v_lshlrev_b64 v[2:3], v2, -1
	v_cndmask_b32_e32 v26, v7, v26, vcc
	v_not_b32_e32 v2, v2
	v_and_b32_e32 v36, v26, v2
	v_add_u32_e32 v2, 19, v6
	v_lshrrev_b64 v[50:51], v6, v[26:27]
	v_not_b32_e32 v3, v3
	v_lshlrev_b64 v[38:39], v2, 1
	v_lshrrev_b32_e32 v2, 23, v50
	v_and_b32_e32 v37, 0, v3
	v_add3_u32 v26, v6, v29, v2
	v_bfe_u32 v2, v50, 20, 1
	v_add_u32_e32 v2, -1, v2
	v_cmp_eq_u64_e32 vcc, v[36:37], v[38:39]
	v_cndmask_b32_e32 v2, 0, v2, vcc
	v_add_u32_e32 v2, v2, v50
	v_and_b32_e32 v2, 0xfffff, v2
	v_add_co_u32_e32 v52, vcc, v2, v50
	v_add_u32_e32 v3, 6, v26
	v_addc_co_u32_e32 v53, vcc, 0, v51, vcc
	v_cmp_ne_u32_e32 vcc, 0, v3
                                        ; implicit-def: $vgpr2
	s_and_saveexec_b64 s[28:29], vcc
	s_xor_b64 s[28:29], exec, s[28:29]
; %bb.2368:                             ;   in Loop: Header=BB6_2208 Depth=3
	v_add_u32_e32 v2, 7, v26
	v_cmp_lt_u64_e32 vcc, s[56:57], v[52:53]
	v_cndmask_b32_e32 v2, v3, v2, vcc
	v_cndmask_b32_e64 v3, 0, 1, vcc
	v_lshrrev_b64 v[52:53], v3, v[52:53]
; %bb.2369:                             ;   in Loop: Header=BB6_2208 Depth=3
	s_andn2_saveexec_b64 s[28:29], s[28:29]
; %bb.2370:                             ;   in Loop: Header=BB6_2208 Depth=3
	v_bfe_u32 v2, v52, 23, 1
; %bb.2371:                             ;   in Loop: Header=BB6_2208 Depth=3
	s_or_b64 exec, exec, s[28:29]
	v_lshrrev_b64 v[36:37], 20, v[52:53]
	v_cmp_gt_i32_e32 vcc, 16, v2
	v_cndmask_b32_e32 v37, 0, v37, vcc
	v_cndmask_b32_e32 v36, 7, v36, vcc
	v_cmp_eq_u32_e32 vcc, 0, v2
	v_min_i32_e32 v2, 15, v2
	v_lshlrev_b32_e32 v2, 3, v2
	v_cmp_eq_u64_e64 s[28:29], 0, v[36:37]
	v_and_b32_e32 v2, 0xf8, v2
	v_and_or_b32 v2, v36, 7, v2
	s_and_b64 s[28:29], vcc, s[28:29]
	v_cndmask_b32_e64 v2, v2, 0, s[28:29]
	v_or_b32_e32 v45, v2, v1
.LBB6_2372:                             ;   in Loop: Header=BB6_2208 Depth=3
	s_or_b64 exec, exec, s[68:69]
.LBB6_2373:                             ;   in Loop: Header=BB6_2208 Depth=3
	s_or_b64 exec, exec, s[66:67]
                                        ; implicit-def: $vgpr2
.LBB6_2374:                             ;   in Loop: Header=BB6_2208 Depth=3
	s_andn2_saveexec_b64 s[28:29], s[64:65]
; %bb.2375:                             ;   in Loop: Header=BB6_2208 Depth=3
	v_or_b32_sdwa v1, v2, s92 dst_sel:DWORD dst_unused:UNUSED_PAD src0_sel:BYTE_3 src1_sel:DWORD
	v_cmp_eq_u64_e32 vcc, 0, v[26:27]
	v_cndmask_b32_e32 v45, v1, v45, vcc
; %bb.2376:                             ;   in Loop: Header=BB6_2208 Depth=3
	s_or_b64 exec, exec, s[28:29]
	v_cmp_lt_u64_e32 vcc, s[42:43], v[20:21]
	v_mov_b32_e32 v1, 0
	v_mov_b32_e32 v2, 0
	s_and_saveexec_b64 s[28:29], vcc
	s_cbranch_execz .LBB6_2382
; %bb.2377:                             ;   in Loop: Header=BB6_2208 Depth=3
	v_lshrrev_b32_e32 v20, 24, v21
	v_cmp_ne_u32_e32 vcc, s91, v20
	v_bfrev_b32_e32 v2, 1
	s_and_saveexec_b64 s[64:65], vcc
	s_cbranch_execz .LBB6_2381
; %bb.2378:                             ;   in Loop: Header=BB6_2208 Depth=3
	v_bfe_u32 v3, v21, 24, 7
	v_cmp_ne_u32_e32 vcc, s92, v3
	v_mov_b32_e32 v2, 0x7f800001
	s_and_saveexec_b64 s[66:67], vcc
	s_cbranch_execz .LBB6_2380
; %bb.2379:                             ;   in Loop: Header=BB6_2208 Depth=3
	v_and_b32_e32 v2, 7, v20
	v_ffbh_u32_e32 v7, v2
	v_min_u32_e32 v7, 32, v7
	v_subrev_u32_e32 v21, 28, v7
	v_lshlrev_b64 v[38:39], v21, v[20:21]
	v_lshrrev_b32_e32 v6, 3, v3
	v_sub_u32_e32 v7, 29, v7
	v_and_b32_e32 v21, 7, v38
	v_cmp_gt_u32_e32 vcc, 8, v3
	v_cndmask_b32_e32 v3, v6, v7, vcc
	v_cndmask_b32_e32 v2, v2, v21, vcc
	v_lshlrev_b32_e32 v6, 24, v20
	v_lshlrev_b32_e32 v2, 20, v2
	v_and_b32_e32 v6, 0x80000000, v6
	v_lshl_add_u32 v3, v3, 23, v31
	v_or3_b32 v2, v6, v3, v2
.LBB6_2380:                             ;   in Loop: Header=BB6_2208 Depth=3
	s_or_b64 exec, exec, s[66:67]
.LBB6_2381:                             ;   in Loop: Header=BB6_2208 Depth=3
	s_or_b64 exec, exec, s[64:65]
.LBB6_2382:                             ;   in Loop: Header=BB6_2208 Depth=3
	s_or_b64 exec, exec, s[28:29]
	v_cmp_lt_u64_e32 vcc, s[42:43], v[16:17]
	s_and_saveexec_b64 s[28:29], vcc
	s_cbranch_execz .LBB6_2388
; %bb.2383:                             ;   in Loop: Header=BB6_2208 Depth=3
	v_lshrrev_b32_e32 v16, 24, v17
	v_cmp_ne_u32_e32 vcc, s91, v16
	v_bfrev_b32_e32 v1, 1
	s_and_saveexec_b64 s[64:65], vcc
	s_cbranch_execz .LBB6_2387
; %bb.2384:                             ;   in Loop: Header=BB6_2208 Depth=3
	v_bfe_u32 v3, v17, 24, 7
	v_cmp_ne_u32_e32 vcc, s92, v3
	v_mov_b32_e32 v1, 0x7f800001
	s_and_saveexec_b64 s[66:67], vcc
	s_cbranch_execz .LBB6_2386
; %bb.2385:                             ;   in Loop: Header=BB6_2208 Depth=3
	v_and_b32_e32 v1, 7, v16
	v_ffbh_u32_e32 v7, v1
	v_min_u32_e32 v7, 32, v7
	v_subrev_u32_e32 v17, 28, v7
	v_lshlrev_b64 v[20:21], v17, v[16:17]
	v_lshrrev_b32_e32 v6, 3, v3
	v_sub_u32_e32 v7, 29, v7
	v_and_b32_e32 v17, 7, v20
	v_cmp_gt_u32_e32 vcc, 8, v3
	v_cndmask_b32_e32 v3, v6, v7, vcc
	v_cndmask_b32_e32 v1, v1, v17, vcc
	v_lshlrev_b32_e32 v6, 24, v16
	v_lshlrev_b32_e32 v1, 20, v1
	v_and_b32_e32 v6, 0x80000000, v6
	v_lshl_add_u32 v3, v3, 23, v31
	v_or3_b32 v1, v6, v3, v1
.LBB6_2386:                             ;   in Loop: Header=BB6_2208 Depth=3
	s_or_b64 exec, exec, s[66:67]
.LBB6_2387:                             ;   in Loop: Header=BB6_2208 Depth=3
	s_or_b64 exec, exec, s[64:65]
.LBB6_2388:                             ;   in Loop: Header=BB6_2208 Depth=3
	s_or_b64 exec, exec, s[28:29]
	v_add_f32_e32 v2, v2, v1
	v_and_b32_sdwa v1, v2, s91 dst_sel:DWORD dst_unused:UNUSED_PAD src0_sel:BYTE_3 src1_sel:DWORD
	v_and_b32_e32 v16, 0x7f800000, v2
	v_mov_b32_e32 v17, v27
	v_and_b32_e32 v26, 0x7fffff, v2
	v_or_b32_e32 v21, 0x7e, v1
	v_cmp_ne_u64_e32 vcc, s[52:53], v[16:17]
	s_and_saveexec_b64 s[28:29], vcc
	s_xor_b64 s[64:65], exec, s[28:29]
	s_cbranch_execz .LBB6_2398
; %bb.2389:                             ;   in Loop: Header=BB6_2208 Depth=3
	v_and_b32_e32 v16, 0x7fffffff, v2
	v_mov_b32_e32 v17, v27
	v_cmp_gt_u64_e32 vcc, s[54:55], v[16:17]
	s_and_saveexec_b64 s[66:67], vcc
	s_cbranch_execz .LBB6_2397
; %bb.2390:                             ;   in Loop: Header=BB6_2208 Depth=3
	v_cmp_ne_u32_e32 vcc, 0, v2
	v_mov_b32_e32 v21, 0
	s_and_saveexec_b64 s[68:69], vcc
	s_cbranch_execz .LBB6_2396
; %bb.2391:                             ;   in Loop: Header=BB6_2208 Depth=3
	v_bfe_u32 v2, v2, 23, 8
	v_sub_u32_e32 v6, 0x79, v2
	v_cmp_gt_u32_e32 vcc, s93, v2
	v_add_u32_e32 v3, 0xffffff81, v2
	v_cndmask_b32_e32 v6, 0, v6, vcc
	v_cmp_eq_u32_e32 vcc, 0, v2
	v_mov_b32_e32 v0, 0xffffff82
	v_cndmask_b32_e32 v20, v3, v0, vcc
	v_mov_b32_e32 v0, 0x78
	v_cndmask_b32_e32 v6, v6, v0, vcc
	v_add_u32_e32 v2, 20, v6
	v_or_b32_e32 v7, 0x800000, v26
	v_lshlrev_b64 v[2:3], v2, -1
	v_cndmask_b32_e32 v26, v7, v26, vcc
	v_not_b32_e32 v2, v2
	v_and_b32_e32 v16, v26, v2
	v_add_u32_e32 v2, 19, v6
	v_lshrrev_b64 v[50:51], v6, v[26:27]
	v_not_b32_e32 v3, v3
	v_lshlrev_b64 v[38:39], v2, 1
	v_lshrrev_b32_e32 v2, 23, v50
	v_and_b32_e32 v17, 0, v3
	v_add3_u32 v20, v6, v20, v2
	v_bfe_u32 v2, v50, 20, 1
	v_add_u32_e32 v2, -1, v2
	v_cmp_eq_u64_e32 vcc, v[16:17], v[38:39]
	v_cndmask_b32_e32 v2, 0, v2, vcc
	v_add_u32_e32 v2, v2, v50
	v_and_b32_e32 v2, 0xfffff, v2
	v_add_co_u32_e32 v16, vcc, v2, v50
	v_add_u32_e32 v3, 6, v20
	v_addc_co_u32_e32 v17, vcc, 0, v51, vcc
	v_cmp_ne_u32_e32 vcc, 0, v3
                                        ; implicit-def: $vgpr2
	s_and_saveexec_b64 s[28:29], vcc
	s_xor_b64 s[28:29], exec, s[28:29]
; %bb.2392:                             ;   in Loop: Header=BB6_2208 Depth=3
	v_add_u32_e32 v2, 7, v20
	v_cmp_lt_u64_e32 vcc, s[56:57], v[16:17]
	v_cndmask_b32_e32 v2, v3, v2, vcc
	v_cndmask_b32_e64 v3, 0, 1, vcc
	v_lshrrev_b64 v[16:17], v3, v[16:17]
; %bb.2393:                             ;   in Loop: Header=BB6_2208 Depth=3
	s_andn2_saveexec_b64 s[28:29], s[28:29]
; %bb.2394:                             ;   in Loop: Header=BB6_2208 Depth=3
	v_bfe_u32 v2, v16, 23, 1
; %bb.2395:                             ;   in Loop: Header=BB6_2208 Depth=3
	s_or_b64 exec, exec, s[28:29]
	v_lshrrev_b64 v[16:17], 20, v[16:17]
	v_cmp_gt_i32_e32 vcc, 16, v2
	v_cndmask_b32_e32 v17, 0, v17, vcc
	v_cndmask_b32_e32 v16, 7, v16, vcc
	v_cmp_eq_u32_e32 vcc, 0, v2
	v_min_i32_e32 v2, 15, v2
	v_lshlrev_b32_e32 v2, 3, v2
	v_cmp_eq_u64_e64 s[28:29], 0, v[16:17]
	v_and_b32_e32 v2, 0xf8, v2
	v_and_or_b32 v2, v16, 7, v2
	s_and_b64 s[28:29], vcc, s[28:29]
	v_cndmask_b32_e64 v2, v2, 0, s[28:29]
	v_or_b32_e32 v21, v2, v1
.LBB6_2396:                             ;   in Loop: Header=BB6_2208 Depth=3
	s_or_b64 exec, exec, s[68:69]
.LBB6_2397:                             ;   in Loop: Header=BB6_2208 Depth=3
	s_or_b64 exec, exec, s[66:67]
                                        ; implicit-def: $vgpr2
.LBB6_2398:                             ;   in Loop: Header=BB6_2208 Depth=3
	s_andn2_saveexec_b64 s[28:29], s[64:65]
; %bb.2399:                             ;   in Loop: Header=BB6_2208 Depth=3
	v_or_b32_sdwa v1, v2, s92 dst_sel:DWORD dst_unused:UNUSED_PAD src0_sel:BYTE_3 src1_sel:DWORD
	v_cmp_eq_u64_e32 vcc, 0, v[26:27]
	v_cndmask_b32_e32 v21, v1, v21, vcc
; %bb.2400:                             ;   in Loop: Header=BB6_2208 Depth=3
	s_or_b64 exec, exec, s[28:29]
	v_cmp_ne_u16_sdwa vcc, v22, v27 src0_sel:BYTE_0 src1_sel:DWORD
	v_mov_b32_e32 v1, 0
	v_mov_b32_e32 v2, 0
	s_and_saveexec_b64 s[28:29], vcc
	s_cbranch_execz .LBB6_2406
; %bb.2401:                             ;   in Loop: Header=BB6_2208 Depth=3
	v_cmp_ne_u16_sdwa vcc, v22, s91 src0_sel:BYTE_0 src1_sel:DWORD
	v_bfrev_b32_e32 v2, 1
	s_and_saveexec_b64 s[64:65], vcc
	s_cbranch_execz .LBB6_2405
; %bb.2402:                             ;   in Loop: Header=BB6_2208 Depth=3
	v_and_b32_e32 v3, 0x7f, v22
	v_cmp_ne_u32_e32 vcc, s92, v3
	v_mov_b32_e32 v2, 0x7f800001
	s_and_saveexec_b64 s[66:67], vcc
	s_cbranch_execz .LBB6_2404
; %bb.2403:                             ;   in Loop: Header=BB6_2208 Depth=3
	v_and_b32_e32 v2, 7, v22
	v_ffbh_u32_e32 v2, v2
	v_min_u32_e32 v2, 32, v2
	v_lshrrev_b32_e32 v6, 3, v3
	v_subrev_u32_e32 v7, 28, v2
	v_sub_u32_e32 v2, 29, v2
	v_cmp_gt_u32_e32 vcc, 8, v3
	v_cndmask_b32_e32 v6, v6, v2, vcc
	v_cndmask_b32_e32 v2, 0, v7, vcc
	v_lshlrev_b64 v[2:3], v2, v[22:23]
	v_lshlrev_b32_e32 v2, 20, v2
	v_lshlrev_b32_e32 v3, 24, v22
	v_and_b32_e32 v2, 0x700000, v2
	v_and_b32_e32 v3, 0x80000000, v3
	v_lshl_add_u32 v6, v6, 23, v31
	v_or3_b32 v2, v3, v6, v2
.LBB6_2404:                             ;   in Loop: Header=BB6_2208 Depth=3
	s_or_b64 exec, exec, s[66:67]
.LBB6_2405:                             ;   in Loop: Header=BB6_2208 Depth=3
	s_or_b64 exec, exec, s[64:65]
.LBB6_2406:                             ;   in Loop: Header=BB6_2208 Depth=3
	s_or_b64 exec, exec, s[28:29]
	v_cmp_ne_u16_sdwa vcc, v18, v27 src0_sel:BYTE_0 src1_sel:DWORD
	s_and_saveexec_b64 s[28:29], vcc
	s_cbranch_execz .LBB6_2412
; %bb.2407:                             ;   in Loop: Header=BB6_2208 Depth=3
	v_cmp_ne_u16_sdwa vcc, v18, s91 src0_sel:BYTE_0 src1_sel:DWORD
	v_bfrev_b32_e32 v1, 1
	s_and_saveexec_b64 s[64:65], vcc
	s_cbranch_execz .LBB6_2411
; %bb.2408:                             ;   in Loop: Header=BB6_2208 Depth=3
	v_and_b32_e32 v3, 0x7f, v18
	v_cmp_ne_u32_e32 vcc, s92, v3
	v_mov_b32_e32 v1, 0x7f800001
	s_and_saveexec_b64 s[66:67], vcc
	s_cbranch_execz .LBB6_2410
; %bb.2409:                             ;   in Loop: Header=BB6_2208 Depth=3
	v_and_b32_e32 v1, 7, v18
	v_ffbh_u32_e32 v1, v1
	v_min_u32_e32 v1, 32, v1
	v_subrev_u32_e32 v7, 28, v1
	v_cmp_gt_u32_e32 vcc, 8, v3
	v_lshrrev_b32_e32 v6, 3, v3
	v_cndmask_b32_e32 v3, 0, v7, vcc
	v_sub_u32_e32 v1, 29, v1
	v_lshlrev_b64 v[16:17], v3, v[18:19]
	v_cndmask_b32_e32 v1, v6, v1, vcc
	v_lshlrev_b32_e32 v3, 20, v16
	v_lshlrev_b32_e32 v6, 24, v18
	v_and_b32_e32 v3, 0x700000, v3
	v_and_b32_e32 v6, 0x80000000, v6
	v_lshl_add_u32 v1, v1, 23, v31
	v_or3_b32 v1, v6, v1, v3
.LBB6_2410:                             ;   in Loop: Header=BB6_2208 Depth=3
	s_or_b64 exec, exec, s[66:67]
.LBB6_2411:                             ;   in Loop: Header=BB6_2208 Depth=3
	s_or_b64 exec, exec, s[64:65]
.LBB6_2412:                             ;   in Loop: Header=BB6_2208 Depth=3
	s_or_b64 exec, exec, s[28:29]
	v_add_f32_e32 v2, v2, v1
	v_and_b32_sdwa v1, v2, s91 dst_sel:DWORD dst_unused:UNUSED_PAD src0_sel:BYTE_3 src1_sel:DWORD
	v_and_b32_e32 v16, 0x7f800000, v2
	v_mov_b32_e32 v17, v27
	v_and_b32_e32 v26, 0x7fffff, v2
	v_or_b32_e32 v30, 0x7e, v1
	v_cmp_ne_u64_e32 vcc, s[52:53], v[16:17]
	s_and_saveexec_b64 s[28:29], vcc
	s_xor_b64 s[64:65], exec, s[28:29]
	s_cbranch_execz .LBB6_2422
; %bb.2413:                             ;   in Loop: Header=BB6_2208 Depth=3
	v_and_b32_e32 v16, 0x7fffffff, v2
	v_mov_b32_e32 v17, v27
	v_cmp_gt_u64_e32 vcc, s[54:55], v[16:17]
	s_and_saveexec_b64 s[66:67], vcc
	s_cbranch_execz .LBB6_2421
; %bb.2414:                             ;   in Loop: Header=BB6_2208 Depth=3
	v_cmp_ne_u32_e32 vcc, 0, v2
	v_mov_b32_e32 v30, 0
	s_and_saveexec_b64 s[68:69], vcc
	s_cbranch_execz .LBB6_2420
; %bb.2415:                             ;   in Loop: Header=BB6_2208 Depth=3
	v_bfe_u32 v2, v2, 23, 8
	v_sub_u32_e32 v6, 0x79, v2
	v_cmp_gt_u32_e32 vcc, s93, v2
	v_add_u32_e32 v3, 0xffffff81, v2
	v_cndmask_b32_e32 v6, 0, v6, vcc
	v_cmp_eq_u32_e32 vcc, 0, v2
	v_mov_b32_e32 v0, 0xffffff82
	v_cndmask_b32_e32 v20, v3, v0, vcc
	v_mov_b32_e32 v0, 0x78
	v_cndmask_b32_e32 v6, v6, v0, vcc
	v_add_u32_e32 v2, 20, v6
	v_or_b32_e32 v7, 0x800000, v26
	v_lshlrev_b64 v[2:3], v2, -1
	v_cndmask_b32_e32 v26, v7, v26, vcc
	v_not_b32_e32 v2, v2
	v_and_b32_e32 v16, v26, v2
	v_add_u32_e32 v2, 19, v6
	v_lshrrev_b64 v[50:51], v6, v[26:27]
	v_not_b32_e32 v3, v3
	v_lshlrev_b64 v[38:39], v2, 1
	v_lshrrev_b32_e32 v2, 23, v50
	v_and_b32_e32 v17, 0, v3
	v_add3_u32 v20, v6, v20, v2
	v_bfe_u32 v2, v50, 20, 1
	v_add_u32_e32 v2, -1, v2
	v_cmp_eq_u64_e32 vcc, v[16:17], v[38:39]
	v_cndmask_b32_e32 v2, 0, v2, vcc
	v_add_u32_e32 v2, v2, v50
	v_and_b32_e32 v2, 0xfffff, v2
	v_add_co_u32_e32 v16, vcc, v2, v50
	v_add_u32_e32 v3, 6, v20
	v_addc_co_u32_e32 v17, vcc, 0, v51, vcc
	v_cmp_ne_u32_e32 vcc, 0, v3
                                        ; implicit-def: $vgpr2
	s_and_saveexec_b64 s[28:29], vcc
	s_xor_b64 s[28:29], exec, s[28:29]
; %bb.2416:                             ;   in Loop: Header=BB6_2208 Depth=3
	v_add_u32_e32 v2, 7, v20
	v_cmp_lt_u64_e32 vcc, s[56:57], v[16:17]
	v_cndmask_b32_e32 v2, v3, v2, vcc
	v_cndmask_b32_e64 v3, 0, 1, vcc
	v_lshrrev_b64 v[16:17], v3, v[16:17]
; %bb.2417:                             ;   in Loop: Header=BB6_2208 Depth=3
	s_andn2_saveexec_b64 s[28:29], s[28:29]
; %bb.2418:                             ;   in Loop: Header=BB6_2208 Depth=3
	v_bfe_u32 v2, v16, 23, 1
; %bb.2419:                             ;   in Loop: Header=BB6_2208 Depth=3
	s_or_b64 exec, exec, s[28:29]
	v_lshrrev_b64 v[16:17], 20, v[16:17]
	v_cmp_gt_i32_e32 vcc, 16, v2
	v_cndmask_b32_e32 v17, 0, v17, vcc
	v_cndmask_b32_e32 v16, 7, v16, vcc
	v_cmp_eq_u32_e32 vcc, 0, v2
	v_min_i32_e32 v2, 15, v2
	v_cmp_eq_u64_e64 s[28:29], 0, v[16:17]
	v_lshlrev_b32_e32 v2, 3, v2
	v_and_or_b32 v2, v16, 7, v2
	s_and_b64 s[28:29], vcc, s[28:29]
	v_cndmask_b32_e64 v2, v2, 0, s[28:29]
	v_or_b32_e32 v30, v2, v1
.LBB6_2420:                             ;   in Loop: Header=BB6_2208 Depth=3
	s_or_b64 exec, exec, s[68:69]
.LBB6_2421:                             ;   in Loop: Header=BB6_2208 Depth=3
	s_or_b64 exec, exec, s[66:67]
                                        ; implicit-def: $vgpr2
.LBB6_2422:                             ;   in Loop: Header=BB6_2208 Depth=3
	s_andn2_saveexec_b64 s[28:29], s[64:65]
; %bb.2423:                             ;   in Loop: Header=BB6_2208 Depth=3
	v_or_b32_sdwa v1, v2, s92 dst_sel:DWORD dst_unused:UNUSED_PAD src0_sel:BYTE_3 src1_sel:DWORD
	v_cmp_eq_u64_e32 vcc, 0, v[26:27]
	v_cndmask_b32_e32 v30, v1, v30, vcc
; %bb.2424:                             ;   in Loop: Header=BB6_2208 Depth=3
	s_or_b64 exec, exec, s[28:29]
	v_lshrrev_b16_e32 v16, 8, v22
	v_cmp_ne_u16_e32 vcc, 0, v16
	v_mov_b32_e32 v1, 0
	v_mov_b32_e32 v2, 0
	s_and_saveexec_b64 s[28:29], vcc
	s_cbranch_execz .LBB6_2430
; %bb.2425:                             ;   in Loop: Header=BB6_2208 Depth=3
	v_cmp_ne_u16_e32 vcc, s91, v16
	v_bfrev_b32_e32 v2, 1
	s_and_saveexec_b64 s[64:65], vcc
	s_cbranch_execz .LBB6_2429
; %bb.2426:                             ;   in Loop: Header=BB6_2208 Depth=3
	v_and_b32_e32 v3, 0x7f, v16
	v_cmp_ne_u32_e32 vcc, s92, v3
	v_mov_b32_e32 v2, 0x7f800001
	s_and_saveexec_b64 s[66:67], vcc
	s_cbranch_execz .LBB6_2428
; %bb.2427:                             ;   in Loop: Header=BB6_2208 Depth=3
	v_and_b32_e32 v2, 7, v16
	v_ffbh_u32_e32 v7, v2
	v_min_u32_e32 v7, 32, v7
	v_subrev_u32_e32 v17, 28, v7
	v_lshlrev_b64 v[16:17], v17, v[16:17]
	v_lshrrev_b32_e32 v6, 3, v3
	v_sub_u32_e32 v7, 29, v7
	v_and_b32_e32 v16, 7, v16
	v_cmp_gt_u32_e32 vcc, 8, v3
	v_cndmask_b32_e32 v3, v6, v7, vcc
	v_cndmask_b32_e32 v2, v2, v16, vcc
	v_lshlrev_b32_e32 v6, 16, v22
	v_lshlrev_b32_e32 v2, 20, v2
	v_and_b32_e32 v6, 0x80000000, v6
	v_lshl_add_u32 v3, v3, 23, v31
	v_or3_b32 v2, v6, v3, v2
.LBB6_2428:                             ;   in Loop: Header=BB6_2208 Depth=3
	s_or_b64 exec, exec, s[66:67]
.LBB6_2429:                             ;   in Loop: Header=BB6_2208 Depth=3
	s_or_b64 exec, exec, s[64:65]
.LBB6_2430:                             ;   in Loop: Header=BB6_2208 Depth=3
	s_or_b64 exec, exec, s[28:29]
	v_lshrrev_b16_e32 v16, 8, v18
	v_cmp_ne_u16_e32 vcc, 0, v16
	s_and_saveexec_b64 s[28:29], vcc
	s_cbranch_execz .LBB6_2436
; %bb.2431:                             ;   in Loop: Header=BB6_2208 Depth=3
	v_cmp_ne_u16_e32 vcc, s91, v16
	v_bfrev_b32_e32 v1, 1
	s_and_saveexec_b64 s[64:65], vcc
	s_cbranch_execz .LBB6_2435
; %bb.2432:                             ;   in Loop: Header=BB6_2208 Depth=3
	v_and_b32_e32 v3, 0x7f, v16
	v_cmp_ne_u32_e32 vcc, s92, v3
	v_mov_b32_e32 v1, 0x7f800001
	s_and_saveexec_b64 s[66:67], vcc
	s_cbranch_execz .LBB6_2434
; %bb.2433:                             ;   in Loop: Header=BB6_2208 Depth=3
	v_and_b32_e32 v1, 7, v16
	v_ffbh_u32_e32 v7, v1
	v_min_u32_e32 v7, 32, v7
	v_subrev_u32_e32 v17, 28, v7
	v_lshlrev_b64 v[16:17], v17, v[16:17]
	v_lshrrev_b32_e32 v6, 3, v3
	v_sub_u32_e32 v7, 29, v7
	v_and_b32_e32 v16, 7, v16
	v_cmp_gt_u32_e32 vcc, 8, v3
	v_cndmask_b32_e32 v3, v6, v7, vcc
	v_cndmask_b32_e32 v1, v1, v16, vcc
	v_lshlrev_b32_e32 v6, 16, v18
	v_lshlrev_b32_e32 v1, 20, v1
	v_and_b32_e32 v6, 0x80000000, v6
	v_lshl_add_u32 v3, v3, 23, v31
	v_or3_b32 v1, v6, v3, v1
.LBB6_2434:                             ;   in Loop: Header=BB6_2208 Depth=3
	s_or_b64 exec, exec, s[66:67]
.LBB6_2435:                             ;   in Loop: Header=BB6_2208 Depth=3
	s_or_b64 exec, exec, s[64:65]
.LBB6_2436:                             ;   in Loop: Header=BB6_2208 Depth=3
	s_or_b64 exec, exec, s[28:29]
	v_add_f32_e32 v2, v2, v1
	v_and_b32_sdwa v1, v2, s91 dst_sel:DWORD dst_unused:UNUSED_PAD src0_sel:BYTE_3 src1_sel:DWORD
	v_and_b32_e32 v16, 0x7f800000, v2
	v_mov_b32_e32 v17, v27
	v_and_b32_e32 v26, 0x7fffff, v2
	v_or_b32_e32 v52, 0x7e, v1
	v_cmp_ne_u64_e32 vcc, s[52:53], v[16:17]
	s_and_saveexec_b64 s[28:29], vcc
	s_xor_b64 s[64:65], exec, s[28:29]
	s_cbranch_execz .LBB6_2446
; %bb.2437:                             ;   in Loop: Header=BB6_2208 Depth=3
	v_and_b32_e32 v16, 0x7fffffff, v2
	v_mov_b32_e32 v17, v27
	v_cmp_gt_u64_e32 vcc, s[54:55], v[16:17]
	s_and_saveexec_b64 s[66:67], vcc
	s_cbranch_execz .LBB6_2445
; %bb.2438:                             ;   in Loop: Header=BB6_2208 Depth=3
	v_cmp_ne_u32_e32 vcc, 0, v2
	v_mov_b32_e32 v52, 0
	s_and_saveexec_b64 s[68:69], vcc
	s_cbranch_execz .LBB6_2444
; %bb.2439:                             ;   in Loop: Header=BB6_2208 Depth=3
	v_bfe_u32 v2, v2, 23, 8
	v_sub_u32_e32 v6, 0x79, v2
	v_cmp_gt_u32_e32 vcc, s93, v2
	v_add_u32_e32 v3, 0xffffff81, v2
	v_cndmask_b32_e32 v6, 0, v6, vcc
	v_cmp_eq_u32_e32 vcc, 0, v2
	v_mov_b32_e32 v0, 0xffffff82
	v_cndmask_b32_e32 v20, v3, v0, vcc
	v_mov_b32_e32 v0, 0x78
	v_cndmask_b32_e32 v6, v6, v0, vcc
	v_add_u32_e32 v2, 20, v6
	v_or_b32_e32 v7, 0x800000, v26
	v_lshlrev_b64 v[2:3], v2, -1
	v_cndmask_b32_e32 v26, v7, v26, vcc
	v_not_b32_e32 v2, v2
	v_and_b32_e32 v16, v26, v2
	v_add_u32_e32 v2, 19, v6
	v_lshrrev_b64 v[50:51], v6, v[26:27]
	v_not_b32_e32 v3, v3
	v_lshlrev_b64 v[38:39], v2, 1
	v_lshrrev_b32_e32 v2, 23, v50
	v_and_b32_e32 v17, 0, v3
	v_add3_u32 v20, v6, v20, v2
	v_bfe_u32 v2, v50, 20, 1
	v_add_u32_e32 v2, -1, v2
	v_cmp_eq_u64_e32 vcc, v[16:17], v[38:39]
	v_cndmask_b32_e32 v2, 0, v2, vcc
	v_add_u32_e32 v2, v2, v50
	v_and_b32_e32 v2, 0xfffff, v2
	v_add_co_u32_e32 v16, vcc, v2, v50
	v_add_u32_e32 v3, 6, v20
	v_addc_co_u32_e32 v17, vcc, 0, v51, vcc
	v_cmp_ne_u32_e32 vcc, 0, v3
                                        ; implicit-def: $vgpr2
	s_and_saveexec_b64 s[28:29], vcc
	s_xor_b64 s[28:29], exec, s[28:29]
; %bb.2440:                             ;   in Loop: Header=BB6_2208 Depth=3
	v_add_u32_e32 v2, 7, v20
	v_cmp_lt_u64_e32 vcc, s[56:57], v[16:17]
	v_cndmask_b32_e32 v2, v3, v2, vcc
	v_cndmask_b32_e64 v3, 0, 1, vcc
	v_lshrrev_b64 v[16:17], v3, v[16:17]
; %bb.2441:                             ;   in Loop: Header=BB6_2208 Depth=3
	s_andn2_saveexec_b64 s[28:29], s[28:29]
; %bb.2442:                             ;   in Loop: Header=BB6_2208 Depth=3
	v_bfe_u32 v2, v16, 23, 1
; %bb.2443:                             ;   in Loop: Header=BB6_2208 Depth=3
	s_or_b64 exec, exec, s[28:29]
	v_lshrrev_b64 v[16:17], 20, v[16:17]
	v_cmp_gt_i32_e32 vcc, 16, v2
	v_cndmask_b32_e32 v17, 0, v17, vcc
	v_cndmask_b32_e32 v16, 7, v16, vcc
	v_cmp_eq_u32_e32 vcc, 0, v2
	v_min_i32_e32 v2, 15, v2
	v_cmp_eq_u64_e64 s[28:29], 0, v[16:17]
	v_lshlrev_b32_e32 v2, 3, v2
	v_and_or_b32 v2, v16, 7, v2
	s_and_b64 s[28:29], vcc, s[28:29]
	v_cndmask_b32_e64 v2, v2, 0, s[28:29]
	v_or_b32_e32 v52, v2, v1
.LBB6_2444:                             ;   in Loop: Header=BB6_2208 Depth=3
	s_or_b64 exec, exec, s[68:69]
.LBB6_2445:                             ;   in Loop: Header=BB6_2208 Depth=3
	s_or_b64 exec, exec, s[66:67]
                                        ; implicit-def: $vgpr2
.LBB6_2446:                             ;   in Loop: Header=BB6_2208 Depth=3
	s_andn2_saveexec_b64 s[28:29], s[64:65]
; %bb.2447:                             ;   in Loop: Header=BB6_2208 Depth=3
	v_or_b32_sdwa v1, v2, s92 dst_sel:DWORD dst_unused:UNUSED_PAD src0_sel:BYTE_3 src1_sel:DWORD
	v_cmp_eq_u64_e32 vcc, 0, v[26:27]
	v_cndmask_b32_e32 v52, v1, v52, vcc
; %bb.2448:                             ;   in Loop: Header=BB6_2208 Depth=3
	s_or_b64 exec, exec, s[28:29]
	v_lshrrev_b32_e32 v16, 16, v22
	v_cmp_ne_u16_sdwa vcc, v16, v27 src0_sel:BYTE_0 src1_sel:DWORD
	v_mov_b32_e32 v1, 0
	v_mov_b32_e32 v2, 0
	s_and_saveexec_b64 s[28:29], vcc
	s_cbranch_execz .LBB6_2454
; %bb.2449:                             ;   in Loop: Header=BB6_2208 Depth=3
	v_cmp_ne_u16_sdwa vcc, v16, s91 src0_sel:BYTE_0 src1_sel:DWORD
	v_bfrev_b32_e32 v2, 1
	s_and_saveexec_b64 s[64:65], vcc
	s_cbranch_execz .LBB6_2453
; %bb.2450:                             ;   in Loop: Header=BB6_2208 Depth=3
	v_bfe_u32 v3, v22, 16, 7
	v_cmp_ne_u32_e32 vcc, s92, v3
	v_mov_b32_e32 v2, 0x7f800001
	s_and_saveexec_b64 s[66:67], vcc
	s_cbranch_execz .LBB6_2452
; %bb.2451:                             ;   in Loop: Header=BB6_2208 Depth=3
	v_and_b32_e32 v2, 7, v16
	v_ffbh_u32_e32 v7, v2
	v_min_u32_e32 v7, 32, v7
	v_subrev_u32_e32 v17, 28, v7
	v_lshlrev_b64 v[38:39], v17, v[16:17]
	v_lshrrev_b32_e32 v6, 3, v3
	v_sub_u32_e32 v7, 29, v7
	v_and_b32_e32 v17, 7, v38
	v_cmp_gt_u32_e32 vcc, 8, v3
	v_cndmask_b32_e32 v3, v6, v7, vcc
	v_cndmask_b32_e32 v2, v2, v17, vcc
	v_lshlrev_b32_e32 v6, 24, v16
	v_lshlrev_b32_e32 v2, 20, v2
	v_and_b32_e32 v6, 0x80000000, v6
	v_lshl_add_u32 v3, v3, 23, v31
	v_or3_b32 v2, v6, v3, v2
.LBB6_2452:                             ;   in Loop: Header=BB6_2208 Depth=3
	s_or_b64 exec, exec, s[66:67]
.LBB6_2453:                             ;   in Loop: Header=BB6_2208 Depth=3
	s_or_b64 exec, exec, s[64:65]
.LBB6_2454:                             ;   in Loop: Header=BB6_2208 Depth=3
	s_or_b64 exec, exec, s[28:29]
	v_lshrrev_b32_e32 v16, 16, v18
	v_cmp_ne_u16_sdwa vcc, v16, v27 src0_sel:BYTE_0 src1_sel:DWORD
	s_and_saveexec_b64 s[28:29], vcc
	s_cbranch_execz .LBB6_2460
; %bb.2455:                             ;   in Loop: Header=BB6_2208 Depth=3
	v_cmp_ne_u16_sdwa vcc, v16, s91 src0_sel:BYTE_0 src1_sel:DWORD
	v_bfrev_b32_e32 v1, 1
	s_and_saveexec_b64 s[64:65], vcc
	s_cbranch_execz .LBB6_2459
; %bb.2456:                             ;   in Loop: Header=BB6_2208 Depth=3
	v_bfe_u32 v3, v18, 16, 7
	v_cmp_ne_u32_e32 vcc, s92, v3
	v_mov_b32_e32 v1, 0x7f800001
	s_and_saveexec_b64 s[66:67], vcc
	s_cbranch_execz .LBB6_2458
; %bb.2457:                             ;   in Loop: Header=BB6_2208 Depth=3
	v_and_b32_e32 v1, 7, v16
	v_ffbh_u32_e32 v7, v1
	v_min_u32_e32 v7, 32, v7
	v_subrev_u32_e32 v17, 28, v7
	v_lshlrev_b64 v[16:17], v17, v[16:17]
	v_lshrrev_b32_e32 v6, 3, v3
	v_sub_u32_e32 v7, 29, v7
	v_and_b32_e32 v16, 7, v16
	v_cmp_gt_u32_e32 vcc, 8, v3
	v_cndmask_b32_e32 v3, v6, v7, vcc
	v_cndmask_b32_e32 v1, v1, v16, vcc
	v_lshlrev_b32_e32 v6, 8, v18
	v_lshlrev_b32_e32 v1, 20, v1
	v_and_b32_e32 v6, 0x80000000, v6
	v_lshl_add_u32 v3, v3, 23, v31
	v_or3_b32 v1, v6, v3, v1
.LBB6_2458:                             ;   in Loop: Header=BB6_2208 Depth=3
	s_or_b64 exec, exec, s[66:67]
.LBB6_2459:                             ;   in Loop: Header=BB6_2208 Depth=3
	s_or_b64 exec, exec, s[64:65]
.LBB6_2460:                             ;   in Loop: Header=BB6_2208 Depth=3
	s_or_b64 exec, exec, s[28:29]
	v_add_f32_e32 v2, v2, v1
	v_and_b32_sdwa v1, v2, s91 dst_sel:DWORD dst_unused:UNUSED_PAD src0_sel:BYTE_3 src1_sel:DWORD
	v_and_b32_e32 v16, 0x7f800000, v2
	v_mov_b32_e32 v17, v27
	v_and_b32_e32 v26, 0x7fffff, v2
	v_or_b32_e32 v53, 0x7e, v1
	v_cmp_ne_u64_e32 vcc, s[52:53], v[16:17]
	s_and_saveexec_b64 s[28:29], vcc
	s_xor_b64 s[64:65], exec, s[28:29]
	s_cbranch_execz .LBB6_2470
; %bb.2461:                             ;   in Loop: Header=BB6_2208 Depth=3
	v_and_b32_e32 v16, 0x7fffffff, v2
	v_mov_b32_e32 v17, v27
	v_cmp_gt_u64_e32 vcc, s[54:55], v[16:17]
	s_and_saveexec_b64 s[66:67], vcc
	s_cbranch_execz .LBB6_2469
; %bb.2462:                             ;   in Loop: Header=BB6_2208 Depth=3
	v_cmp_ne_u32_e32 vcc, 0, v2
	v_mov_b32_e32 v53, 0
	s_and_saveexec_b64 s[68:69], vcc
	s_cbranch_execz .LBB6_2468
; %bb.2463:                             ;   in Loop: Header=BB6_2208 Depth=3
	v_bfe_u32 v2, v2, 23, 8
	v_sub_u32_e32 v6, 0x79, v2
	v_cmp_gt_u32_e32 vcc, s93, v2
	v_add_u32_e32 v3, 0xffffff81, v2
	v_cndmask_b32_e32 v6, 0, v6, vcc
	v_cmp_eq_u32_e32 vcc, 0, v2
	v_mov_b32_e32 v0, 0xffffff82
	v_cndmask_b32_e32 v20, v3, v0, vcc
	v_mov_b32_e32 v0, 0x78
	v_cndmask_b32_e32 v6, v6, v0, vcc
	v_add_u32_e32 v2, 20, v6
	v_or_b32_e32 v7, 0x800000, v26
	v_lshlrev_b64 v[2:3], v2, -1
	v_cndmask_b32_e32 v26, v7, v26, vcc
	v_not_b32_e32 v2, v2
	v_and_b32_e32 v16, v26, v2
	v_add_u32_e32 v2, 19, v6
	v_lshrrev_b64 v[50:51], v6, v[26:27]
	v_not_b32_e32 v3, v3
	v_lshlrev_b64 v[38:39], v2, 1
	v_lshrrev_b32_e32 v2, 23, v50
	v_and_b32_e32 v17, 0, v3
	v_add3_u32 v20, v6, v20, v2
	v_bfe_u32 v2, v50, 20, 1
	v_add_u32_e32 v2, -1, v2
	v_cmp_eq_u64_e32 vcc, v[16:17], v[38:39]
	v_cndmask_b32_e32 v2, 0, v2, vcc
	v_add_u32_e32 v2, v2, v50
	v_and_b32_e32 v2, 0xfffff, v2
	v_add_co_u32_e32 v16, vcc, v2, v50
	v_add_u32_e32 v3, 6, v20
	v_addc_co_u32_e32 v17, vcc, 0, v51, vcc
	v_cmp_ne_u32_e32 vcc, 0, v3
                                        ; implicit-def: $vgpr2
	s_and_saveexec_b64 s[28:29], vcc
	s_xor_b64 s[28:29], exec, s[28:29]
; %bb.2464:                             ;   in Loop: Header=BB6_2208 Depth=3
	v_add_u32_e32 v2, 7, v20
	v_cmp_lt_u64_e32 vcc, s[56:57], v[16:17]
	v_cndmask_b32_e32 v2, v3, v2, vcc
	v_cndmask_b32_e64 v3, 0, 1, vcc
	v_lshrrev_b64 v[16:17], v3, v[16:17]
; %bb.2465:                             ;   in Loop: Header=BB6_2208 Depth=3
	s_andn2_saveexec_b64 s[28:29], s[28:29]
; %bb.2466:                             ;   in Loop: Header=BB6_2208 Depth=3
	v_bfe_u32 v2, v16, 23, 1
; %bb.2467:                             ;   in Loop: Header=BB6_2208 Depth=3
	s_or_b64 exec, exec, s[28:29]
	v_lshrrev_b64 v[16:17], 20, v[16:17]
	v_cmp_gt_i32_e32 vcc, 16, v2
	v_cndmask_b32_e32 v17, 0, v17, vcc
	v_cndmask_b32_e32 v16, 7, v16, vcc
	v_cmp_eq_u32_e32 vcc, 0, v2
	v_min_i32_e32 v2, 15, v2
	v_cmp_eq_u64_e64 s[28:29], 0, v[16:17]
	v_lshlrev_b32_e32 v2, 3, v2
	v_and_or_b32 v2, v16, 7, v2
	s_and_b64 s[28:29], vcc, s[28:29]
	v_cndmask_b32_e64 v2, v2, 0, s[28:29]
	v_or_b32_e32 v53, v2, v1
.LBB6_2468:                             ;   in Loop: Header=BB6_2208 Depth=3
	s_or_b64 exec, exec, s[68:69]
.LBB6_2469:                             ;   in Loop: Header=BB6_2208 Depth=3
	s_or_b64 exec, exec, s[66:67]
                                        ; implicit-def: $vgpr2
.LBB6_2470:                             ;   in Loop: Header=BB6_2208 Depth=3
	s_andn2_saveexec_b64 s[28:29], s[64:65]
; %bb.2471:                             ;   in Loop: Header=BB6_2208 Depth=3
	v_or_b32_sdwa v1, v2, s92 dst_sel:DWORD dst_unused:UNUSED_PAD src0_sel:BYTE_3 src1_sel:DWORD
	v_cmp_eq_u64_e32 vcc, 0, v[26:27]
	v_cndmask_b32_e32 v53, v1, v53, vcc
; %bb.2472:                             ;   in Loop: Header=BB6_2208 Depth=3
	s_or_b64 exec, exec, s[28:29]
	v_cmp_lt_u32_e32 vcc, s43, v22
	v_mov_b32_e32 v1, 0
	v_mov_b32_e32 v2, 0
	s_and_saveexec_b64 s[28:29], vcc
	s_cbranch_execz .LBB6_2478
; %bb.2473:                             ;   in Loop: Header=BB6_2208 Depth=3
	v_lshrrev_b32_e32 v16, 24, v22
	v_cmp_ne_u32_e32 vcc, s91, v16
	v_bfrev_b32_e32 v2, 1
	s_and_saveexec_b64 s[64:65], vcc
	s_cbranch_execz .LBB6_2477
; %bb.2474:                             ;   in Loop: Header=BB6_2208 Depth=3
	v_bfe_u32 v3, v22, 24, 7
	v_cmp_ne_u32_e32 vcc, s92, v3
	v_mov_b32_e32 v2, 0x7f800001
	s_and_saveexec_b64 s[66:67], vcc
	s_cbranch_execz .LBB6_2476
; %bb.2475:                             ;   in Loop: Header=BB6_2208 Depth=3
	v_and_b32_e32 v2, 7, v16
	v_ffbh_u32_e32 v7, v2
	v_min_u32_e32 v7, 32, v7
	v_subrev_u32_e32 v17, 28, v7
	v_lshlrev_b64 v[38:39], v17, v[16:17]
	v_lshrrev_b32_e32 v6, 3, v3
	v_sub_u32_e32 v7, 29, v7
	v_and_b32_e32 v17, 7, v38
	v_cmp_gt_u32_e32 vcc, 8, v3
	v_cndmask_b32_e32 v3, v6, v7, vcc
	v_cndmask_b32_e32 v2, v2, v17, vcc
	v_lshlrev_b32_e32 v6, 24, v16
	v_lshlrev_b32_e32 v2, 20, v2
	v_and_b32_e32 v6, 0x80000000, v6
	v_lshl_add_u32 v3, v3, 23, v31
	v_or3_b32 v2, v6, v3, v2
.LBB6_2476:                             ;   in Loop: Header=BB6_2208 Depth=3
	s_or_b64 exec, exec, s[66:67]
.LBB6_2477:                             ;   in Loop: Header=BB6_2208 Depth=3
	s_or_b64 exec, exec, s[64:65]
.LBB6_2478:                             ;   in Loop: Header=BB6_2208 Depth=3
	s_or_b64 exec, exec, s[28:29]
	v_cmp_lt_u32_e32 vcc, s43, v18
	s_and_saveexec_b64 s[28:29], vcc
	s_cbranch_execz .LBB6_2484
; %bb.2479:                             ;   in Loop: Header=BB6_2208 Depth=3
	v_lshrrev_b32_e32 v16, 24, v18
	v_cmp_ne_u32_e32 vcc, s91, v16
	v_bfrev_b32_e32 v1, 1
	s_and_saveexec_b64 s[64:65], vcc
	s_cbranch_execz .LBB6_2483
; %bb.2480:                             ;   in Loop: Header=BB6_2208 Depth=3
	v_bfe_u32 v3, v18, 24, 7
	v_cmp_ne_u32_e32 vcc, s92, v3
	v_mov_b32_e32 v1, 0x7f800001
	s_and_saveexec_b64 s[66:67], vcc
	s_cbranch_execz .LBB6_2482
; %bb.2481:                             ;   in Loop: Header=BB6_2208 Depth=3
	v_and_b32_e32 v1, 7, v16
	v_ffbh_u32_e32 v7, v1
	v_min_u32_e32 v7, 32, v7
	v_subrev_u32_e32 v17, 28, v7
	v_lshlrev_b64 v[38:39], v17, v[16:17]
	v_lshrrev_b32_e32 v6, 3, v3
	v_sub_u32_e32 v7, 29, v7
	v_and_b32_e32 v17, 7, v38
	v_cmp_gt_u32_e32 vcc, 8, v3
	v_cndmask_b32_e32 v3, v6, v7, vcc
	v_cndmask_b32_e32 v1, v1, v17, vcc
	v_lshlrev_b32_e32 v6, 24, v16
	v_lshlrev_b32_e32 v1, 20, v1
	v_and_b32_e32 v6, 0x80000000, v6
	v_lshl_add_u32 v3, v3, 23, v31
	v_or3_b32 v1, v6, v3, v1
.LBB6_2482:                             ;   in Loop: Header=BB6_2208 Depth=3
	s_or_b64 exec, exec, s[66:67]
.LBB6_2483:                             ;   in Loop: Header=BB6_2208 Depth=3
	s_or_b64 exec, exec, s[64:65]
.LBB6_2484:                             ;   in Loop: Header=BB6_2208 Depth=3
	s_or_b64 exec, exec, s[28:29]
	v_add_f32_e32 v2, v2, v1
	v_and_b32_sdwa v1, v2, s91 dst_sel:DWORD dst_unused:UNUSED_PAD src0_sel:BYTE_3 src1_sel:DWORD
	v_and_b32_e32 v16, 0x7f800000, v2
	v_mov_b32_e32 v17, v27
	v_and_b32_e32 v26, 0x7fffff, v2
	v_or_b32_e32 v38, 0x7e, v1
	v_cmp_ne_u64_e32 vcc, s[52:53], v[16:17]
	s_and_saveexec_b64 s[28:29], vcc
	s_xor_b64 s[64:65], exec, s[28:29]
	s_cbranch_execz .LBB6_2494
; %bb.2485:                             ;   in Loop: Header=BB6_2208 Depth=3
	v_and_b32_e32 v16, 0x7fffffff, v2
	v_mov_b32_e32 v17, v27
	v_cmp_gt_u64_e32 vcc, s[54:55], v[16:17]
	s_and_saveexec_b64 s[66:67], vcc
	s_cbranch_execz .LBB6_2493
; %bb.2486:                             ;   in Loop: Header=BB6_2208 Depth=3
	v_cmp_ne_u32_e32 vcc, 0, v2
	v_mov_b32_e32 v38, 0
	s_and_saveexec_b64 s[68:69], vcc
	s_cbranch_execz .LBB6_2492
; %bb.2487:                             ;   in Loop: Header=BB6_2208 Depth=3
	v_bfe_u32 v2, v2, 23, 8
	v_sub_u32_e32 v6, 0x79, v2
	v_cmp_gt_u32_e32 vcc, s93, v2
	v_add_u32_e32 v3, 0xffffff81, v2
	v_cndmask_b32_e32 v6, 0, v6, vcc
	v_cmp_eq_u32_e32 vcc, 0, v2
	v_mov_b32_e32 v0, 0xffffff82
	v_cndmask_b32_e32 v20, v3, v0, vcc
	v_mov_b32_e32 v0, 0x78
	v_cndmask_b32_e32 v6, v6, v0, vcc
	v_add_u32_e32 v2, 20, v6
	v_or_b32_e32 v7, 0x800000, v26
	v_lshlrev_b64 v[2:3], v2, -1
	v_cndmask_b32_e32 v26, v7, v26, vcc
	v_not_b32_e32 v2, v2
	v_and_b32_e32 v16, v26, v2
	v_add_u32_e32 v2, 19, v6
	v_lshrrev_b64 v[50:51], v6, v[26:27]
	v_not_b32_e32 v3, v3
	v_lshlrev_b64 v[38:39], v2, 1
	v_lshrrev_b32_e32 v2, 23, v50
	v_and_b32_e32 v17, 0, v3
	v_add3_u32 v20, v6, v20, v2
	v_bfe_u32 v2, v50, 20, 1
	v_add_u32_e32 v2, -1, v2
	v_cmp_eq_u64_e32 vcc, v[16:17], v[38:39]
	v_cndmask_b32_e32 v2, 0, v2, vcc
	v_add_u32_e32 v2, v2, v50
	v_and_b32_e32 v2, 0xfffff, v2
	v_add_co_u32_e32 v16, vcc, v2, v50
	v_add_u32_e32 v3, 6, v20
	v_addc_co_u32_e32 v17, vcc, 0, v51, vcc
	v_cmp_ne_u32_e32 vcc, 0, v3
                                        ; implicit-def: $vgpr2
	s_and_saveexec_b64 s[28:29], vcc
	s_xor_b64 s[28:29], exec, s[28:29]
; %bb.2488:                             ;   in Loop: Header=BB6_2208 Depth=3
	v_add_u32_e32 v2, 7, v20
	v_cmp_lt_u64_e32 vcc, s[56:57], v[16:17]
	v_cndmask_b32_e32 v2, v3, v2, vcc
	v_cndmask_b32_e64 v3, 0, 1, vcc
	v_lshrrev_b64 v[16:17], v3, v[16:17]
; %bb.2489:                             ;   in Loop: Header=BB6_2208 Depth=3
	s_andn2_saveexec_b64 s[28:29], s[28:29]
; %bb.2490:                             ;   in Loop: Header=BB6_2208 Depth=3
	v_bfe_u32 v2, v16, 23, 1
; %bb.2491:                             ;   in Loop: Header=BB6_2208 Depth=3
	s_or_b64 exec, exec, s[28:29]
	v_lshrrev_b64 v[16:17], 20, v[16:17]
	v_cmp_gt_i32_e32 vcc, 16, v2
	v_cndmask_b32_e32 v17, 0, v17, vcc
	v_cndmask_b32_e32 v16, 7, v16, vcc
	v_cmp_eq_u32_e32 vcc, 0, v2
	v_min_i32_e32 v2, 15, v2
	v_cmp_eq_u64_e64 s[28:29], 0, v[16:17]
	v_lshlrev_b32_e32 v2, 3, v2
	v_and_or_b32 v2, v16, 7, v2
	s_and_b64 s[28:29], vcc, s[28:29]
	v_cndmask_b32_e64 v2, v2, 0, s[28:29]
	v_or_b32_e32 v38, v2, v1
.LBB6_2492:                             ;   in Loop: Header=BB6_2208 Depth=3
	s_or_b64 exec, exec, s[68:69]
.LBB6_2493:                             ;   in Loop: Header=BB6_2208 Depth=3
	s_or_b64 exec, exec, s[66:67]
                                        ; implicit-def: $vgpr2
.LBB6_2494:                             ;   in Loop: Header=BB6_2208 Depth=3
	s_andn2_saveexec_b64 s[28:29], s[64:65]
; %bb.2495:                             ;   in Loop: Header=BB6_2208 Depth=3
	v_or_b32_sdwa v1, v2, s92 dst_sel:DWORD dst_unused:UNUSED_PAD src0_sel:BYTE_3 src1_sel:DWORD
	v_cmp_eq_u64_e32 vcc, 0, v[26:27]
	v_cndmask_b32_e32 v38, v1, v38, vcc
; %bb.2496:                             ;   in Loop: Header=BB6_2208 Depth=3
	s_or_b64 exec, exec, s[28:29]
	v_mov_b32_e32 v26, v23
	v_cmp_ne_u16_sdwa vcc, v23, v27 src0_sel:BYTE_0 src1_sel:DWORD
	v_mov_b32_e32 v2, 0
	v_mov_b32_e32 v1, 0
	s_and_saveexec_b64 s[28:29], vcc
	s_cbranch_execz .LBB6_2502
; %bb.2497:                             ;   in Loop: Header=BB6_2208 Depth=3
	v_cmp_ne_u16_sdwa vcc, v23, s91 src0_sel:BYTE_0 src1_sel:DWORD
	v_bfrev_b32_e32 v1, 1
	s_and_saveexec_b64 s[64:65], vcc
	s_cbranch_execz .LBB6_2501
; %bb.2498:                             ;   in Loop: Header=BB6_2208 Depth=3
	v_and_b32_e32 v3, 0x7f, v23
	v_cmp_ne_u32_e32 vcc, s92, v3
	v_mov_b32_e32 v1, 0x7f800001
	s_and_saveexec_b64 s[66:67], vcc
	s_cbranch_execz .LBB6_2500
; %bb.2499:                             ;   in Loop: Header=BB6_2208 Depth=3
	v_and_b32_e32 v1, 7, v23
	v_ffbh_u32_e32 v1, v1
	v_min_u32_e32 v1, 32, v1
	v_subrev_u32_e32 v7, 28, v1
	v_cmp_gt_u32_e32 vcc, 8, v3
	v_lshrrev_b32_e32 v6, 3, v3
	v_cndmask_b32_e32 v3, 0, v7, vcc
	v_sub_u32_e32 v1, 29, v1
	v_lshlrev_b64 v[16:17], v3, v[26:27]
	v_cndmask_b32_e32 v1, v6, v1, vcc
	v_lshlrev_b32_e32 v3, 20, v16
	v_lshlrev_b32_e32 v6, 24, v26
	v_and_b32_e32 v3, 0x700000, v3
	v_and_b32_e32 v6, 0x80000000, v6
	v_lshl_add_u32 v1, v1, 23, v31
	v_or3_b32 v1, v6, v1, v3
.LBB6_2500:                             ;   in Loop: Header=BB6_2208 Depth=3
	s_or_b64 exec, exec, s[66:67]
.LBB6_2501:                             ;   in Loop: Header=BB6_2208 Depth=3
	s_or_b64 exec, exec, s[64:65]
.LBB6_2502:                             ;   in Loop: Header=BB6_2208 Depth=3
	s_or_b64 exec, exec, s[28:29]
	v_cmp_ne_u16_sdwa vcc, v19, v27 src0_sel:BYTE_0 src1_sel:DWORD
	s_and_saveexec_b64 s[28:29], vcc
	s_cbranch_execz .LBB6_2508
; %bb.2503:                             ;   in Loop: Header=BB6_2208 Depth=3
	v_cmp_ne_u16_sdwa vcc, v19, s91 src0_sel:BYTE_0 src1_sel:DWORD
	v_bfrev_b32_e32 v2, 1
	s_and_saveexec_b64 s[64:65], vcc
	s_cbranch_execz .LBB6_2507
; %bb.2504:                             ;   in Loop: Header=BB6_2208 Depth=3
	v_and_b32_e32 v3, 0x7f, v19
	v_cmp_ne_u32_e32 vcc, s92, v3
	v_mov_b32_e32 v2, 0x7f800001
	s_and_saveexec_b64 s[66:67], vcc
	s_cbranch_execz .LBB6_2506
; %bb.2505:                             ;   in Loop: Header=BB6_2208 Depth=3
	v_and_b32_e32 v2, 7, v19
	v_ffbh_u32_e32 v2, v2
	v_min_u32_e32 v2, 32, v2
	v_lshrrev_b32_e32 v6, 3, v3
	v_subrev_u32_e32 v7, 28, v2
	v_sub_u32_e32 v2, 29, v2
	v_cmp_gt_u32_e32 vcc, 8, v3
	v_mov_b32_e32 v16, v19
	v_mov_b32_e32 v17, v27
	v_cndmask_b32_e32 v6, v6, v2, vcc
	v_cndmask_b32_e32 v2, 0, v7, vcc
	v_lshlrev_b64 v[2:3], v2, v[16:17]
	v_lshlrev_b32_e32 v2, 20, v2
	v_lshlrev_b32_e32 v3, 24, v16
	v_and_b32_e32 v2, 0x700000, v2
	v_and_b32_e32 v3, 0x80000000, v3
	v_lshl_add_u32 v6, v6, 23, v31
	v_or3_b32 v2, v3, v6, v2
.LBB6_2506:                             ;   in Loop: Header=BB6_2208 Depth=3
	s_or_b64 exec, exec, s[66:67]
.LBB6_2507:                             ;   in Loop: Header=BB6_2208 Depth=3
	s_or_b64 exec, exec, s[64:65]
.LBB6_2508:                             ;   in Loop: Header=BB6_2208 Depth=3
	s_or_b64 exec, exec, s[28:29]
	v_add_f32_e32 v2, v1, v2
	v_and_b32_sdwa v1, v2, s91 dst_sel:DWORD dst_unused:UNUSED_PAD src0_sel:BYTE_3 src1_sel:DWORD
	v_and_b32_e32 v16, 0x7fffff, v2
	v_mov_b32_e32 v17, v27
	v_or_b32_e32 v3, 0x7e, v1
	v_and_b32_e32 v50, 0x7f800000, v2
	v_mov_b32_e32 v51, v27
	v_cmp_ne_u64_e32 vcc, s[52:53], v[50:51]
	s_mov_b64 s[28:29], exec
	s_and_b64 vcc, s[28:29], vcc
	s_xor_b64 s[64:65], vcc, s[28:29]
	v_mov_b32_e32 v37, v42
	s_mov_b64 exec, vcc
	s_cbranch_execz .LBB6_2518
; %bb.2509:                             ;   in Loop: Header=BB6_2208 Depth=3
	v_and_b32_e32 v50, 0x7fffffff, v2
	v_mov_b32_e32 v51, v27
	v_cmp_gt_u64_e32 vcc, s[54:55], v[50:51]
	s_and_saveexec_b64 s[66:67], vcc
	s_cbranch_execz .LBB6_2517
; %bb.2510:                             ;   in Loop: Header=BB6_2208 Depth=3
	v_cmp_ne_u32_e32 vcc, 0, v2
	v_mov_b32_e32 v3, 0
	s_and_saveexec_b64 s[68:69], vcc
	s_cbranch_execz .LBB6_2516
; %bb.2511:                             ;   in Loop: Header=BB6_2208 Depth=3
	v_bfe_u32 v2, v2, 23, 8
	v_sub_u32_e32 v6, 0x79, v2
	v_cmp_gt_u32_e32 vcc, s93, v2
	v_add_u32_e32 v3, 0xffffff81, v2
	v_cndmask_b32_e32 v6, 0, v6, vcc
	v_cmp_eq_u32_e32 vcc, 0, v2
	v_mov_b32_e32 v0, 0xffffff82
	v_cndmask_b32_e32 v20, v3, v0, vcc
	v_mov_b32_e32 v0, 0x78
	v_cndmask_b32_e32 v6, v6, v0, vcc
	v_add_u32_e32 v2, 20, v6
	v_or_b32_e32 v7, 0x800000, v16
	v_lshlrev_b64 v[2:3], v2, -1
	v_cndmask_b32_e32 v16, v7, v16, vcc
	v_not_b32_e32 v2, v2
	v_and_b32_e32 v50, v16, v2
	v_add_u32_e32 v2, 19, v6
	v_lshrrev_b64 v[16:17], v6, v[16:17]
	v_not_b32_e32 v3, v3
	v_lshlrev_b64 v[42:43], v2, 1
	v_lshrrev_b32_e32 v2, 23, v16
	v_and_b32_e32 v51, 0, v3
	v_add3_u32 v20, v6, v20, v2
	v_bfe_u32 v2, v16, 20, 1
	v_add_u32_e32 v2, -1, v2
	v_cmp_eq_u64_e32 vcc, v[50:51], v[42:43]
	v_cndmask_b32_e32 v2, 0, v2, vcc
	v_add_u32_e32 v2, v2, v16
	v_and_b32_e32 v2, 0xfffff, v2
	v_add_co_u32_e32 v16, vcc, v2, v16
	v_add_u32_e32 v3, 6, v20
	v_addc_co_u32_e32 v17, vcc, 0, v17, vcc
	v_cmp_ne_u32_e32 vcc, 0, v3
                                        ; implicit-def: $vgpr2
	s_and_saveexec_b64 s[28:29], vcc
	s_xor_b64 s[28:29], exec, s[28:29]
; %bb.2512:                             ;   in Loop: Header=BB6_2208 Depth=3
	v_add_u32_e32 v2, 7, v20
	v_cmp_lt_u64_e32 vcc, s[56:57], v[16:17]
	v_cndmask_b32_e32 v2, v3, v2, vcc
	v_cndmask_b32_e64 v3, 0, 1, vcc
	v_lshrrev_b64 v[16:17], v3, v[16:17]
; %bb.2513:                             ;   in Loop: Header=BB6_2208 Depth=3
	s_andn2_saveexec_b64 s[28:29], s[28:29]
; %bb.2514:                             ;   in Loop: Header=BB6_2208 Depth=3
	v_bfe_u32 v2, v16, 23, 1
; %bb.2515:                             ;   in Loop: Header=BB6_2208 Depth=3
	s_or_b64 exec, exec, s[28:29]
	v_lshrrev_b64 v[16:17], 20, v[16:17]
	v_cmp_gt_i32_e32 vcc, 16, v2
	v_cndmask_b32_e32 v17, 0, v17, vcc
	v_cndmask_b32_e32 v16, 7, v16, vcc
	v_cmp_eq_u32_e32 vcc, 0, v2
	v_min_i32_e32 v2, 15, v2
	v_cmp_eq_u64_e64 s[28:29], 0, v[16:17]
	v_lshlrev_b32_e32 v2, 3, v2
	v_and_or_b32 v2, v16, 7, v2
	s_and_b64 s[28:29], vcc, s[28:29]
	v_cndmask_b32_e64 v2, v2, 0, s[28:29]
	v_or_b32_e32 v3, v2, v1
	v_mov_b32_e32 v42, v37
.LBB6_2516:                             ;   in Loop: Header=BB6_2208 Depth=3
	s_or_b64 exec, exec, s[68:69]
.LBB6_2517:                             ;   in Loop: Header=BB6_2208 Depth=3
	s_or_b64 exec, exec, s[66:67]
                                        ; implicit-def: $vgpr2
                                        ; implicit-def: $vgpr16_vgpr17
.LBB6_2518:                             ;   in Loop: Header=BB6_2208 Depth=3
	s_andn2_saveexec_b64 s[28:29], s[64:65]
; %bb.2519:                             ;   in Loop: Header=BB6_2208 Depth=3
	v_or_b32_sdwa v1, v2, s92 dst_sel:DWORD dst_unused:UNUSED_PAD src0_sel:BYTE_3 src1_sel:DWORD
	v_cmp_eq_u64_e32 vcc, 0, v[16:17]
	v_cndmask_b32_e32 v3, v1, v3, vcc
; %bb.2520:                             ;   in Loop: Header=BB6_2208 Depth=3
	s_or_b64 exec, exec, s[28:29]
	v_lshrrev_b16_e32 v16, 8, v26
	v_cmp_ne_u16_e32 vcc, 0, v16
	v_mov_b32_e32 v1, 0
	v_mov_b32_e32 v2, 0
	s_and_saveexec_b64 s[28:29], vcc
	s_cbranch_execz .LBB6_2526
; %bb.2521:                             ;   in Loop: Header=BB6_2208 Depth=3
	v_cmp_ne_u16_e32 vcc, s91, v16
	v_bfrev_b32_e32 v2, 1
	s_and_saveexec_b64 s[64:65], vcc
	s_cbranch_execz .LBB6_2525
; %bb.2522:                             ;   in Loop: Header=BB6_2208 Depth=3
	v_and_b32_e32 v17, 0x7f, v16
	v_cmp_ne_u32_e32 vcc, s92, v17
	v_mov_b32_e32 v2, 0x7f800001
	s_and_saveexec_b64 s[66:67], vcc
	s_cbranch_execz .LBB6_2524
; %bb.2523:                             ;   in Loop: Header=BB6_2208 Depth=3
	v_and_b32_e32 v2, 7, v16
	v_ffbh_u32_e32 v7, v2
	v_min_u32_e32 v7, 32, v7
	v_subrev_u32_e32 v20, 28, v7
	v_lshlrev_b64 v[50:51], v20, v[16:17]
	v_lshrrev_b32_e32 v6, 3, v17
	v_sub_u32_e32 v7, 29, v7
	v_and_b32_e32 v16, 7, v50
	v_cmp_gt_u32_e32 vcc, 8, v17
	v_cndmask_b32_e32 v6, v6, v7, vcc
	v_cndmask_b32_e32 v2, v2, v16, vcc
	v_lshlrev_b32_e32 v7, 16, v26
	v_lshlrev_b32_e32 v2, 20, v2
	v_and_b32_e32 v7, 0x80000000, v7
	v_lshl_add_u32 v6, v6, 23, v31
	v_or3_b32 v2, v7, v6, v2
.LBB6_2524:                             ;   in Loop: Header=BB6_2208 Depth=3
	s_or_b64 exec, exec, s[66:67]
.LBB6_2525:                             ;   in Loop: Header=BB6_2208 Depth=3
	s_or_b64 exec, exec, s[64:65]
.LBB6_2526:                             ;   in Loop: Header=BB6_2208 Depth=3
	s_or_b64 exec, exec, s[28:29]
	v_mov_b32_e32 v16, v19
	v_lshrrev_b16_e32 v20, 8, v16
	v_cmp_ne_u16_e32 vcc, 0, v20
	s_and_saveexec_b64 s[28:29], vcc
	s_cbranch_execz .LBB6_2532
; %bb.2527:                             ;   in Loop: Header=BB6_2208 Depth=3
	v_cmp_ne_u16_e32 vcc, s91, v20
	v_bfrev_b32_e32 v1, 1
	s_and_saveexec_b64 s[64:65], vcc
	s_cbranch_execz .LBB6_2531
; %bb.2528:                             ;   in Loop: Header=BB6_2208 Depth=3
	v_and_b32_e32 v17, 0x7f, v20
	v_cmp_ne_u32_e32 vcc, s92, v17
	v_mov_b32_e32 v1, 0x7f800001
	s_and_saveexec_b64 s[66:67], vcc
	s_cbranch_execz .LBB6_2530
; %bb.2529:                             ;   in Loop: Header=BB6_2208 Depth=3
	v_and_b32_e32 v1, 7, v20
	v_ffbh_u32_e32 v7, v1
	v_min_u32_e32 v7, 32, v7
	v_subrev_u32_e32 v26, 28, v7
	v_lshlrev_b64 v[50:51], v26, v[20:21]
	v_lshrrev_b32_e32 v6, 3, v17
	v_sub_u32_e32 v7, 29, v7
	v_and_b32_e32 v20, 7, v50
	v_cmp_gt_u32_e32 vcc, 8, v17
	v_cndmask_b32_e32 v6, v6, v7, vcc
	v_cndmask_b32_e32 v1, v1, v20, vcc
	v_lshlrev_b32_e32 v7, 16, v16
	v_lshlrev_b32_e32 v1, 20, v1
	v_and_b32_e32 v7, 0x80000000, v7
	v_lshl_add_u32 v6, v6, 23, v31
	v_or3_b32 v1, v7, v6, v1
.LBB6_2530:                             ;   in Loop: Header=BB6_2208 Depth=3
	s_or_b64 exec, exec, s[66:67]
.LBB6_2531:                             ;   in Loop: Header=BB6_2208 Depth=3
	s_or_b64 exec, exec, s[64:65]
.LBB6_2532:                             ;   in Loop: Header=BB6_2208 Depth=3
	s_or_b64 exec, exec, s[28:29]
	v_add_f32_e32 v2, v2, v1
	v_and_b32_sdwa v1, v2, s91 dst_sel:DWORD dst_unused:UNUSED_PAD src0_sel:BYTE_3 src1_sel:DWORD
	v_and_b32_e32 v16, 0x7f800000, v2
	v_mov_b32_e32 v17, v27
	v_and_b32_e32 v26, 0x7fffff, v2
	v_or_b32_e32 v20, 0x7e, v1
	v_cmp_ne_u64_e32 vcc, s[52:53], v[16:17]
	s_and_saveexec_b64 s[28:29], vcc
	s_xor_b64 s[64:65], exec, s[28:29]
	s_cbranch_execz .LBB6_2542
; %bb.2533:                             ;   in Loop: Header=BB6_2208 Depth=3
	v_and_b32_e32 v16, 0x7fffffff, v2
	v_mov_b32_e32 v17, v27
	v_cmp_gt_u64_e32 vcc, s[54:55], v[16:17]
	s_and_saveexec_b64 s[66:67], vcc
	s_cbranch_execz .LBB6_2541
; %bb.2534:                             ;   in Loop: Header=BB6_2208 Depth=3
	v_cmp_ne_u32_e32 vcc, 0, v2
	v_mov_b32_e32 v20, 0
	s_and_saveexec_b64 s[68:69], vcc
	s_cbranch_execz .LBB6_2540
; %bb.2535:                             ;   in Loop: Header=BB6_2208 Depth=3
	v_bfe_u32 v2, v2, 23, 8
	v_sub_u32_e32 v7, 0x79, v2
	v_cmp_gt_u32_e32 vcc, s93, v2
	v_add_u32_e32 v6, 0xffffff81, v2
	v_cndmask_b32_e32 v7, 0, v7, vcc
	v_cmp_eq_u32_e32 vcc, 0, v2
	v_mov_b32_e32 v0, 0xffffff82
	v_cndmask_b32_e32 v2, v6, v0, vcc
	v_mov_b32_e32 v0, 0x78
	v_cndmask_b32_e32 v6, v7, v0, vcc
	v_or_b32_e32 v16, 0x800000, v26
	v_add_u32_e32 v7, 20, v6
	v_cndmask_b32_e32 v26, v16, v26, vcc
	v_lshlrev_b64 v[16:17], v7, -1
	v_not_b32_e32 v7, v17
	v_and_b32_e32 v17, 0, v7
	v_add_u32_e32 v7, 19, v6
	v_lshrrev_b64 v[42:43], v6, v[26:27]
	v_not_b32_e32 v16, v16
	v_lshlrev_b64 v[50:51], v7, 1
	v_lshrrev_b32_e32 v7, 23, v42
	v_and_b32_e32 v16, v26, v16
	v_add3_u32 v26, v6, v2, v7
	v_bfe_u32 v2, v42, 20, 1
	v_add_u32_e32 v2, -1, v2
	v_cmp_eq_u64_e32 vcc, v[16:17], v[50:51]
	v_cndmask_b32_e32 v2, 0, v2, vcc
	v_add_u32_e32 v2, v2, v42
	v_and_b32_e32 v2, 0xfffff, v2
	v_add_co_u32_e32 v16, vcc, v2, v42
	v_add_u32_e32 v20, 6, v26
	v_addc_co_u32_e32 v17, vcc, 0, v43, vcc
	v_cmp_ne_u32_e32 vcc, 0, v20
                                        ; implicit-def: $vgpr2
	s_and_saveexec_b64 s[28:29], vcc
	s_xor_b64 s[28:29], exec, s[28:29]
; %bb.2536:                             ;   in Loop: Header=BB6_2208 Depth=3
	v_cmp_lt_u64_e32 vcc, s[56:57], v[16:17]
	v_add_u32_e32 v2, 7, v26
	v_cndmask_b32_e64 v6, 0, 1, vcc
	v_cndmask_b32_e32 v2, v20, v2, vcc
	v_lshrrev_b64 v[16:17], v6, v[16:17]
; %bb.2537:                             ;   in Loop: Header=BB6_2208 Depth=3
	s_andn2_saveexec_b64 s[28:29], s[28:29]
; %bb.2538:                             ;   in Loop: Header=BB6_2208 Depth=3
	v_bfe_u32 v2, v16, 23, 1
; %bb.2539:                             ;   in Loop: Header=BB6_2208 Depth=3
	s_or_b64 exec, exec, s[28:29]
	v_lshrrev_b64 v[16:17], 20, v[16:17]
	v_cmp_gt_i32_e32 vcc, 16, v2
	v_cndmask_b32_e32 v17, 0, v17, vcc
	v_cndmask_b32_e32 v16, 7, v16, vcc
	v_cmp_eq_u32_e32 vcc, 0, v2
	v_min_i32_e32 v2, 15, v2
	v_cmp_eq_u64_e64 s[28:29], 0, v[16:17]
	v_lshlrev_b32_e32 v2, 3, v2
	v_and_or_b32 v2, v16, 7, v2
	s_and_b64 s[28:29], vcc, s[28:29]
	v_cndmask_b32_e64 v2, v2, 0, s[28:29]
	v_or_b32_e32 v20, v2, v1
	v_mov_b32_e32 v42, v37
.LBB6_2540:                             ;   in Loop: Header=BB6_2208 Depth=3
	s_or_b64 exec, exec, s[68:69]
.LBB6_2541:                             ;   in Loop: Header=BB6_2208 Depth=3
	s_or_b64 exec, exec, s[66:67]
                                        ; implicit-def: $vgpr2
.LBB6_2542:                             ;   in Loop: Header=BB6_2208 Depth=3
	s_andn2_saveexec_b64 s[28:29], s[64:65]
; %bb.2543:                             ;   in Loop: Header=BB6_2208 Depth=3
	v_or_b32_sdwa v1, v2, s92 dst_sel:DWORD dst_unused:UNUSED_PAD src0_sel:BYTE_3 src1_sel:DWORD
	v_cmp_eq_u64_e32 vcc, 0, v[26:27]
	v_cndmask_b32_e32 v20, v1, v20, vcc
; %bb.2544:                             ;   in Loop: Header=BB6_2208 Depth=3
	s_or_b64 exec, exec, s[28:29]
	v_lshrrev_b32_e32 v16, 16, v23
	v_cmp_ne_u16_sdwa vcc, v16, v27 src0_sel:BYTE_0 src1_sel:DWORD
	v_mov_b32_e32 v1, 0
	v_mov_b32_e32 v2, 0
	s_and_saveexec_b64 s[28:29], vcc
	s_cbranch_execz .LBB6_2550
; %bb.2545:                             ;   in Loop: Header=BB6_2208 Depth=3
	v_cmp_ne_u16_sdwa vcc, v16, s91 src0_sel:BYTE_0 src1_sel:DWORD
	v_bfrev_b32_e32 v2, 1
	s_and_saveexec_b64 s[64:65], vcc
	s_cbranch_execz .LBB6_2549
; %bb.2546:                             ;   in Loop: Header=BB6_2208 Depth=3
	v_bfe_u32 v17, v23, 16, 7
	v_cmp_ne_u32_e32 vcc, s92, v17
	v_mov_b32_e32 v2, 0x7f800001
	s_and_saveexec_b64 s[66:67], vcc
	s_cbranch_execz .LBB6_2548
; %bb.2547:                             ;   in Loop: Header=BB6_2208 Depth=3
	v_and_b32_e32 v2, 7, v16
	v_ffbh_u32_e32 v7, v2
	v_min_u32_e32 v7, 32, v7
	v_subrev_u32_e32 v26, 28, v7
	v_lshlrev_b64 v[50:51], v26, v[16:17]
	v_lshrrev_b32_e32 v6, 3, v17
	v_sub_u32_e32 v7, 29, v7
	v_and_b32_e32 v26, 7, v50
	v_cmp_gt_u32_e32 vcc, 8, v17
	v_cndmask_b32_e32 v6, v6, v7, vcc
	v_cndmask_b32_e32 v2, v2, v26, vcc
	v_lshlrev_b32_e32 v7, 24, v16
	v_lshlrev_b32_e32 v2, 20, v2
	v_and_b32_e32 v7, 0x80000000, v7
	v_lshl_add_u32 v6, v6, 23, v31
	v_or3_b32 v2, v7, v6, v2
.LBB6_2548:                             ;   in Loop: Header=BB6_2208 Depth=3
	s_or_b64 exec, exec, s[66:67]
.LBB6_2549:                             ;   in Loop: Header=BB6_2208 Depth=3
	s_or_b64 exec, exec, s[64:65]
.LBB6_2550:                             ;   in Loop: Header=BB6_2208 Depth=3
	s_or_b64 exec, exec, s[28:29]
	v_lshrrev_b32_e32 v16, 16, v19
	v_cmp_ne_u16_sdwa vcc, v16, v27 src0_sel:BYTE_0 src1_sel:DWORD
	s_and_saveexec_b64 s[28:29], vcc
	s_cbranch_execz .LBB6_2556
; %bb.2551:                             ;   in Loop: Header=BB6_2208 Depth=3
	v_cmp_ne_u16_sdwa vcc, v16, s91 src0_sel:BYTE_0 src1_sel:DWORD
	v_bfrev_b32_e32 v1, 1
	s_and_saveexec_b64 s[64:65], vcc
	s_cbranch_execz .LBB6_2555
; %bb.2552:                             ;   in Loop: Header=BB6_2208 Depth=3
	v_bfe_u32 v17, v19, 16, 7
	v_cmp_ne_u32_e32 vcc, s92, v17
	v_mov_b32_e32 v1, 0x7f800001
	s_and_saveexec_b64 s[66:67], vcc
	s_cbranch_execz .LBB6_2554
; %bb.2553:                             ;   in Loop: Header=BB6_2208 Depth=3
	v_and_b32_e32 v1, 7, v16
	v_ffbh_u32_e32 v7, v1
	v_min_u32_e32 v7, 32, v7
	v_subrev_u32_e32 v26, 28, v7
	v_lshlrev_b64 v[50:51], v26, v[16:17]
	v_lshrrev_b32_e32 v6, 3, v17
	v_sub_u32_e32 v7, 29, v7
	v_and_b32_e32 v16, 7, v50
	v_cmp_gt_u32_e32 vcc, 8, v17
	v_cndmask_b32_e32 v6, v6, v7, vcc
	v_cndmask_b32_e32 v1, v1, v16, vcc
	v_lshlrev_b32_e32 v7, 8, v19
	v_lshlrev_b32_e32 v1, 20, v1
	v_and_b32_e32 v7, 0x80000000, v7
	v_lshl_add_u32 v6, v6, 23, v31
	v_or3_b32 v1, v7, v6, v1
.LBB6_2554:                             ;   in Loop: Header=BB6_2208 Depth=3
	s_or_b64 exec, exec, s[66:67]
.LBB6_2555:                             ;   in Loop: Header=BB6_2208 Depth=3
	s_or_b64 exec, exec, s[64:65]
.LBB6_2556:                             ;   in Loop: Header=BB6_2208 Depth=3
	s_or_b64 exec, exec, s[28:29]
	v_add_f32_e32 v16, v2, v1
	v_and_b32_sdwa v1, v16, s91 dst_sel:DWORD dst_unused:UNUSED_PAD src0_sel:BYTE_3 src1_sel:DWORD
	v_and_b32_e32 v50, 0x7f800000, v16
	v_mov_b32_e32 v51, v27
	v_and_b32_e32 v26, 0x7fffff, v16
	v_or_b32_e32 v2, 0x7e, v1
	v_cmp_ne_u64_e32 vcc, s[52:53], v[50:51]
	s_and_saveexec_b64 s[28:29], vcc
	s_xor_b64 s[64:65], exec, s[28:29]
	s_cbranch_execz .LBB6_2566
; %bb.2557:                             ;   in Loop: Header=BB6_2208 Depth=3
	v_and_b32_e32 v50, 0x7fffffff, v16
	v_mov_b32_e32 v51, v27
	v_cmp_gt_u64_e32 vcc, s[54:55], v[50:51]
	s_and_saveexec_b64 s[66:67], vcc
	s_cbranch_execz .LBB6_2565
; %bb.2558:                             ;   in Loop: Header=BB6_2208 Depth=3
	v_cmp_ne_u32_e32 vcc, 0, v16
	v_mov_b32_e32 v2, 0
	s_and_saveexec_b64 s[68:69], vcc
	s_cbranch_execz .LBB6_2564
; %bb.2559:                             ;   in Loop: Header=BB6_2208 Depth=3
	v_bfe_u32 v2, v16, 23, 8
	v_sub_u32_e32 v7, 0x79, v2
	v_cmp_gt_u32_e32 vcc, s93, v2
	v_add_u32_e32 v6, 0xffffff81, v2
	v_cndmask_b32_e32 v7, 0, v7, vcc
	v_cmp_eq_u32_e32 vcc, 0, v2
	v_mov_b32_e32 v0, 0xffffff82
	v_cndmask_b32_e32 v2, v6, v0, vcc
	v_mov_b32_e32 v0, 0x78
	v_cndmask_b32_e32 v6, v7, v0, vcc
	v_or_b32_e32 v16, 0x800000, v26
	v_add_u32_e32 v7, 20, v6
	v_cndmask_b32_e32 v26, v16, v26, vcc
	v_lshlrev_b64 v[16:17], v7, -1
	v_not_b32_e32 v7, v17
	v_and_b32_e32 v17, 0, v7
	v_add_u32_e32 v7, 19, v6
	v_lshrrev_b64 v[42:43], v6, v[26:27]
	v_not_b32_e32 v16, v16
	v_lshlrev_b64 v[50:51], v7, 1
	v_lshrrev_b32_e32 v7, 23, v42
	v_and_b32_e32 v16, v26, v16
	v_add3_u32 v29, v6, v2, v7
	v_bfe_u32 v2, v42, 20, 1
	v_add_u32_e32 v2, -1, v2
	v_cmp_eq_u64_e32 vcc, v[16:17], v[50:51]
	v_cndmask_b32_e32 v2, 0, v2, vcc
	v_add_u32_e32 v2, v2, v42
	v_and_b32_e32 v2, 0xfffff, v2
	v_add_co_u32_e32 v16, vcc, v2, v42
	v_add_u32_e32 v26, 6, v29
	v_addc_co_u32_e32 v17, vcc, 0, v43, vcc
	v_cmp_ne_u32_e32 vcc, 0, v26
                                        ; implicit-def: $vgpr2
	s_and_saveexec_b64 s[28:29], vcc
	s_xor_b64 s[28:29], exec, s[28:29]
; %bb.2560:                             ;   in Loop: Header=BB6_2208 Depth=3
	v_cmp_lt_u64_e32 vcc, s[56:57], v[16:17]
	v_add_u32_e32 v2, 7, v29
	v_cndmask_b32_e64 v6, 0, 1, vcc
	v_cndmask_b32_e32 v2, v26, v2, vcc
	v_lshrrev_b64 v[16:17], v6, v[16:17]
; %bb.2561:                             ;   in Loop: Header=BB6_2208 Depth=3
	s_andn2_saveexec_b64 s[28:29], s[28:29]
; %bb.2562:                             ;   in Loop: Header=BB6_2208 Depth=3
	v_bfe_u32 v2, v16, 23, 1
; %bb.2563:                             ;   in Loop: Header=BB6_2208 Depth=3
	s_or_b64 exec, exec, s[28:29]
	v_lshrrev_b64 v[16:17], 20, v[16:17]
	v_cmp_gt_i32_e32 vcc, 16, v2
	v_cndmask_b32_e32 v17, 0, v17, vcc
	v_cndmask_b32_e32 v16, 7, v16, vcc
	v_cmp_eq_u32_e32 vcc, 0, v2
	v_min_i32_e32 v2, 15, v2
	v_lshlrev_b32_e32 v2, 3, v2
	v_cmp_eq_u64_e64 s[28:29], 0, v[16:17]
	v_and_b32_e32 v2, 0xf8, v2
	v_and_or_b32 v2, v16, 7, v2
	s_and_b64 s[28:29], vcc, s[28:29]
	v_cndmask_b32_e64 v2, v2, 0, s[28:29]
	v_or_b32_e32 v2, v2, v1
	v_mov_b32_e32 v42, v37
.LBB6_2564:                             ;   in Loop: Header=BB6_2208 Depth=3
	s_or_b64 exec, exec, s[68:69]
.LBB6_2565:                             ;   in Loop: Header=BB6_2208 Depth=3
	s_or_b64 exec, exec, s[66:67]
                                        ; implicit-def: $vgpr16
.LBB6_2566:                             ;   in Loop: Header=BB6_2208 Depth=3
	s_andn2_saveexec_b64 s[28:29], s[64:65]
; %bb.2567:                             ;   in Loop: Header=BB6_2208 Depth=3
	v_or_b32_sdwa v1, v16, s92 dst_sel:DWORD dst_unused:UNUSED_PAD src0_sel:BYTE_3 src1_sel:DWORD
	v_cmp_eq_u64_e32 vcc, 0, v[26:27]
	v_cndmask_b32_e32 v2, v1, v2, vcc
; %bb.2568:                             ;   in Loop: Header=BB6_2208 Depth=3
	s_or_b64 exec, exec, s[28:29]
	v_cmp_lt_u64_e32 vcc, s[42:43], v[22:23]
	v_mov_b32_e32 v1, 0
	v_mov_b32_e32 v17, 0
	s_and_saveexec_b64 s[28:29], vcc
	s_cbranch_execz .LBB6_2574
; %bb.2569:                             ;   in Loop: Header=BB6_2208 Depth=3
	v_lshrrev_b32_e32 v16, 24, v23
	v_cmp_ne_u32_e32 vcc, s91, v16
	v_bfrev_b32_e32 v17, 1
	s_and_saveexec_b64 s[64:65], vcc
	s_cbranch_execz .LBB6_2573
; %bb.2570:                             ;   in Loop: Header=BB6_2208 Depth=3
	v_bfe_u32 v22, v23, 24, 7
	v_cmp_ne_u32_e32 vcc, s92, v22
	v_mov_b32_e32 v17, 0x7f800001
	s_and_saveexec_b64 s[66:67], vcc
	s_cbranch_execz .LBB6_2572
; %bb.2571:                             ;   in Loop: Header=BB6_2208 Depth=3
	v_and_b32_e32 v6, 7, v16
	v_ffbh_u32_e32 v17, v6
	v_min_u32_e32 v17, 32, v17
	v_subrev_u32_e32 v23, 28, v17
	v_lshlrev_b64 v[50:51], v23, v[16:17]
	v_lshrrev_b32_e32 v7, 3, v22
	v_sub_u32_e32 v17, 29, v17
	v_and_b32_e32 v23, 7, v50
	v_cmp_gt_u32_e32 vcc, 8, v22
	v_cndmask_b32_e32 v7, v7, v17, vcc
	v_cndmask_b32_e32 v6, v6, v23, vcc
	v_lshlrev_b32_e32 v16, 24, v16
	v_lshlrev_b32_e32 v6, 20, v6
	v_and_b32_e32 v16, 0x80000000, v16
	v_lshl_add_u32 v7, v7, 23, v31
	v_or3_b32 v17, v16, v7, v6
.LBB6_2572:                             ;   in Loop: Header=BB6_2208 Depth=3
	s_or_b64 exec, exec, s[66:67]
.LBB6_2573:                             ;   in Loop: Header=BB6_2208 Depth=3
	s_or_b64 exec, exec, s[64:65]
.LBB6_2574:                             ;   in Loop: Header=BB6_2208 Depth=3
	s_or_b64 exec, exec, s[28:29]
	v_cmp_lt_u64_e32 vcc, s[42:43], v[18:19]
	s_and_saveexec_b64 s[28:29], vcc
	s_cbranch_execz .LBB6_2580
; %bb.2575:                             ;   in Loop: Header=BB6_2208 Depth=3
	v_lshrrev_b32_e32 v16, 24, v19
	v_cmp_ne_u32_e32 vcc, s91, v16
	v_bfrev_b32_e32 v1, 1
	s_and_saveexec_b64 s[64:65], vcc
	s_cbranch_execz .LBB6_2579
; %bb.2576:                             ;   in Loop: Header=BB6_2208 Depth=3
	v_bfe_u32 v18, v19, 24, 7
	v_cmp_ne_u32_e32 vcc, s92, v18
	v_mov_b32_e32 v1, 0x7f800001
	s_and_saveexec_b64 s[66:67], vcc
	s_cbranch_execz .LBB6_2578
; %bb.2577:                             ;   in Loop: Header=BB6_2208 Depth=3
	v_and_b32_e32 v1, 7, v16
	v_ffbh_u32_e32 v7, v1
	v_min_u32_e32 v7, 32, v7
	v_subrev_u32_e32 v19, 28, v7
	v_lshlrev_b64 v[22:23], v19, v[16:17]
	v_lshrrev_b32_e32 v6, 3, v18
	v_sub_u32_e32 v7, 29, v7
	v_and_b32_e32 v19, 7, v22
	v_cmp_gt_u32_e32 vcc, 8, v18
	v_cndmask_b32_e32 v6, v6, v7, vcc
	v_cndmask_b32_e32 v1, v1, v19, vcc
	v_lshlrev_b32_e32 v7, 24, v16
	v_lshlrev_b32_e32 v1, 20, v1
	v_and_b32_e32 v7, 0x80000000, v7
	v_lshl_add_u32 v6, v6, 23, v31
	v_or3_b32 v1, v7, v6, v1
.LBB6_2578:                             ;   in Loop: Header=BB6_2208 Depth=3
	s_or_b64 exec, exec, s[66:67]
.LBB6_2579:                             ;   in Loop: Header=BB6_2208 Depth=3
	s_or_b64 exec, exec, s[64:65]
.LBB6_2580:                             ;   in Loop: Header=BB6_2208 Depth=3
	s_or_b64 exec, exec, s[28:29]
	v_add_f32_e32 v16, v17, v1
	v_and_b32_sdwa v18, v16, s91 dst_sel:DWORD dst_unused:UNUSED_PAD src0_sel:BYTE_3 src1_sel:DWORD
	v_and_b32_e32 v22, 0x7f800000, v16
	v_mov_b32_e32 v23, v27
	v_and_b32_e32 v26, 0x7fffff, v16
	v_or_b32_e32 v1, 0x7e, v18
	v_cmp_ne_u64_e32 vcc, s[52:53], v[22:23]
	s_and_saveexec_b64 s[28:29], vcc
	s_xor_b64 s[64:65], exec, s[28:29]
	s_cbranch_execz .LBB6_2590
; %bb.2581:                             ;   in Loop: Header=BB6_2208 Depth=3
	v_and_b32_e32 v22, 0x7fffffff, v16
	v_mov_b32_e32 v23, v27
	v_cmp_gt_u64_e32 vcc, s[54:55], v[22:23]
	s_and_saveexec_b64 s[66:67], vcc
	s_cbranch_execz .LBB6_2589
; %bb.2582:                             ;   in Loop: Header=BB6_2208 Depth=3
	v_cmp_ne_u32_e32 vcc, 0, v16
	v_mov_b32_e32 v1, 0
	s_and_saveexec_b64 s[68:69], vcc
	s_cbranch_execz .LBB6_2588
; %bb.2583:                             ;   in Loop: Header=BB6_2208 Depth=3
	v_bfe_u32 v1, v16, 23, 8
	v_sub_u32_e32 v7, 0x79, v1
	v_cmp_gt_u32_e32 vcc, s93, v1
	v_add_u32_e32 v6, 0xffffff81, v1
	v_cndmask_b32_e32 v7, 0, v7, vcc
	v_cmp_eq_u32_e32 vcc, 0, v1
	v_mov_b32_e32 v0, 0xffffff82
	v_cndmask_b32_e32 v1, v6, v0, vcc
	v_mov_b32_e32 v0, 0x78
	v_cndmask_b32_e32 v6, v7, v0, vcc
	v_or_b32_e32 v16, 0x800000, v26
	v_add_u32_e32 v7, 20, v6
	v_cndmask_b32_e32 v26, v16, v26, vcc
	v_lshlrev_b64 v[16:17], v7, -1
	v_not_b32_e32 v7, v17
	v_and_b32_e32 v17, 0, v7
	v_add_u32_e32 v7, 19, v6
	v_lshrrev_b64 v[42:43], v6, v[26:27]
	v_not_b32_e32 v16, v16
	v_lshlrev_b64 v[50:51], v7, 1
	v_lshrrev_b32_e32 v7, 23, v42
	v_and_b32_e32 v16, v26, v16
	v_add3_u32 v22, v6, v1, v7
	v_bfe_u32 v1, v42, 20, 1
	v_add_u32_e32 v1, -1, v1
	v_cmp_eq_u64_e32 vcc, v[16:17], v[50:51]
	v_cndmask_b32_e32 v1, 0, v1, vcc
	v_add_u32_e32 v1, v1, v42
	v_and_b32_e32 v1, 0xfffff, v1
	v_add_co_u32_e32 v16, vcc, v1, v42
	v_add_u32_e32 v19, 6, v22
	v_addc_co_u32_e32 v17, vcc, 0, v43, vcc
	v_cmp_ne_u32_e32 vcc, 0, v19
                                        ; implicit-def: $vgpr1
	s_and_saveexec_b64 s[28:29], vcc
	s_xor_b64 s[28:29], exec, s[28:29]
; %bb.2584:                             ;   in Loop: Header=BB6_2208 Depth=3
	v_cmp_lt_u64_e32 vcc, s[56:57], v[16:17]
	v_add_u32_e32 v1, 7, v22
	v_cndmask_b32_e64 v6, 0, 1, vcc
	v_cndmask_b32_e32 v1, v19, v1, vcc
	v_lshrrev_b64 v[16:17], v6, v[16:17]
; %bb.2585:                             ;   in Loop: Header=BB6_2208 Depth=3
	s_andn2_saveexec_b64 s[28:29], s[28:29]
; %bb.2586:                             ;   in Loop: Header=BB6_2208 Depth=3
	v_bfe_u32 v1, v16, 23, 1
; %bb.2587:                             ;   in Loop: Header=BB6_2208 Depth=3
	s_or_b64 exec, exec, s[28:29]
	v_lshrrev_b64 v[16:17], 20, v[16:17]
	v_cmp_gt_i32_e32 vcc, 16, v1
	v_cndmask_b32_e32 v17, 0, v17, vcc
	v_cndmask_b32_e32 v16, 7, v16, vcc
	v_cmp_eq_u32_e32 vcc, 0, v1
	v_min_i32_e32 v1, 15, v1
	v_lshlrev_b32_e32 v1, 3, v1
	v_cmp_eq_u64_e64 s[28:29], 0, v[16:17]
	v_and_b32_e32 v1, 0xf8, v1
	v_and_or_b32 v1, v16, 7, v1
	s_and_b64 s[28:29], vcc, s[28:29]
	v_cndmask_b32_e64 v1, v1, 0, s[28:29]
	v_or_b32_e32 v1, v1, v18
	v_mov_b32_e32 v42, v37
.LBB6_2588:                             ;   in Loop: Header=BB6_2208 Depth=3
	s_or_b64 exec, exec, s[68:69]
.LBB6_2589:                             ;   in Loop: Header=BB6_2208 Depth=3
	s_or_b64 exec, exec, s[66:67]
                                        ; implicit-def: $vgpr16
.LBB6_2590:                             ;   in Loop: Header=BB6_2208 Depth=3
	s_andn2_saveexec_b64 s[28:29], s[64:65]
; %bb.2591:                             ;   in Loop: Header=BB6_2208 Depth=3
	v_or_b32_sdwa v6, v16, s92 dst_sel:DWORD dst_unused:UNUSED_PAD src0_sel:BYTE_3 src1_sel:DWORD
	v_cmp_eq_u64_e32 vcc, 0, v[26:27]
	v_cndmask_b32_e32 v1, v6, v1, vcc
; %bb.2592:                             ;   in Loop: Header=BB6_2208 Depth=3
	s_or_b64 exec, exec, s[28:29]
	v_cmp_ne_u16_sdwa vcc, v12, v27 src0_sel:BYTE_0 src1_sel:DWORD
	v_mov_b32_e32 v16, 0
	v_mov_b32_e32 v17, 0
	s_and_saveexec_b64 s[28:29], vcc
	s_cbranch_execz .LBB6_2598
; %bb.2593:                             ;   in Loop: Header=BB6_2208 Depth=3
	v_cmp_ne_u16_sdwa vcc, v12, s91 src0_sel:BYTE_0 src1_sel:DWORD
	v_bfrev_b32_e32 v17, 1
	s_and_saveexec_b64 s[64:65], vcc
	s_cbranch_execz .LBB6_2597
; %bb.2594:                             ;   in Loop: Header=BB6_2208 Depth=3
	v_and_b32_e32 v18, 0x7f, v12
	v_cmp_ne_u32_e32 vcc, s92, v18
	v_mov_b32_e32 v17, 0x7f800001
	s_and_saveexec_b64 s[66:67], vcc
	s_cbranch_execz .LBB6_2596
; %bb.2595:                             ;   in Loop: Header=BB6_2208 Depth=3
	v_and_b32_e32 v6, 7, v12
	v_ffbh_u32_e32 v6, v6
	v_min_u32_e32 v6, 32, v6
	v_lshrrev_b32_e32 v7, 3, v18
	v_subrev_u32_e32 v17, 28, v6
	v_sub_u32_e32 v6, 29, v6
	v_cmp_gt_u32_e32 vcc, 8, v18
	v_cndmask_b32_e32 v6, v7, v6, vcc
	v_cndmask_b32_e32 v7, 0, v17, vcc
	v_lshlrev_b64 v[18:19], v7, v[12:13]
	v_lshlrev_b32_e32 v7, 20, v18
	v_lshlrev_b32_e32 v17, 24, v12
	v_and_b32_e32 v7, 0x700000, v7
	v_and_b32_e32 v17, 0x80000000, v17
	v_lshl_add_u32 v6, v6, 23, v31
	v_or3_b32 v17, v17, v6, v7
.LBB6_2596:                             ;   in Loop: Header=BB6_2208 Depth=3
	s_or_b64 exec, exec, s[66:67]
.LBB6_2597:                             ;   in Loop: Header=BB6_2208 Depth=3
	s_or_b64 exec, exec, s[64:65]
.LBB6_2598:                             ;   in Loop: Header=BB6_2208 Depth=3
	s_or_b64 exec, exec, s[28:29]
	v_cmp_ne_u16_sdwa vcc, v8, v27 src0_sel:BYTE_0 src1_sel:DWORD
	s_and_saveexec_b64 s[28:29], vcc
	s_cbranch_execz .LBB6_2604
; %bb.2599:                             ;   in Loop: Header=BB6_2208 Depth=3
	v_cmp_ne_u16_sdwa vcc, v8, s91 src0_sel:BYTE_0 src1_sel:DWORD
	v_bfrev_b32_e32 v16, 1
	s_and_saveexec_b64 s[64:65], vcc
	s_cbranch_execz .LBB6_2603
; %bb.2600:                             ;   in Loop: Header=BB6_2208 Depth=3
	v_and_b32_e32 v18, 0x7f, v8
	v_cmp_ne_u32_e32 vcc, s92, v18
	v_mov_b32_e32 v16, 0x7f800001
	s_and_saveexec_b64 s[66:67], vcc
	s_cbranch_execz .LBB6_2602
; %bb.2601:                             ;   in Loop: Header=BB6_2208 Depth=3
	v_and_b32_e32 v6, 7, v8
	v_ffbh_u32_e32 v6, v6
	v_min_u32_e32 v6, 32, v6
	v_lshrrev_b32_e32 v7, 3, v18
	v_subrev_u32_e32 v16, 28, v6
	v_sub_u32_e32 v6, 29, v6
	v_cmp_gt_u32_e32 vcc, 8, v18
	v_cndmask_b32_e32 v6, v7, v6, vcc
	v_cndmask_b32_e32 v7, 0, v16, vcc
	v_lshlrev_b64 v[18:19], v7, v[8:9]
	v_lshlrev_b32_e32 v7, 20, v18
	v_lshlrev_b32_e32 v16, 24, v8
	v_and_b32_e32 v7, 0x700000, v7
	v_and_b32_e32 v16, 0x80000000, v16
	v_lshl_add_u32 v6, v6, 23, v31
	v_or3_b32 v16, v16, v6, v7
.LBB6_2602:                             ;   in Loop: Header=BB6_2208 Depth=3
	s_or_b64 exec, exec, s[66:67]
.LBB6_2603:                             ;   in Loop: Header=BB6_2208 Depth=3
	s_or_b64 exec, exec, s[64:65]
.LBB6_2604:                             ;   in Loop: Header=BB6_2208 Depth=3
	s_or_b64 exec, exec, s[28:29]
	v_add_f32_e32 v16, v17, v16
	v_and_b32_sdwa v18, v16, s91 dst_sel:DWORD dst_unused:UNUSED_PAD src0_sel:BYTE_3 src1_sel:DWORD
	v_and_b32_e32 v22, 0x7f800000, v16
	v_mov_b32_e32 v23, v27
	v_and_b32_e32 v26, 0x7fffff, v16
	v_or_b32_e32 v19, 0x7e, v18
	v_cmp_ne_u64_e32 vcc, s[52:53], v[22:23]
	s_and_saveexec_b64 s[28:29], vcc
	s_xor_b64 s[64:65], exec, s[28:29]
	s_cbranch_execz .LBB6_2614
; %bb.2605:                             ;   in Loop: Header=BB6_2208 Depth=3
	v_and_b32_e32 v22, 0x7fffffff, v16
	v_mov_b32_e32 v23, v27
	v_cmp_gt_u64_e32 vcc, s[54:55], v[22:23]
	s_and_saveexec_b64 s[66:67], vcc
	s_cbranch_execz .LBB6_2613
; %bb.2606:                             ;   in Loop: Header=BB6_2208 Depth=3
	v_cmp_ne_u32_e32 vcc, 0, v16
	v_mov_b32_e32 v19, 0
	s_and_saveexec_b64 s[68:69], vcc
	s_cbranch_execz .LBB6_2612
; %bb.2607:                             ;   in Loop: Header=BB6_2208 Depth=3
	v_bfe_u32 v6, v16, 23, 8
	v_sub_u32_e32 v16, 0x79, v6
	v_cmp_gt_u32_e32 vcc, s93, v6
	v_add_u32_e32 v7, 0xffffff81, v6
	v_cndmask_b32_e32 v16, 0, v16, vcc
	v_cmp_eq_u32_e32 vcc, 0, v6
	v_mov_b32_e32 v0, 0xffffff82
	v_cndmask_b32_e32 v6, v7, v0, vcc
	v_mov_b32_e32 v0, 0x78
	v_or_b32_e32 v17, 0x800000, v26
	v_cndmask_b32_e32 v7, v16, v0, vcc
	v_cndmask_b32_e32 v26, v17, v26, vcc
	v_add_u32_e32 v16, 20, v7
	v_lshlrev_b64 v[16:17], v16, -1
	v_add_u32_e32 v19, 19, v7
	v_lshrrev_b64 v[42:43], v7, v[26:27]
	v_not_b32_e32 v17, v17
	v_not_b32_e32 v16, v16
	v_lshlrev_b64 v[50:51], v19, 1
	v_lshrrev_b32_e32 v19, 23, v42
	v_and_b32_e32 v17, 0, v17
	v_and_b32_e32 v16, v26, v16
	v_add3_u32 v23, v7, v6, v19
	v_bfe_u32 v6, v42, 20, 1
	v_add_u32_e32 v6, -1, v6
	v_cmp_eq_u64_e32 vcc, v[16:17], v[50:51]
	v_cndmask_b32_e32 v6, 0, v6, vcc
	v_add_u32_e32 v6, v6, v42
	v_and_b32_e32 v6, 0xfffff, v6
	v_add_co_u32_e32 v16, vcc, v6, v42
	v_add_u32_e32 v22, 6, v23
	v_addc_co_u32_e32 v17, vcc, 0, v43, vcc
	v_cmp_ne_u32_e32 vcc, 0, v22
                                        ; implicit-def: $vgpr19
	s_and_saveexec_b64 s[28:29], vcc
	s_xor_b64 s[28:29], exec, s[28:29]
; %bb.2608:                             ;   in Loop: Header=BB6_2208 Depth=3
	v_add_u32_e32 v6, 7, v23
	v_cmp_lt_u64_e32 vcc, s[56:57], v[16:17]
	v_cndmask_b32_e32 v19, v22, v6, vcc
	v_cndmask_b32_e64 v6, 0, 1, vcc
	v_lshrrev_b64 v[16:17], v6, v[16:17]
; %bb.2609:                             ;   in Loop: Header=BB6_2208 Depth=3
	s_andn2_saveexec_b64 s[28:29], s[28:29]
; %bb.2610:                             ;   in Loop: Header=BB6_2208 Depth=3
	v_bfe_u32 v19, v16, 23, 1
; %bb.2611:                             ;   in Loop: Header=BB6_2208 Depth=3
	s_or_b64 exec, exec, s[28:29]
	v_lshrrev_b64 v[16:17], 20, v[16:17]
	v_cmp_gt_i32_e32 vcc, 16, v19
	v_cndmask_b32_e32 v17, 0, v17, vcc
	v_cndmask_b32_e32 v16, 7, v16, vcc
	v_min_i32_e32 v6, 15, v19
	v_cmp_eq_u32_e32 vcc, 0, v19
	v_cmp_eq_u64_e64 s[28:29], 0, v[16:17]
	v_lshlrev_b32_e32 v6, 3, v6
	v_and_or_b32 v6, v16, 7, v6
	s_and_b64 s[28:29], vcc, s[28:29]
	v_cndmask_b32_e64 v6, v6, 0, s[28:29]
	v_or_b32_e32 v19, v6, v18
	v_mov_b32_e32 v42, v37
.LBB6_2612:                             ;   in Loop: Header=BB6_2208 Depth=3
	s_or_b64 exec, exec, s[68:69]
.LBB6_2613:                             ;   in Loop: Header=BB6_2208 Depth=3
	s_or_b64 exec, exec, s[66:67]
                                        ; implicit-def: $vgpr16
.LBB6_2614:                             ;   in Loop: Header=BB6_2208 Depth=3
	s_andn2_saveexec_b64 s[28:29], s[64:65]
; %bb.2615:                             ;   in Loop: Header=BB6_2208 Depth=3
	v_or_b32_sdwa v6, v16, s92 dst_sel:DWORD dst_unused:UNUSED_PAD src0_sel:BYTE_3 src1_sel:DWORD
	v_cmp_eq_u64_e32 vcc, 0, v[26:27]
	v_cndmask_b32_e32 v19, v6, v19, vcc
; %bb.2616:                             ;   in Loop: Header=BB6_2208 Depth=3
	s_or_b64 exec, exec, s[28:29]
	v_lshrrev_b16_e32 v16, 8, v12
	v_cmp_ne_u16_e32 vcc, 0, v16
	v_mov_b32_e32 v17, 0
	v_mov_b32_e32 v18, 0
	s_and_saveexec_b64 s[28:29], vcc
	s_cbranch_execz .LBB6_2622
; %bb.2617:                             ;   in Loop: Header=BB6_2208 Depth=3
	v_cmp_ne_u16_e32 vcc, s91, v16
	v_bfrev_b32_e32 v18, 1
	s_and_saveexec_b64 s[64:65], vcc
	s_cbranch_execz .LBB6_2621
; %bb.2618:                             ;   in Loop: Header=BB6_2208 Depth=3
	v_and_b32_e32 v22, 0x7f, v16
	v_cmp_ne_u32_e32 vcc, s92, v22
	v_mov_b32_e32 v18, 0x7f800001
	s_and_saveexec_b64 s[66:67], vcc
	s_cbranch_execz .LBB6_2620
; %bb.2619:                             ;   in Loop: Header=BB6_2208 Depth=3
	v_and_b32_e32 v6, 7, v16
	v_ffbh_u32_e32 v18, v6
	v_min_u32_e32 v18, 32, v18
	v_subrev_u32_e32 v23, 28, v18
	v_lshlrev_b64 v[50:51], v23, v[16:17]
	v_lshrrev_b32_e32 v7, 3, v22
	v_sub_u32_e32 v16, 29, v18
	v_and_b32_e32 v18, 7, v50
	v_cmp_gt_u32_e32 vcc, 8, v22
	v_cndmask_b32_e32 v7, v7, v16, vcc
	v_cndmask_b32_e32 v6, v6, v18, vcc
	v_lshlrev_b32_e32 v16, 16, v12
	v_lshlrev_b32_e32 v6, 20, v6
	v_and_b32_e32 v16, 0x80000000, v16
	v_lshl_add_u32 v7, v7, 23, v31
	v_or3_b32 v18, v16, v7, v6
.LBB6_2620:                             ;   in Loop: Header=BB6_2208 Depth=3
	s_or_b64 exec, exec, s[66:67]
.LBB6_2621:                             ;   in Loop: Header=BB6_2208 Depth=3
	s_or_b64 exec, exec, s[64:65]
.LBB6_2622:                             ;   in Loop: Header=BB6_2208 Depth=3
	s_or_b64 exec, exec, s[28:29]
	v_lshrrev_b16_e32 v16, 8, v8
	v_cmp_ne_u16_e32 vcc, 0, v16
	s_and_saveexec_b64 s[28:29], vcc
	s_cbranch_execz .LBB6_2628
; %bb.2623:                             ;   in Loop: Header=BB6_2208 Depth=3
	v_cmp_ne_u16_e32 vcc, s91, v16
	v_bfrev_b32_e32 v17, 1
	s_and_saveexec_b64 s[64:65], vcc
	s_cbranch_execz .LBB6_2627
; %bb.2624:                             ;   in Loop: Header=BB6_2208 Depth=3
	v_and_b32_e32 v22, 0x7f, v16
	v_cmp_ne_u32_e32 vcc, s92, v22
	v_mov_b32_e32 v17, 0x7f800001
	s_and_saveexec_b64 s[66:67], vcc
	s_cbranch_execz .LBB6_2626
; %bb.2625:                             ;   in Loop: Header=BB6_2208 Depth=3
	v_and_b32_e32 v6, 7, v16
	v_ffbh_u32_e32 v17, v6
	v_min_u32_e32 v23, 32, v17
	v_subrev_u32_e32 v17, 28, v23
	v_lshlrev_b64 v[16:17], v17, v[16:17]
	v_lshrrev_b32_e32 v7, 3, v22
	v_sub_u32_e32 v17, 29, v23
	v_and_b32_e32 v16, 7, v16
	v_cmp_gt_u32_e32 vcc, 8, v22
	v_cndmask_b32_e32 v7, v7, v17, vcc
	v_cndmask_b32_e32 v6, v6, v16, vcc
	v_lshlrev_b32_e32 v16, 16, v8
	v_lshlrev_b32_e32 v6, 20, v6
	v_and_b32_e32 v16, 0x80000000, v16
	v_lshl_add_u32 v7, v7, 23, v31
	v_or3_b32 v17, v16, v7, v6
.LBB6_2626:                             ;   in Loop: Header=BB6_2208 Depth=3
	s_or_b64 exec, exec, s[66:67]
.LBB6_2627:                             ;   in Loop: Header=BB6_2208 Depth=3
	s_or_b64 exec, exec, s[64:65]
.LBB6_2628:                             ;   in Loop: Header=BB6_2208 Depth=3
	s_or_b64 exec, exec, s[28:29]
	v_add_f32_e32 v16, v18, v17
	v_and_b32_sdwa v18, v16, s91 dst_sel:DWORD dst_unused:UNUSED_PAD src0_sel:BYTE_3 src1_sel:DWORD
	v_and_b32_e32 v50, 0x7f800000, v16
	v_mov_b32_e32 v51, v27
	v_and_b32_e32 v26, 0x7fffff, v16
	v_or_b32_e32 v22, 0x7e, v18
	v_cmp_ne_u64_e32 vcc, s[52:53], v[50:51]
	s_and_saveexec_b64 s[28:29], vcc
	s_xor_b64 s[64:65], exec, s[28:29]
	s_cbranch_execz .LBB6_2638
; %bb.2629:                             ;   in Loop: Header=BB6_2208 Depth=3
	v_and_b32_e32 v50, 0x7fffffff, v16
	v_mov_b32_e32 v51, v27
	v_cmp_gt_u64_e32 vcc, s[54:55], v[50:51]
	s_and_saveexec_b64 s[66:67], vcc
	s_cbranch_execz .LBB6_2637
; %bb.2630:                             ;   in Loop: Header=BB6_2208 Depth=3
	v_cmp_ne_u32_e32 vcc, 0, v16
	v_mov_b32_e32 v22, 0
	s_and_saveexec_b64 s[68:69], vcc
	s_cbranch_execz .LBB6_2636
; %bb.2631:                             ;   in Loop: Header=BB6_2208 Depth=3
	v_bfe_u32 v6, v16, 23, 8
	v_sub_u32_e32 v16, 0x79, v6
	v_cmp_gt_u32_e32 vcc, s93, v6
	v_add_u32_e32 v7, 0xffffff81, v6
	v_cndmask_b32_e32 v16, 0, v16, vcc
	v_cmp_eq_u32_e32 vcc, 0, v6
	v_mov_b32_e32 v0, 0xffffff82
	v_cndmask_b32_e32 v6, v7, v0, vcc
	v_mov_b32_e32 v0, 0x78
	v_or_b32_e32 v17, 0x800000, v26
	v_cndmask_b32_e32 v7, v16, v0, vcc
	v_cndmask_b32_e32 v26, v17, v26, vcc
	v_add_u32_e32 v16, 20, v7
	v_lshlrev_b64 v[16:17], v16, -1
	v_add_u32_e32 v22, 19, v7
	v_lshrrev_b64 v[42:43], v7, v[26:27]
	v_not_b32_e32 v17, v17
	v_not_b32_e32 v16, v16
	v_lshlrev_b64 v[50:51], v22, 1
	v_lshrrev_b32_e32 v22, 23, v42
	v_and_b32_e32 v17, 0, v17
	v_and_b32_e32 v16, v26, v16
	v_add3_u32 v26, v7, v6, v22
	v_bfe_u32 v6, v42, 20, 1
	v_add_u32_e32 v6, -1, v6
	v_cmp_eq_u64_e32 vcc, v[16:17], v[50:51]
	v_cndmask_b32_e32 v6, 0, v6, vcc
	v_add_u32_e32 v6, v6, v42
	v_and_b32_e32 v6, 0xfffff, v6
	v_add_co_u32_e32 v16, vcc, v6, v42
	v_add_u32_e32 v23, 6, v26
	v_addc_co_u32_e32 v17, vcc, 0, v43, vcc
	v_cmp_ne_u32_e32 vcc, 0, v23
                                        ; implicit-def: $vgpr22
	s_and_saveexec_b64 s[28:29], vcc
	s_xor_b64 s[28:29], exec, s[28:29]
; %bb.2632:                             ;   in Loop: Header=BB6_2208 Depth=3
	v_add_u32_e32 v6, 7, v26
	v_cmp_lt_u64_e32 vcc, s[56:57], v[16:17]
	v_cndmask_b32_e32 v22, v23, v6, vcc
	v_cndmask_b32_e64 v6, 0, 1, vcc
	v_lshrrev_b64 v[16:17], v6, v[16:17]
; %bb.2633:                             ;   in Loop: Header=BB6_2208 Depth=3
	s_andn2_saveexec_b64 s[28:29], s[28:29]
; %bb.2634:                             ;   in Loop: Header=BB6_2208 Depth=3
	v_bfe_u32 v22, v16, 23, 1
; %bb.2635:                             ;   in Loop: Header=BB6_2208 Depth=3
	s_or_b64 exec, exec, s[28:29]
	v_lshrrev_b64 v[16:17], 20, v[16:17]
	v_cmp_gt_i32_e32 vcc, 16, v22
	v_cndmask_b32_e32 v17, 0, v17, vcc
	v_cndmask_b32_e32 v16, 7, v16, vcc
	v_min_i32_e32 v6, 15, v22
	v_cmp_eq_u32_e32 vcc, 0, v22
	v_cmp_eq_u64_e64 s[28:29], 0, v[16:17]
	v_lshlrev_b32_e32 v6, 3, v6
	v_and_or_b32 v6, v16, 7, v6
	s_and_b64 s[28:29], vcc, s[28:29]
	v_cndmask_b32_e64 v6, v6, 0, s[28:29]
	v_or_b32_e32 v22, v6, v18
	v_mov_b32_e32 v42, v37
.LBB6_2636:                             ;   in Loop: Header=BB6_2208 Depth=3
	s_or_b64 exec, exec, s[68:69]
.LBB6_2637:                             ;   in Loop: Header=BB6_2208 Depth=3
	s_or_b64 exec, exec, s[66:67]
                                        ; implicit-def: $vgpr16
.LBB6_2638:                             ;   in Loop: Header=BB6_2208 Depth=3
	s_andn2_saveexec_b64 s[28:29], s[64:65]
; %bb.2639:                             ;   in Loop: Header=BB6_2208 Depth=3
	v_or_b32_sdwa v6, v16, s92 dst_sel:DWORD dst_unused:UNUSED_PAD src0_sel:BYTE_3 src1_sel:DWORD
	v_cmp_eq_u64_e32 vcc, 0, v[26:27]
	v_cndmask_b32_e32 v22, v6, v22, vcc
; %bb.2640:                             ;   in Loop: Header=BB6_2208 Depth=3
	s_or_b64 exec, exec, s[28:29]
	v_lshrrev_b32_e32 v16, 16, v12
	v_cmp_ne_u16_sdwa vcc, v16, v27 src0_sel:BYTE_0 src1_sel:DWORD
	v_mov_b32_e32 v17, 0
	v_mov_b32_e32 v18, 0
	s_and_saveexec_b64 s[28:29], vcc
	s_cbranch_execz .LBB6_2646
; %bb.2641:                             ;   in Loop: Header=BB6_2208 Depth=3
	v_cmp_ne_u16_sdwa vcc, v16, s91 src0_sel:BYTE_0 src1_sel:DWORD
	v_bfrev_b32_e32 v18, 1
	s_and_saveexec_b64 s[64:65], vcc
	s_cbranch_execz .LBB6_2645
; %bb.2642:                             ;   in Loop: Header=BB6_2208 Depth=3
	v_bfe_u32 v23, v12, 16, 7
	v_cmp_ne_u32_e32 vcc, s92, v23
	v_mov_b32_e32 v18, 0x7f800001
	s_and_saveexec_b64 s[66:67], vcc
	s_cbranch_execz .LBB6_2644
; %bb.2643:                             ;   in Loop: Header=BB6_2208 Depth=3
	v_and_b32_e32 v6, 7, v16
	v_ffbh_u32_e32 v18, v6
	v_min_u32_e32 v18, 32, v18
	v_subrev_u32_e32 v26, 28, v18
	v_lshlrev_b64 v[50:51], v26, v[16:17]
	v_lshrrev_b32_e32 v7, 3, v23
	v_sub_u32_e32 v18, 29, v18
	v_and_b32_e32 v26, 7, v50
	v_cmp_gt_u32_e32 vcc, 8, v23
	v_cndmask_b32_e32 v7, v7, v18, vcc
	v_cndmask_b32_e32 v6, v6, v26, vcc
	v_lshlrev_b32_e32 v16, 24, v16
	v_lshlrev_b32_e32 v6, 20, v6
	v_and_b32_e32 v16, 0x80000000, v16
	v_lshl_add_u32 v7, v7, 23, v31
	v_or3_b32 v18, v16, v7, v6
.LBB6_2644:                             ;   in Loop: Header=BB6_2208 Depth=3
	s_or_b64 exec, exec, s[66:67]
.LBB6_2645:                             ;   in Loop: Header=BB6_2208 Depth=3
	s_or_b64 exec, exec, s[64:65]
.LBB6_2646:                             ;   in Loop: Header=BB6_2208 Depth=3
	s_or_b64 exec, exec, s[28:29]
	v_lshrrev_b32_e32 v16, 16, v8
	v_cmp_ne_u16_sdwa vcc, v16, v27 src0_sel:BYTE_0 src1_sel:DWORD
	s_and_saveexec_b64 s[28:29], vcc
	s_cbranch_execz .LBB6_2652
; %bb.2647:                             ;   in Loop: Header=BB6_2208 Depth=3
	v_cmp_ne_u16_sdwa vcc, v16, s91 src0_sel:BYTE_0 src1_sel:DWORD
	v_bfrev_b32_e32 v17, 1
	s_and_saveexec_b64 s[64:65], vcc
	s_cbranch_execz .LBB6_2651
; %bb.2648:                             ;   in Loop: Header=BB6_2208 Depth=3
	v_bfe_u32 v23, v8, 16, 7
	v_cmp_ne_u32_e32 vcc, s92, v23
	v_mov_b32_e32 v17, 0x7f800001
	s_and_saveexec_b64 s[66:67], vcc
	s_cbranch_execz .LBB6_2650
; %bb.2649:                             ;   in Loop: Header=BB6_2208 Depth=3
	v_and_b32_e32 v6, 7, v16
	v_ffbh_u32_e32 v17, v6
	v_min_u32_e32 v26, 32, v17
	v_subrev_u32_e32 v17, 28, v26
	v_lshlrev_b64 v[16:17], v17, v[16:17]
	v_lshrrev_b32_e32 v7, 3, v23
	v_sub_u32_e32 v17, 29, v26
	v_and_b32_e32 v16, 7, v16
	v_cmp_gt_u32_e32 vcc, 8, v23
	v_cndmask_b32_e32 v7, v7, v17, vcc
	v_cndmask_b32_e32 v6, v6, v16, vcc
	v_lshlrev_b32_e32 v16, 8, v8
	v_lshlrev_b32_e32 v6, 20, v6
	v_and_b32_e32 v16, 0x80000000, v16
	v_lshl_add_u32 v7, v7, 23, v31
	v_or3_b32 v17, v16, v7, v6
.LBB6_2650:                             ;   in Loop: Header=BB6_2208 Depth=3
	s_or_b64 exec, exec, s[66:67]
.LBB6_2651:                             ;   in Loop: Header=BB6_2208 Depth=3
	s_or_b64 exec, exec, s[64:65]
.LBB6_2652:                             ;   in Loop: Header=BB6_2208 Depth=3
	s_or_b64 exec, exec, s[28:29]
	v_add_f32_e32 v16, v18, v17
	v_and_b32_sdwa v18, v16, s91 dst_sel:DWORD dst_unused:UNUSED_PAD src0_sel:BYTE_3 src1_sel:DWORD
	v_and_b32_e32 v50, 0x7f800000, v16
	v_mov_b32_e32 v51, v27
	v_and_b32_e32 v26, 0x7fffff, v16
	v_or_b32_e32 v23, 0x7e, v18
	v_cmp_ne_u64_e32 vcc, s[52:53], v[50:51]
	s_and_saveexec_b64 s[28:29], vcc
	s_xor_b64 s[64:65], exec, s[28:29]
	s_cbranch_execz .LBB6_2662
; %bb.2653:                             ;   in Loop: Header=BB6_2208 Depth=3
	v_and_b32_e32 v50, 0x7fffffff, v16
	v_mov_b32_e32 v51, v27
	v_cmp_gt_u64_e32 vcc, s[54:55], v[50:51]
	s_and_saveexec_b64 s[66:67], vcc
	s_cbranch_execz .LBB6_2661
; %bb.2654:                             ;   in Loop: Header=BB6_2208 Depth=3
	v_cmp_ne_u32_e32 vcc, 0, v16
	v_mov_b32_e32 v23, 0
	s_and_saveexec_b64 s[68:69], vcc
	s_cbranch_execz .LBB6_2660
; %bb.2655:                             ;   in Loop: Header=BB6_2208 Depth=3
	v_bfe_u32 v6, v16, 23, 8
	v_sub_u32_e32 v16, 0x79, v6
	v_cmp_gt_u32_e32 vcc, s93, v6
	v_add_u32_e32 v7, 0xffffff81, v6
	v_cndmask_b32_e32 v16, 0, v16, vcc
	v_cmp_eq_u32_e32 vcc, 0, v6
	v_mov_b32_e32 v0, 0xffffff82
	v_cndmask_b32_e32 v6, v7, v0, vcc
	v_mov_b32_e32 v0, 0x78
	v_or_b32_e32 v17, 0x800000, v26
	v_cndmask_b32_e32 v7, v16, v0, vcc
	v_cndmask_b32_e32 v26, v17, v26, vcc
	v_add_u32_e32 v16, 20, v7
	v_lshlrev_b64 v[16:17], v16, -1
	v_add_u32_e32 v23, 19, v7
	v_lshrrev_b64 v[42:43], v7, v[26:27]
	v_not_b32_e32 v17, v17
	v_not_b32_e32 v16, v16
	v_lshlrev_b64 v[50:51], v23, 1
	v_lshrrev_b32_e32 v23, 23, v42
	v_and_b32_e32 v17, 0, v17
	v_and_b32_e32 v16, v26, v16
	v_add3_u32 v29, v7, v6, v23
	v_bfe_u32 v6, v42, 20, 1
	v_add_u32_e32 v6, -1, v6
	v_cmp_eq_u64_e32 vcc, v[16:17], v[50:51]
	v_cndmask_b32_e32 v6, 0, v6, vcc
	v_add_u32_e32 v6, v6, v42
	v_and_b32_e32 v6, 0xfffff, v6
	v_add_co_u32_e32 v16, vcc, v6, v42
	v_add_u32_e32 v26, 6, v29
	v_addc_co_u32_e32 v17, vcc, 0, v43, vcc
	v_cmp_ne_u32_e32 vcc, 0, v26
                                        ; implicit-def: $vgpr23
	s_and_saveexec_b64 s[28:29], vcc
	s_xor_b64 s[28:29], exec, s[28:29]
; %bb.2656:                             ;   in Loop: Header=BB6_2208 Depth=3
	v_add_u32_e32 v6, 7, v29
	v_cmp_lt_u64_e32 vcc, s[56:57], v[16:17]
	v_cndmask_b32_e32 v23, v26, v6, vcc
	v_cndmask_b32_e64 v6, 0, 1, vcc
	v_lshrrev_b64 v[16:17], v6, v[16:17]
; %bb.2657:                             ;   in Loop: Header=BB6_2208 Depth=3
	s_andn2_saveexec_b64 s[28:29], s[28:29]
; %bb.2658:                             ;   in Loop: Header=BB6_2208 Depth=3
	v_bfe_u32 v23, v16, 23, 1
; %bb.2659:                             ;   in Loop: Header=BB6_2208 Depth=3
	s_or_b64 exec, exec, s[28:29]
	v_lshrrev_b64 v[16:17], 20, v[16:17]
	v_cmp_gt_i32_e32 vcc, 16, v23
	v_cndmask_b32_e32 v17, 0, v17, vcc
	v_cndmask_b32_e32 v16, 7, v16, vcc
	v_min_i32_e32 v6, 15, v23
	v_cmp_eq_u32_e32 vcc, 0, v23
	v_cmp_eq_u64_e64 s[28:29], 0, v[16:17]
	v_lshlrev_b32_e32 v6, 3, v6
	v_and_or_b32 v6, v16, 7, v6
	s_and_b64 s[28:29], vcc, s[28:29]
	v_cndmask_b32_e64 v6, v6, 0, s[28:29]
	v_or_b32_e32 v23, v6, v18
	v_mov_b32_e32 v42, v37
.LBB6_2660:                             ;   in Loop: Header=BB6_2208 Depth=3
	s_or_b64 exec, exec, s[68:69]
.LBB6_2661:                             ;   in Loop: Header=BB6_2208 Depth=3
	s_or_b64 exec, exec, s[66:67]
                                        ; implicit-def: $vgpr16
.LBB6_2662:                             ;   in Loop: Header=BB6_2208 Depth=3
	s_andn2_saveexec_b64 s[28:29], s[64:65]
; %bb.2663:                             ;   in Loop: Header=BB6_2208 Depth=3
	v_or_b32_sdwa v6, v16, s92 dst_sel:DWORD dst_unused:UNUSED_PAD src0_sel:BYTE_3 src1_sel:DWORD
	v_cmp_eq_u64_e32 vcc, 0, v[26:27]
	v_cndmask_b32_e32 v23, v6, v23, vcc
; %bb.2664:                             ;   in Loop: Header=BB6_2208 Depth=3
	s_or_b64 exec, exec, s[28:29]
	v_cmp_lt_u32_e32 vcc, s43, v12
	v_mov_b32_e32 v17, 0
	v_mov_b32_e32 v18, 0
	s_and_saveexec_b64 s[28:29], vcc
	s_cbranch_execz .LBB6_2670
; %bb.2665:                             ;   in Loop: Header=BB6_2208 Depth=3
	v_lshrrev_b32_e32 v16, 24, v12
	v_cmp_ne_u32_e32 vcc, s91, v16
	v_bfrev_b32_e32 v18, 1
	s_and_saveexec_b64 s[64:65], vcc
	s_cbranch_execz .LBB6_2669
; %bb.2666:                             ;   in Loop: Header=BB6_2208 Depth=3
	v_bfe_u32 v26, v12, 24, 7
	v_cmp_ne_u32_e32 vcc, s92, v26
	v_mov_b32_e32 v18, 0x7f800001
	s_and_saveexec_b64 s[66:67], vcc
	s_cbranch_execz .LBB6_2668
; %bb.2667:                             ;   in Loop: Header=BB6_2208 Depth=3
	v_and_b32_e32 v6, 7, v16
	v_ffbh_u32_e32 v18, v6
	v_min_u32_e32 v18, 32, v18
	v_subrev_u32_e32 v29, 28, v18
	v_lshlrev_b64 v[50:51], v29, v[16:17]
	v_lshrrev_b32_e32 v7, 3, v26
	v_sub_u32_e32 v18, 29, v18
	v_and_b32_e32 v29, 7, v50
	v_cmp_gt_u32_e32 vcc, 8, v26
	v_cndmask_b32_e32 v7, v7, v18, vcc
	v_cndmask_b32_e32 v6, v6, v29, vcc
	v_lshlrev_b32_e32 v16, 24, v16
	v_lshlrev_b32_e32 v6, 20, v6
	v_and_b32_e32 v16, 0x80000000, v16
	v_lshl_add_u32 v7, v7, 23, v31
	v_or3_b32 v18, v16, v7, v6
.LBB6_2668:                             ;   in Loop: Header=BB6_2208 Depth=3
	s_or_b64 exec, exec, s[66:67]
.LBB6_2669:                             ;   in Loop: Header=BB6_2208 Depth=3
	s_or_b64 exec, exec, s[64:65]
.LBB6_2670:                             ;   in Loop: Header=BB6_2208 Depth=3
	s_or_b64 exec, exec, s[28:29]
	v_cmp_lt_u32_e32 vcc, s43, v8
	s_and_saveexec_b64 s[28:29], vcc
	s_cbranch_execz .LBB6_2676
; %bb.2671:                             ;   in Loop: Header=BB6_2208 Depth=3
	v_lshrrev_b32_e32 v16, 24, v8
	v_cmp_ne_u32_e32 vcc, s91, v16
	v_bfrev_b32_e32 v17, 1
	s_and_saveexec_b64 s[64:65], vcc
	s_cbranch_execz .LBB6_2675
; %bb.2672:                             ;   in Loop: Header=BB6_2208 Depth=3
	v_bfe_u32 v26, v8, 24, 7
	v_cmp_ne_u32_e32 vcc, s92, v26
	v_mov_b32_e32 v17, 0x7f800001
	s_and_saveexec_b64 s[66:67], vcc
	s_cbranch_execz .LBB6_2674
; %bb.2673:                             ;   in Loop: Header=BB6_2208 Depth=3
	v_and_b32_e32 v6, 7, v16
	v_ffbh_u32_e32 v17, v6
	v_min_u32_e32 v17, 32, v17
	v_subrev_u32_e32 v29, 28, v17
	v_lshlrev_b64 v[50:51], v29, v[16:17]
	v_lshrrev_b32_e32 v7, 3, v26
	v_sub_u32_e32 v17, 29, v17
	v_and_b32_e32 v29, 7, v50
	v_cmp_gt_u32_e32 vcc, 8, v26
	v_cndmask_b32_e32 v7, v7, v17, vcc
	v_cndmask_b32_e32 v6, v6, v29, vcc
	v_lshlrev_b32_e32 v16, 24, v16
	v_lshlrev_b32_e32 v6, 20, v6
	v_and_b32_e32 v16, 0x80000000, v16
	v_lshl_add_u32 v7, v7, 23, v31
	v_or3_b32 v17, v16, v7, v6
.LBB6_2674:                             ;   in Loop: Header=BB6_2208 Depth=3
	s_or_b64 exec, exec, s[66:67]
.LBB6_2675:                             ;   in Loop: Header=BB6_2208 Depth=3
	s_or_b64 exec, exec, s[64:65]
.LBB6_2676:                             ;   in Loop: Header=BB6_2208 Depth=3
	s_or_b64 exec, exec, s[28:29]
	v_add_f32_e32 v16, v18, v17
	v_and_b32_sdwa v18, v16, s91 dst_sel:DWORD dst_unused:UNUSED_PAD src0_sel:BYTE_3 src1_sel:DWORD
	v_and_b32_e32 v50, 0x7f800000, v16
	v_mov_b32_e32 v51, v27
	v_and_b32_e32 v26, 0x7fffff, v16
	v_or_b32_e32 v44, 0x7e, v18
	v_cmp_ne_u64_e32 vcc, s[52:53], v[50:51]
	s_and_saveexec_b64 s[28:29], vcc
	s_xor_b64 s[64:65], exec, s[28:29]
	s_cbranch_execz .LBB6_2686
; %bb.2677:                             ;   in Loop: Header=BB6_2208 Depth=3
	v_and_b32_e32 v50, 0x7fffffff, v16
	v_mov_b32_e32 v51, v27
	v_cmp_gt_u64_e32 vcc, s[54:55], v[50:51]
	s_and_saveexec_b64 s[66:67], vcc
	s_cbranch_execz .LBB6_2685
; %bb.2678:                             ;   in Loop: Header=BB6_2208 Depth=3
	v_cmp_ne_u32_e32 vcc, 0, v16
	v_mov_b32_e32 v44, 0
	s_and_saveexec_b64 s[68:69], vcc
	s_cbranch_execz .LBB6_2684
; %bb.2679:                             ;   in Loop: Header=BB6_2208 Depth=3
	v_bfe_u32 v6, v16, 23, 8
	v_sub_u32_e32 v16, 0x79, v6
	v_cmp_gt_u32_e32 vcc, s93, v6
	v_add_u32_e32 v7, 0xffffff81, v6
	v_cndmask_b32_e32 v16, 0, v16, vcc
	v_cmp_eq_u32_e32 vcc, 0, v6
	v_mov_b32_e32 v0, 0xffffff82
	v_cndmask_b32_e32 v6, v7, v0, vcc
	v_mov_b32_e32 v0, 0x78
	v_cndmask_b32_e32 v7, v16, v0, vcc
	v_or_b32_e32 v17, 0x800000, v26
	v_add_u32_e32 v16, 20, v7
	v_cndmask_b32_e32 v26, v17, v26, vcc
	v_lshlrev_b64 v[16:17], v16, -1
	v_not_b32_e32 v16, v16
	v_lshrrev_b64 v[42:43], v7, v[26:27]
	v_not_b32_e32 v17, v17
	v_and_b32_e32 v16, v26, v16
	v_add_u32_e32 v29, 19, v7
	v_lshrrev_b32_e32 v26, 23, v42
	v_and_b32_e32 v17, 0, v17
	v_lshlrev_b64 v[50:51], v29, 1
	v_add3_u32 v39, v7, v6, v26
	v_bfe_u32 v6, v42, 20, 1
	v_add_u32_e32 v6, -1, v6
	v_cmp_eq_u64_e32 vcc, v[16:17], v[50:51]
	v_cndmask_b32_e32 v6, 0, v6, vcc
	v_add_u32_e32 v6, v6, v42
	v_and_b32_e32 v6, 0xfffff, v6
	v_add_co_u32_e32 v16, vcc, v6, v42
	v_add_u32_e32 v29, 6, v39
	v_addc_co_u32_e32 v17, vcc, 0, v43, vcc
	v_cmp_ne_u32_e32 vcc, 0, v29
                                        ; implicit-def: $vgpr26
	s_and_saveexec_b64 s[28:29], vcc
	s_xor_b64 s[28:29], exec, s[28:29]
; %bb.2680:                             ;   in Loop: Header=BB6_2208 Depth=3
	v_add_u32_e32 v6, 7, v39
	v_cmp_lt_u64_e32 vcc, s[56:57], v[16:17]
	v_cndmask_b32_e32 v26, v29, v6, vcc
	v_cndmask_b32_e64 v6, 0, 1, vcc
	v_lshrrev_b64 v[16:17], v6, v[16:17]
; %bb.2681:                             ;   in Loop: Header=BB6_2208 Depth=3
	s_andn2_saveexec_b64 s[28:29], s[28:29]
; %bb.2682:                             ;   in Loop: Header=BB6_2208 Depth=3
	v_bfe_u32 v26, v16, 23, 1
; %bb.2683:                             ;   in Loop: Header=BB6_2208 Depth=3
	s_or_b64 exec, exec, s[28:29]
	v_lshrrev_b64 v[16:17], 20, v[16:17]
	v_cmp_gt_i32_e32 vcc, 16, v26
	v_cndmask_b32_e32 v17, 0, v17, vcc
	v_cndmask_b32_e32 v16, 7, v16, vcc
	v_min_i32_e32 v6, 15, v26
	v_cmp_eq_u32_e32 vcc, 0, v26
	v_cmp_eq_u64_e64 s[28:29], 0, v[16:17]
	v_lshlrev_b32_e32 v6, 3, v6
	v_and_or_b32 v6, v16, 7, v6
	s_and_b64 s[28:29], vcc, s[28:29]
	v_cndmask_b32_e64 v6, v6, 0, s[28:29]
	v_or_b32_e32 v44, v6, v18
	v_mov_b32_e32 v42, v37
.LBB6_2684:                             ;   in Loop: Header=BB6_2208 Depth=3
	s_or_b64 exec, exec, s[68:69]
.LBB6_2685:                             ;   in Loop: Header=BB6_2208 Depth=3
	s_or_b64 exec, exec, s[66:67]
                                        ; implicit-def: $vgpr16
.LBB6_2686:                             ;   in Loop: Header=BB6_2208 Depth=3
	s_andn2_saveexec_b64 s[28:29], s[64:65]
; %bb.2687:                             ;   in Loop: Header=BB6_2208 Depth=3
	v_or_b32_sdwa v6, v16, s92 dst_sel:DWORD dst_unused:UNUSED_PAD src0_sel:BYTE_3 src1_sel:DWORD
	v_cmp_eq_u64_e32 vcc, 0, v[26:27]
	v_cndmask_b32_e32 v44, v6, v44, vcc
; %bb.2688:                             ;   in Loop: Header=BB6_2208 Depth=3
	s_or_b64 exec, exec, s[28:29]
	v_mov_b32_e32 v26, v13
	v_cmp_ne_u16_sdwa vcc, v13, v27 src0_sel:BYTE_0 src1_sel:DWORD
	v_mov_b32_e32 v17, 0
	v_mov_b32_e32 v16, 0
	s_and_saveexec_b64 s[28:29], vcc
	s_cbranch_execz .LBB6_2694
; %bb.2689:                             ;   in Loop: Header=BB6_2208 Depth=3
	v_cmp_ne_u16_sdwa vcc, v13, s91 src0_sel:BYTE_0 src1_sel:DWORD
	v_bfrev_b32_e32 v16, 1
	s_and_saveexec_b64 s[64:65], vcc
	s_cbranch_execz .LBB6_2693
; %bb.2690:                             ;   in Loop: Header=BB6_2208 Depth=3
	v_and_b32_e32 v18, 0x7f, v13
	v_cmp_ne_u32_e32 vcc, s92, v18
	v_mov_b32_e32 v16, 0x7f800001
	s_and_saveexec_b64 s[66:67], vcc
	s_cbranch_execz .LBB6_2692
; %bb.2691:                             ;   in Loop: Header=BB6_2208 Depth=3
	v_and_b32_e32 v6, 7, v13
	v_ffbh_u32_e32 v6, v6
	v_min_u32_e32 v6, 32, v6
	v_lshrrev_b32_e32 v7, 3, v18
	v_subrev_u32_e32 v16, 28, v6
	v_sub_u32_e32 v6, 29, v6
	v_cmp_gt_u32_e32 vcc, 8, v18
	v_cndmask_b32_e32 v6, v7, v6, vcc
	v_cndmask_b32_e32 v7, 0, v16, vcc
	v_lshlrev_b64 v[50:51], v7, v[26:27]
	v_lshlrev_b32_e32 v7, 20, v50
	v_lshlrev_b32_e32 v16, 24, v26
	v_and_b32_e32 v7, 0x700000, v7
	v_and_b32_e32 v16, 0x80000000, v16
	v_lshl_add_u32 v6, v6, 23, v31
	v_or3_b32 v16, v16, v6, v7
.LBB6_2692:                             ;   in Loop: Header=BB6_2208 Depth=3
	s_or_b64 exec, exec, s[66:67]
.LBB6_2693:                             ;   in Loop: Header=BB6_2208 Depth=3
	s_or_b64 exec, exec, s[64:65]
.LBB6_2694:                             ;   in Loop: Header=BB6_2208 Depth=3
	s_or_b64 exec, exec, s[28:29]
	v_cmp_ne_u16_sdwa vcc, v9, v27 src0_sel:BYTE_0 src1_sel:DWORD
	s_and_saveexec_b64 s[28:29], vcc
	s_cbranch_execz .LBB6_2700
; %bb.2695:                             ;   in Loop: Header=BB6_2208 Depth=3
	v_cmp_ne_u16_sdwa vcc, v9, s91 src0_sel:BYTE_0 src1_sel:DWORD
	v_bfrev_b32_e32 v17, 1
	s_and_saveexec_b64 s[64:65], vcc
	s_cbranch_execz .LBB6_2699
; %bb.2696:                             ;   in Loop: Header=BB6_2208 Depth=3
	v_and_b32_e32 v18, 0x7f, v9
	v_cmp_ne_u32_e32 vcc, s92, v18
	v_mov_b32_e32 v17, 0x7f800001
	s_and_saveexec_b64 s[66:67], vcc
	s_cbranch_execz .LBB6_2698
; %bb.2697:                             ;   in Loop: Header=BB6_2208 Depth=3
	v_and_b32_e32 v6, 7, v9
	v_ffbh_u32_e32 v6, v6
	v_min_u32_e32 v6, 32, v6
	v_lshrrev_b32_e32 v7, 3, v18
	v_subrev_u32_e32 v17, 28, v6
	v_sub_u32_e32 v6, 29, v6
	v_cmp_gt_u32_e32 vcc, 8, v18
	v_mov_b32_e32 v50, v9
	v_mov_b32_e32 v51, v27
	v_cndmask_b32_e32 v6, v7, v6, vcc
	v_cndmask_b32_e32 v7, 0, v17, vcc
	v_lshlrev_b64 v[42:43], v7, v[50:51]
	v_lshlrev_b32_e32 v7, 20, v42
	v_lshlrev_b32_e32 v17, 24, v50
	v_and_b32_e32 v7, 0x700000, v7
	v_and_b32_e32 v17, 0x80000000, v17
	v_lshl_add_u32 v6, v6, 23, v31
	v_mov_b32_e32 v42, v37
	v_or3_b32 v17, v17, v6, v7
.LBB6_2698:                             ;   in Loop: Header=BB6_2208 Depth=3
	s_or_b64 exec, exec, s[66:67]
.LBB6_2699:                             ;   in Loop: Header=BB6_2208 Depth=3
	s_or_b64 exec, exec, s[64:65]
.LBB6_2700:                             ;   in Loop: Header=BB6_2208 Depth=3
	s_or_b64 exec, exec, s[28:29]
	v_add_f32_e32 v29, v16, v17
	v_and_b32_sdwa v18, v29, s91 dst_sel:DWORD dst_unused:UNUSED_PAD src0_sel:BYTE_3 src1_sel:DWORD
	v_and_b32_e32 v50, 0x7f800000, v29
	v_mov_b32_e32 v51, v27
	v_and_b32_e32 v16, 0x7fffff, v29
	v_mov_b32_e32 v17, v27
	v_or_b32_e32 v56, 0x7e, v18
	v_cmp_ne_u64_e32 vcc, s[52:53], v[50:51]
	s_and_saveexec_b64 s[28:29], vcc
	s_xor_b64 s[64:65], exec, s[28:29]
	s_cbranch_execz .LBB6_2710
; %bb.2701:                             ;   in Loop: Header=BB6_2208 Depth=3
	v_and_b32_e32 v50, 0x7fffffff, v29
	v_mov_b32_e32 v51, v27
	v_cmp_gt_u64_e32 vcc, s[54:55], v[50:51]
	s_and_saveexec_b64 s[66:67], vcc
	s_cbranch_execz .LBB6_2709
; %bb.2702:                             ;   in Loop: Header=BB6_2208 Depth=3
	v_cmp_ne_u32_e32 vcc, 0, v29
	v_mov_b32_e32 v56, 0
	s_and_saveexec_b64 s[68:69], vcc
	s_cbranch_execz .LBB6_2708
; %bb.2703:                             ;   in Loop: Header=BB6_2208 Depth=3
	v_bfe_u32 v6, v29, 23, 8
	v_sub_u32_e32 v29, 0x79, v6
	v_cmp_gt_u32_e32 vcc, s93, v6
	v_add_u32_e32 v7, 0xffffff81, v6
	v_cndmask_b32_e32 v29, 0, v29, vcc
	v_cmp_eq_u32_e32 vcc, 0, v6
	v_mov_b32_e32 v0, 0xffffff82
	v_cndmask_b32_e32 v6, v7, v0, vcc
	v_mov_b32_e32 v0, 0x78
	v_cndmask_b32_e32 v7, v29, v0, vcc
	v_add_u32_e32 v29, 20, v7
	v_or_b32_e32 v32, 0x800000, v16
	v_lshlrev_b64 v[50:51], v29, -1
	v_cndmask_b32_e32 v16, v32, v16, vcc
	v_not_b32_e32 v29, v51
	v_not_b32_e32 v32, v50
	v_and_b32_e32 v43, 0, v29
	v_and_b32_e32 v42, v16, v32
	v_add_u32_e32 v29, 19, v7
	v_lshrrev_b64 v[16:17], v7, v[16:17]
	v_lshlrev_b64 v[56:57], v29, 1
	v_lshrrev_b32_e32 v29, 23, v16
	v_add3_u32 v50, v7, v6, v29
	v_bfe_u32 v6, v16, 20, 1
	v_add_u32_e32 v6, -1, v6
	v_cmp_eq_u64_e32 vcc, v[42:43], v[56:57]
	v_cndmask_b32_e32 v6, 0, v6, vcc
	v_add_u32_e32 v6, v6, v16
	v_and_b32_e32 v6, 0xfffff, v6
	v_add_co_u32_e32 v16, vcc, v6, v16
	v_add_u32_e32 v39, 6, v50
	v_addc_co_u32_e32 v17, vcc, 0, v17, vcc
	v_cmp_ne_u32_e32 vcc, 0, v39
                                        ; implicit-def: $vgpr29
	s_and_saveexec_b64 s[28:29], vcc
	s_xor_b64 s[28:29], exec, s[28:29]
; %bb.2704:                             ;   in Loop: Header=BB6_2208 Depth=3
	v_add_u32_e32 v6, 7, v50
	v_cmp_lt_u64_e32 vcc, s[56:57], v[16:17]
	v_cndmask_b32_e32 v29, v39, v6, vcc
	v_cndmask_b32_e64 v6, 0, 1, vcc
	v_lshrrev_b64 v[16:17], v6, v[16:17]
; %bb.2705:                             ;   in Loop: Header=BB6_2208 Depth=3
	s_andn2_saveexec_b64 s[28:29], s[28:29]
; %bb.2706:                             ;   in Loop: Header=BB6_2208 Depth=3
	v_bfe_u32 v29, v16, 23, 1
; %bb.2707:                             ;   in Loop: Header=BB6_2208 Depth=3
	s_or_b64 exec, exec, s[28:29]
	v_lshrrev_b64 v[16:17], 20, v[16:17]
	v_cmp_gt_i32_e32 vcc, 16, v29
	v_cndmask_b32_e32 v17, 0, v17, vcc
	v_cndmask_b32_e32 v16, 7, v16, vcc
	v_min_i32_e32 v6, 15, v29
	v_cmp_eq_u32_e32 vcc, 0, v29
	v_cmp_eq_u64_e64 s[28:29], 0, v[16:17]
	v_lshlrev_b32_e32 v6, 3, v6
	v_and_or_b32 v6, v16, 7, v6
	s_and_b64 s[28:29], vcc, s[28:29]
	v_cndmask_b32_e64 v6, v6, 0, s[28:29]
	v_or_b32_e32 v56, v6, v18
	v_mov_b32_e32 v42, v37
.LBB6_2708:                             ;   in Loop: Header=BB6_2208 Depth=3
	s_or_b64 exec, exec, s[68:69]
.LBB6_2709:                             ;   in Loop: Header=BB6_2208 Depth=3
	s_or_b64 exec, exec, s[66:67]
                                        ; implicit-def: $vgpr29
                                        ; implicit-def: $vgpr16_vgpr17
.LBB6_2710:                             ;   in Loop: Header=BB6_2208 Depth=3
	s_andn2_saveexec_b64 s[28:29], s[64:65]
; %bb.2711:                             ;   in Loop: Header=BB6_2208 Depth=3
	v_or_b32_sdwa v6, v29, s92 dst_sel:DWORD dst_unused:UNUSED_PAD src0_sel:BYTE_3 src1_sel:DWORD
	v_cmp_eq_u64_e32 vcc, 0, v[16:17]
	v_cndmask_b32_e32 v56, v6, v56, vcc
; %bb.2712:                             ;   in Loop: Header=BB6_2208 Depth=3
	s_or_b64 exec, exec, s[28:29]
	v_lshrrev_b16_e32 v16, 8, v26
	v_cmp_ne_u16_e32 vcc, 0, v16
	v_mov_b32_e32 v17, 0
	v_mov_b32_e32 v29, 0
	s_and_saveexec_b64 s[28:29], vcc
	s_cbranch_execz .LBB6_2718
; %bb.2713:                             ;   in Loop: Header=BB6_2208 Depth=3
	v_cmp_ne_u16_e32 vcc, s91, v16
	v_bfrev_b32_e32 v29, 1
	s_and_saveexec_b64 s[64:65], vcc
	s_cbranch_execz .LBB6_2717
; %bb.2714:                             ;   in Loop: Header=BB6_2208 Depth=3
	v_and_b32_e32 v18, 0x7f, v16
	v_cmp_ne_u32_e32 vcc, s92, v18
	v_mov_b32_e32 v29, 0x7f800001
	s_and_saveexec_b64 s[66:67], vcc
	s_cbranch_execz .LBB6_2716
; %bb.2715:                             ;   in Loop: Header=BB6_2208 Depth=3
	v_and_b32_e32 v6, 7, v16
	v_ffbh_u32_e32 v29, v6
	v_min_u32_e32 v29, 32, v29
	v_subrev_u32_e32 v32, 28, v29
	v_lshlrev_b64 v[50:51], v32, v[16:17]
	v_lshrrev_b32_e32 v7, 3, v18
	v_sub_u32_e32 v16, 29, v29
	v_and_b32_e32 v29, 7, v50
	v_cmp_gt_u32_e32 vcc, 8, v18
	v_cndmask_b32_e32 v7, v7, v16, vcc
	v_cndmask_b32_e32 v6, v6, v29, vcc
	v_lshlrev_b32_e32 v16, 16, v26
	v_lshlrev_b32_e32 v6, 20, v6
	v_and_b32_e32 v16, 0x80000000, v16
	v_lshl_add_u32 v7, v7, 23, v31
	v_or3_b32 v29, v16, v7, v6
.LBB6_2716:                             ;   in Loop: Header=BB6_2208 Depth=3
	s_or_b64 exec, exec, s[66:67]
.LBB6_2717:                             ;   in Loop: Header=BB6_2208 Depth=3
	s_or_b64 exec, exec, s[64:65]
.LBB6_2718:                             ;   in Loop: Header=BB6_2208 Depth=3
	s_or_b64 exec, exec, s[28:29]
	v_mov_b32_e32 v16, v9
	v_lshrrev_b16_e32 v18, 8, v16
	v_cmp_ne_u16_e32 vcc, 0, v18
	s_and_saveexec_b64 s[28:29], vcc
	s_cbranch_execz .LBB6_2724
; %bb.2719:                             ;   in Loop: Header=BB6_2208 Depth=3
	v_cmp_ne_u16_e32 vcc, s91, v18
	v_bfrev_b32_e32 v17, 1
	s_and_saveexec_b64 s[64:65], vcc
	s_cbranch_execz .LBB6_2723
; %bb.2720:                             ;   in Loop: Header=BB6_2208 Depth=3
	v_and_b32_e32 v26, 0x7f, v18
	v_cmp_ne_u32_e32 vcc, s92, v26
	v_mov_b32_e32 v17, 0x7f800001
	s_and_saveexec_b64 s[66:67], vcc
	s_cbranch_execz .LBB6_2722
; %bb.2721:                             ;   in Loop: Header=BB6_2208 Depth=3
	v_and_b32_e32 v6, 7, v18
	v_ffbh_u32_e32 v17, v6
	v_min_u32_e32 v17, 32, v17
	v_subrev_u32_e32 v32, 28, v17
	v_lshlrev_b64 v[50:51], v32, v[18:19]
	v_lshrrev_b32_e32 v7, 3, v26
	v_sub_u32_e32 v17, 29, v17
	v_and_b32_e32 v18, 7, v50
	v_cmp_gt_u32_e32 vcc, 8, v26
	v_cndmask_b32_e32 v7, v7, v17, vcc
	v_cndmask_b32_e32 v6, v6, v18, vcc
	v_lshlrev_b32_e32 v16, 16, v16
	v_lshlrev_b32_e32 v6, 20, v6
	v_and_b32_e32 v16, 0x80000000, v16
	v_lshl_add_u32 v7, v7, 23, v31
	v_or3_b32 v17, v16, v7, v6
.LBB6_2722:                             ;   in Loop: Header=BB6_2208 Depth=3
	s_or_b64 exec, exec, s[66:67]
.LBB6_2723:                             ;   in Loop: Header=BB6_2208 Depth=3
	s_or_b64 exec, exec, s[64:65]
.LBB6_2724:                             ;   in Loop: Header=BB6_2208 Depth=3
	s_or_b64 exec, exec, s[28:29]
	v_add_f32_e32 v16, v29, v17
	v_and_b32_sdwa v29, v16, s91 dst_sel:DWORD dst_unused:UNUSED_PAD src0_sel:BYTE_3 src1_sel:DWORD
	v_and_b32_e32 v50, 0x7f800000, v16
	v_mov_b32_e32 v51, v27
	v_and_b32_e32 v26, 0x7fffff, v16
	v_or_b32_e32 v18, 0x7e, v29
	v_cmp_ne_u64_e32 vcc, s[52:53], v[50:51]
	s_and_saveexec_b64 s[28:29], vcc
	s_xor_b64 s[64:65], exec, s[28:29]
	s_cbranch_execz .LBB6_2734
; %bb.2725:                             ;   in Loop: Header=BB6_2208 Depth=3
	v_and_b32_e32 v50, 0x7fffffff, v16
	v_mov_b32_e32 v51, v27
	v_cmp_gt_u64_e32 vcc, s[54:55], v[50:51]
	s_and_saveexec_b64 s[66:67], vcc
	s_cbranch_execz .LBB6_2733
; %bb.2726:                             ;   in Loop: Header=BB6_2208 Depth=3
	v_cmp_ne_u32_e32 vcc, 0, v16
	v_mov_b32_e32 v18, 0
	s_and_saveexec_b64 s[68:69], vcc
	s_cbranch_execz .LBB6_2732
; %bb.2727:                             ;   in Loop: Header=BB6_2208 Depth=3
	v_bfe_u32 v6, v16, 23, 8
	v_sub_u32_e32 v16, 0x79, v6
	v_cmp_gt_u32_e32 vcc, s93, v6
	v_add_u32_e32 v7, 0xffffff81, v6
	v_cndmask_b32_e32 v16, 0, v16, vcc
	v_cmp_eq_u32_e32 vcc, 0, v6
	v_mov_b32_e32 v0, 0xffffff82
	v_cndmask_b32_e32 v6, v7, v0, vcc
	v_mov_b32_e32 v0, 0x78
	v_or_b32_e32 v17, 0x800000, v26
	v_cndmask_b32_e32 v7, v16, v0, vcc
	v_cndmask_b32_e32 v26, v17, v26, vcc
	v_add_u32_e32 v16, 20, v7
	v_lshlrev_b64 v[16:17], v16, -1
	v_add_u32_e32 v18, 19, v7
	v_lshrrev_b64 v[42:43], v7, v[26:27]
	v_not_b32_e32 v17, v17
	v_not_b32_e32 v16, v16
	v_lshlrev_b64 v[50:51], v18, 1
	v_lshrrev_b32_e32 v18, 23, v42
	v_and_b32_e32 v17, 0, v17
	v_and_b32_e32 v16, v26, v16
	v_add3_u32 v39, v7, v6, v18
	v_bfe_u32 v6, v42, 20, 1
	v_add_u32_e32 v6, -1, v6
	v_cmp_eq_u64_e32 vcc, v[16:17], v[50:51]
	v_cndmask_b32_e32 v6, 0, v6, vcc
	v_add_u32_e32 v6, v6, v42
	v_and_b32_e32 v6, 0xfffff, v6
	v_add_co_u32_e32 v16, vcc, v6, v42
	v_add_u32_e32 v26, 6, v39
	v_addc_co_u32_e32 v17, vcc, 0, v43, vcc
	v_cmp_ne_u32_e32 vcc, 0, v26
                                        ; implicit-def: $vgpr18
	s_and_saveexec_b64 s[28:29], vcc
	s_xor_b64 s[28:29], exec, s[28:29]
; %bb.2728:                             ;   in Loop: Header=BB6_2208 Depth=3
	v_add_u32_e32 v6, 7, v39
	v_cmp_lt_u64_e32 vcc, s[56:57], v[16:17]
	v_cndmask_b32_e32 v18, v26, v6, vcc
	v_cndmask_b32_e64 v6, 0, 1, vcc
	v_lshrrev_b64 v[16:17], v6, v[16:17]
; %bb.2729:                             ;   in Loop: Header=BB6_2208 Depth=3
	s_andn2_saveexec_b64 s[28:29], s[28:29]
; %bb.2730:                             ;   in Loop: Header=BB6_2208 Depth=3
	v_bfe_u32 v18, v16, 23, 1
; %bb.2731:                             ;   in Loop: Header=BB6_2208 Depth=3
	s_or_b64 exec, exec, s[28:29]
	v_lshrrev_b64 v[16:17], 20, v[16:17]
	v_cmp_gt_i32_e32 vcc, 16, v18
	v_cndmask_b32_e32 v17, 0, v17, vcc
	v_cndmask_b32_e32 v16, 7, v16, vcc
	v_min_i32_e32 v6, 15, v18
	v_cmp_eq_u32_e32 vcc, 0, v18
	v_cmp_eq_u64_e64 s[28:29], 0, v[16:17]
	v_lshlrev_b32_e32 v6, 3, v6
	v_and_or_b32 v6, v16, 7, v6
	s_and_b64 s[28:29], vcc, s[28:29]
	v_cndmask_b32_e64 v6, v6, 0, s[28:29]
	v_or_b32_e32 v18, v6, v29
	v_mov_b32_e32 v42, v37
.LBB6_2732:                             ;   in Loop: Header=BB6_2208 Depth=3
	s_or_b64 exec, exec, s[68:69]
.LBB6_2733:                             ;   in Loop: Header=BB6_2208 Depth=3
	s_or_b64 exec, exec, s[66:67]
                                        ; implicit-def: $vgpr16
.LBB6_2734:                             ;   in Loop: Header=BB6_2208 Depth=3
	s_andn2_saveexec_b64 s[28:29], s[64:65]
; %bb.2735:                             ;   in Loop: Header=BB6_2208 Depth=3
	v_or_b32_sdwa v6, v16, s92 dst_sel:DWORD dst_unused:UNUSED_PAD src0_sel:BYTE_3 src1_sel:DWORD
	v_cmp_eq_u64_e32 vcc, 0, v[26:27]
	v_cndmask_b32_e32 v18, v6, v18, vcc
; %bb.2736:                             ;   in Loop: Header=BB6_2208 Depth=3
	s_or_b64 exec, exec, s[28:29]
	v_lshrrev_b32_e32 v16, 16, v13
	v_cmp_ne_u16_sdwa vcc, v16, v27 src0_sel:BYTE_0 src1_sel:DWORD
	v_mov_b32_e32 v17, 0
	v_mov_b32_e32 v26, 0
	s_and_saveexec_b64 s[28:29], vcc
	s_cbranch_execz .LBB6_2742
; %bb.2737:                             ;   in Loop: Header=BB6_2208 Depth=3
	v_cmp_ne_u16_sdwa vcc, v16, s91 src0_sel:BYTE_0 src1_sel:DWORD
	v_bfrev_b32_e32 v26, 1
	s_and_saveexec_b64 s[64:65], vcc
	s_cbranch_execz .LBB6_2741
; %bb.2738:                             ;   in Loop: Header=BB6_2208 Depth=3
	v_bfe_u32 v29, v13, 16, 7
	v_cmp_ne_u32_e32 vcc, s92, v29
	v_mov_b32_e32 v26, 0x7f800001
	s_and_saveexec_b64 s[66:67], vcc
	s_cbranch_execz .LBB6_2740
; %bb.2739:                             ;   in Loop: Header=BB6_2208 Depth=3
	v_and_b32_e32 v6, 7, v16
	v_ffbh_u32_e32 v26, v6
	v_min_u32_e32 v26, 32, v26
	v_subrev_u32_e32 v32, 28, v26
	v_lshlrev_b64 v[50:51], v32, v[16:17]
	v_lshrrev_b32_e32 v7, 3, v29
	v_sub_u32_e32 v26, 29, v26
	v_and_b32_e32 v32, 7, v50
	v_cmp_gt_u32_e32 vcc, 8, v29
	v_cndmask_b32_e32 v7, v7, v26, vcc
	v_cndmask_b32_e32 v6, v6, v32, vcc
	v_lshlrev_b32_e32 v16, 24, v16
	v_lshlrev_b32_e32 v6, 20, v6
	v_and_b32_e32 v16, 0x80000000, v16
	v_lshl_add_u32 v7, v7, 23, v31
	v_or3_b32 v26, v16, v7, v6
.LBB6_2740:                             ;   in Loop: Header=BB6_2208 Depth=3
	s_or_b64 exec, exec, s[66:67]
.LBB6_2741:                             ;   in Loop: Header=BB6_2208 Depth=3
	s_or_b64 exec, exec, s[64:65]
.LBB6_2742:                             ;   in Loop: Header=BB6_2208 Depth=3
	s_or_b64 exec, exec, s[28:29]
	v_lshrrev_b32_e32 v16, 16, v9
	v_cmp_ne_u16_sdwa vcc, v16, v27 src0_sel:BYTE_0 src1_sel:DWORD
	s_and_saveexec_b64 s[28:29], vcc
	s_cbranch_execz .LBB6_2748
; %bb.2743:                             ;   in Loop: Header=BB6_2208 Depth=3
	v_cmp_ne_u16_sdwa vcc, v16, s91 src0_sel:BYTE_0 src1_sel:DWORD
	v_bfrev_b32_e32 v17, 1
	s_and_saveexec_b64 s[64:65], vcc
	s_cbranch_execz .LBB6_2747
; %bb.2744:                             ;   in Loop: Header=BB6_2208 Depth=3
	v_bfe_u32 v29, v9, 16, 7
	v_cmp_ne_u32_e32 vcc, s92, v29
	v_mov_b32_e32 v17, 0x7f800001
	s_and_saveexec_b64 s[66:67], vcc
	s_cbranch_execz .LBB6_2746
; %bb.2745:                             ;   in Loop: Header=BB6_2208 Depth=3
	v_and_b32_e32 v6, 7, v16
	v_ffbh_u32_e32 v17, v6
	v_min_u32_e32 v32, 32, v17
	v_subrev_u32_e32 v17, 28, v32
	v_lshlrev_b64 v[16:17], v17, v[16:17]
	v_lshrrev_b32_e32 v7, 3, v29
	v_sub_u32_e32 v17, 29, v32
	v_and_b32_e32 v16, 7, v16
	v_cmp_gt_u32_e32 vcc, 8, v29
	v_cndmask_b32_e32 v7, v7, v17, vcc
	v_cndmask_b32_e32 v6, v6, v16, vcc
	v_lshlrev_b32_e32 v16, 8, v9
	v_lshlrev_b32_e32 v6, 20, v6
	v_and_b32_e32 v16, 0x80000000, v16
	v_lshl_add_u32 v7, v7, 23, v31
	v_or3_b32 v17, v16, v7, v6
.LBB6_2746:                             ;   in Loop: Header=BB6_2208 Depth=3
	s_or_b64 exec, exec, s[66:67]
.LBB6_2747:                             ;   in Loop: Header=BB6_2208 Depth=3
	s_or_b64 exec, exec, s[64:65]
.LBB6_2748:                             ;   in Loop: Header=BB6_2208 Depth=3
	s_or_b64 exec, exec, s[28:29]
	v_add_f32_e32 v17, v26, v17
	v_and_b32_sdwa v29, v17, s91 dst_sel:DWORD dst_unused:UNUSED_PAD src0_sel:BYTE_3 src1_sel:DWORD
	v_and_b32_e32 v50, 0x7f800000, v17
	v_mov_b32_e32 v51, v27
	v_and_b32_e32 v26, 0x7fffff, v17
	v_or_b32_e32 v16, 0x7e, v29
	v_cmp_ne_u64_e32 vcc, s[52:53], v[50:51]
	s_and_saveexec_b64 s[28:29], vcc
	s_xor_b64 s[64:65], exec, s[28:29]
	s_cbranch_execz .LBB6_2758
; %bb.2749:                             ;   in Loop: Header=BB6_2208 Depth=3
	v_and_b32_e32 v50, 0x7fffffff, v17
	v_mov_b32_e32 v51, v27
	v_cmp_gt_u64_e32 vcc, s[54:55], v[50:51]
	s_and_saveexec_b64 s[66:67], vcc
	s_cbranch_execz .LBB6_2757
; %bb.2750:                             ;   in Loop: Header=BB6_2208 Depth=3
	v_cmp_ne_u32_e32 vcc, 0, v17
	v_mov_b32_e32 v16, 0
	s_and_saveexec_b64 s[68:69], vcc
	s_cbranch_execz .LBB6_2756
; %bb.2751:                             ;   in Loop: Header=BB6_2208 Depth=3
	v_bfe_u32 v6, v17, 23, 8
	v_sub_u32_e32 v16, 0x79, v6
	v_cmp_gt_u32_e32 vcc, s93, v6
	v_add_u32_e32 v7, 0xffffff81, v6
	v_cndmask_b32_e32 v16, 0, v16, vcc
	v_cmp_eq_u32_e32 vcc, 0, v6
	v_mov_b32_e32 v0, 0xffffff82
	v_cndmask_b32_e32 v32, v7, v0, vcc
	v_mov_b32_e32 v0, 0x78
	v_mov_b32_e32 v36, v33
	v_cndmask_b32_e32 v33, v16, v0, vcc
	v_or_b32_e32 v17, 0x800000, v26
	v_add_u32_e32 v6, 20, v33
	v_cndmask_b32_e32 v26, v17, v26, vcc
	v_lshlrev_b64 v[16:17], v6, -1
	v_not_b32_e32 v6, v17
	v_not_b32_e32 v7, v16
	v_and_b32_e32 v17, 0, v6
	v_add_u32_e32 v6, 19, v33
	v_and_b32_e32 v16, v26, v7
	v_lshlrev_b64 v[42:43], v6, 1
	v_lshrrev_b64 v[6:7], v33, v[26:27]
	v_lshrrev_b32_e32 v26, 23, v6
	v_add3_u32 v50, v33, v32, v26
	v_bfe_u32 v26, v6, 20, 1
	v_add_u32_e32 v26, -1, v26
	v_cmp_eq_u64_e32 vcc, v[16:17], v[42:43]
	v_cndmask_b32_e32 v16, 0, v26, vcc
	v_add_u32_e32 v16, v16, v6
	v_and_b32_e32 v16, 0xfffff, v16
	v_add_co_u32_e32 v16, vcc, v16, v6
	v_add_u32_e32 v39, 6, v50
	v_addc_co_u32_e32 v17, vcc, 0, v7, vcc
	v_cmp_ne_u32_e32 vcc, 0, v39
                                        ; implicit-def: $vgpr26
	s_and_saveexec_b64 s[28:29], vcc
	s_xor_b64 s[28:29], exec, s[28:29]
; %bb.2752:                             ;   in Loop: Header=BB6_2208 Depth=3
	v_add_u32_e32 v6, 7, v50
	v_cmp_lt_u64_e32 vcc, s[56:57], v[16:17]
	v_cndmask_b32_e32 v26, v39, v6, vcc
	v_cndmask_b32_e64 v6, 0, 1, vcc
	v_lshrrev_b64 v[16:17], v6, v[16:17]
; %bb.2753:                             ;   in Loop: Header=BB6_2208 Depth=3
	s_andn2_saveexec_b64 s[28:29], s[28:29]
; %bb.2754:                             ;   in Loop: Header=BB6_2208 Depth=3
	v_bfe_u32 v26, v16, 23, 1
; %bb.2755:                             ;   in Loop: Header=BB6_2208 Depth=3
	s_or_b64 exec, exec, s[28:29]
	v_lshrrev_b64 v[6:7], 20, v[16:17]
	v_cmp_gt_i32_e32 vcc, 16, v26
	v_cndmask_b32_e32 v7, 0, v7, vcc
	v_cndmask_b32_e32 v6, 7, v6, vcc
	v_cmp_eq_u64_e64 s[28:29], 0, v[6:7]
	v_min_i32_e32 v7, 15, v26
	v_lshlrev_b32_e32 v7, 3, v7
	v_cmp_eq_u32_e32 vcc, 0, v26
	v_and_b32_e32 v7, 0xf8, v7
	v_and_or_b32 v6, v6, 7, v7
	s_and_b64 s[28:29], vcc, s[28:29]
	v_cndmask_b32_e64 v6, v6, 0, s[28:29]
	v_or_b32_e32 v16, v6, v29
	v_mov_b32_e32 v33, v36
	v_mov_b32_e32 v42, v37
.LBB6_2756:                             ;   in Loop: Header=BB6_2208 Depth=3
	s_or_b64 exec, exec, s[68:69]
.LBB6_2757:                             ;   in Loop: Header=BB6_2208 Depth=3
	s_or_b64 exec, exec, s[66:67]
                                        ; implicit-def: $vgpr17
.LBB6_2758:                             ;   in Loop: Header=BB6_2208 Depth=3
	s_andn2_saveexec_b64 s[28:29], s[64:65]
; %bb.2759:                             ;   in Loop: Header=BB6_2208 Depth=3
	v_or_b32_sdwa v6, v17, s92 dst_sel:DWORD dst_unused:UNUSED_PAD src0_sel:BYTE_3 src1_sel:DWORD
	v_cmp_eq_u64_e32 vcc, 0, v[26:27]
	v_cndmask_b32_e32 v16, v6, v16, vcc
; %bb.2760:                             ;   in Loop: Header=BB6_2208 Depth=3
	s_or_b64 exec, exec, s[28:29]
	v_cmp_lt_u64_e32 vcc, s[42:43], v[12:13]
	v_mov_b32_e32 v17, 0
	v_mov_b32_e32 v26, 0
	s_and_saveexec_b64 s[28:29], vcc
	s_cbranch_execz .LBB6_2766
; %bb.2761:                             ;   in Loop: Header=BB6_2208 Depth=3
	v_lshrrev_b32_e32 v12, 24, v13
	v_cmp_ne_u32_e32 vcc, s91, v12
	v_bfrev_b32_e32 v26, 1
	s_and_saveexec_b64 s[64:65], vcc
	s_cbranch_execz .LBB6_2765
; %bb.2762:                             ;   in Loop: Header=BB6_2208 Depth=3
	v_bfe_u32 v13, v13, 24, 7
	v_cmp_ne_u32_e32 vcc, s92, v13
	v_mov_b32_e32 v26, 0x7f800001
	s_and_saveexec_b64 s[66:67], vcc
	s_cbranch_execz .LBB6_2764
; %bb.2763:                             ;   in Loop: Header=BB6_2208 Depth=3
	v_and_b32_e32 v26, 7, v12
	v_ffbh_u32_e32 v6, v26
	v_min_u32_e32 v32, 32, v6
	v_subrev_u32_e32 v6, 28, v32
	v_lshlrev_b64 v[6:7], v6, v[12:13]
	v_lshrrev_b32_e32 v29, 3, v13
	v_sub_u32_e32 v7, 29, v32
	v_and_b32_e32 v6, 7, v6
	v_cmp_gt_u32_e32 vcc, 8, v13
	v_cndmask_b32_e32 v7, v29, v7, vcc
	v_cndmask_b32_e32 v6, v26, v6, vcc
	v_lshlrev_b32_e32 v12, 24, v12
	v_lshlrev_b32_e32 v6, 20, v6
	v_and_b32_e32 v12, 0x80000000, v12
	v_lshl_add_u32 v7, v7, 23, v31
	v_or3_b32 v26, v12, v7, v6
.LBB6_2764:                             ;   in Loop: Header=BB6_2208 Depth=3
	s_or_b64 exec, exec, s[66:67]
.LBB6_2765:                             ;   in Loop: Header=BB6_2208 Depth=3
	s_or_b64 exec, exec, s[64:65]
.LBB6_2766:                             ;   in Loop: Header=BB6_2208 Depth=3
	s_or_b64 exec, exec, s[28:29]
	v_cmp_lt_u64_e32 vcc, s[42:43], v[8:9]
	s_and_saveexec_b64 s[28:29], vcc
	s_cbranch_execz .LBB6_2772
; %bb.2767:                             ;   in Loop: Header=BB6_2208 Depth=3
	v_lshrrev_b32_e32 v8, 24, v9
	v_cmp_ne_u32_e32 vcc, s91, v8
	v_bfrev_b32_e32 v17, 1
	s_and_saveexec_b64 s[64:65], vcc
	s_cbranch_execz .LBB6_2771
; %bb.2768:                             ;   in Loop: Header=BB6_2208 Depth=3
	v_bfe_u32 v9, v9, 24, 7
	v_cmp_ne_u32_e32 vcc, s92, v9
	v_mov_b32_e32 v17, 0x7f800001
	s_and_saveexec_b64 s[66:67], vcc
	s_cbranch_execz .LBB6_2770
; %bb.2769:                             ;   in Loop: Header=BB6_2208 Depth=3
	v_and_b32_e32 v12, 7, v8
	v_ffbh_u32_e32 v6, v12
	v_min_u32_e32 v17, 32, v6
	v_subrev_u32_e32 v6, 28, v17
	v_lshlrev_b64 v[6:7], v6, v[8:9]
	v_lshrrev_b32_e32 v13, 3, v9
	v_sub_u32_e32 v7, 29, v17
	v_and_b32_e32 v6, 7, v6
	v_cmp_gt_u32_e32 vcc, 8, v9
	v_cndmask_b32_e32 v7, v13, v7, vcc
	v_cndmask_b32_e32 v6, v12, v6, vcc
	v_lshlrev_b32_e32 v8, 24, v8
	v_lshlrev_b32_e32 v6, 20, v6
	v_and_b32_e32 v8, 0x80000000, v8
	v_lshl_add_u32 v7, v7, 23, v31
	v_or3_b32 v17, v8, v7, v6
.LBB6_2770:                             ;   in Loop: Header=BB6_2208 Depth=3
	s_or_b64 exec, exec, s[66:67]
.LBB6_2771:                             ;   in Loop: Header=BB6_2208 Depth=3
	s_or_b64 exec, exec, s[64:65]
.LBB6_2772:                             ;   in Loop: Header=BB6_2208 Depth=3
	s_or_b64 exec, exec, s[28:29]
	v_add_f32_e32 v8, v26, v17
	v_and_b32_sdwa v12, v8, s91 dst_sel:DWORD dst_unused:UNUSED_PAD src0_sel:BYTE_3 src1_sel:DWORD
	v_and_b32_e32 v6, 0x7f800000, v8
	v_mov_b32_e32 v7, v27
	v_and_b32_e32 v26, 0x7fffff, v8
	v_or_b32_e32 v13, 0x7e, v12
	v_cmp_ne_u64_e32 vcc, s[52:53], v[6:7]
	s_and_saveexec_b64 s[28:29], vcc
	s_xor_b64 s[64:65], exec, s[28:29]
	s_cbranch_execz .LBB6_2782
; %bb.2773:                             ;   in Loop: Header=BB6_2208 Depth=3
	v_and_b32_e32 v6, 0x7fffffff, v8
	v_mov_b32_e32 v7, v27
	v_cmp_gt_u64_e32 vcc, s[54:55], v[6:7]
	s_and_saveexec_b64 s[66:67], vcc
	s_cbranch_execz .LBB6_2781
; %bb.2774:                             ;   in Loop: Header=BB6_2208 Depth=3
	v_cmp_ne_u32_e32 vcc, 0, v8
	v_mov_b32_e32 v13, 0
	s_and_saveexec_b64 s[68:69], vcc
	s_cbranch_execz .LBB6_2780
; %bb.2775:                             ;   in Loop: Header=BB6_2208 Depth=3
	v_bfe_u32 v6, v8, 23, 8
	v_sub_u32_e32 v8, 0x79, v6
	v_cmp_gt_u32_e32 vcc, s93, v6
	v_add_u32_e32 v7, 0xffffff81, v6
	v_cndmask_b32_e32 v8, 0, v8, vcc
	v_cmp_eq_u32_e32 vcc, 0, v6
	v_mov_b32_e32 v0, 0xffffff82
	v_cndmask_b32_e32 v13, v7, v0, vcc
	v_mov_b32_e32 v0, 0x78
	v_cndmask_b32_e32 v17, v8, v0, vcc
	v_or_b32_e32 v9, 0x800000, v26
	v_add_u32_e32 v6, 20, v17
	v_cndmask_b32_e32 v26, v9, v26, vcc
	v_lshlrev_b64 v[6:7], v6, -1
	v_not_b32_e32 v6, v6
	v_lshrrev_b64 v[50:51], v17, v[26:27]
	v_not_b32_e32 v7, v7
	v_and_b32_e32 v6, v26, v6
	v_add_u32_e32 v8, 19, v17
	v_lshrrev_b32_e32 v26, 23, v50
	v_and_b32_e32 v7, 0, v7
	v_lshlrev_b64 v[8:9], v8, 1
	v_add3_u32 v26, v17, v13, v26
	v_bfe_u32 v13, v50, 20, 1
	v_add_u32_e32 v13, -1, v13
	v_cmp_eq_u64_e32 vcc, v[6:7], v[8:9]
	v_cndmask_b32_e32 v6, 0, v13, vcc
	v_add_u32_e32 v6, v6, v50
	v_and_b32_e32 v6, 0xfffff, v6
	v_add_co_u32_e32 v8, vcc, v6, v50
	v_add_u32_e32 v17, 6, v26
	v_addc_co_u32_e32 v9, vcc, 0, v51, vcc
	v_cmp_ne_u32_e32 vcc, 0, v17
                                        ; implicit-def: $vgpr13
	s_and_saveexec_b64 s[28:29], vcc
	s_xor_b64 s[28:29], exec, s[28:29]
; %bb.2776:                             ;   in Loop: Header=BB6_2208 Depth=3
	v_add_u32_e32 v6, 7, v26
	v_cmp_lt_u64_e32 vcc, s[56:57], v[8:9]
	v_cndmask_b32_e32 v13, v17, v6, vcc
	v_cndmask_b32_e64 v6, 0, 1, vcc
	v_lshrrev_b64 v[8:9], v6, v[8:9]
; %bb.2777:                             ;   in Loop: Header=BB6_2208 Depth=3
	s_andn2_saveexec_b64 s[28:29], s[28:29]
; %bb.2778:                             ;   in Loop: Header=BB6_2208 Depth=3
	v_bfe_u32 v13, v8, 23, 1
; %bb.2779:                             ;   in Loop: Header=BB6_2208 Depth=3
	s_or_b64 exec, exec, s[28:29]
	v_lshrrev_b64 v[6:7], 20, v[8:9]
	v_cmp_gt_i32_e32 vcc, 16, v13
	v_cndmask_b32_e32 v7, 0, v7, vcc
	v_cndmask_b32_e32 v6, 7, v6, vcc
	v_cmp_eq_u64_e64 s[28:29], 0, v[6:7]
	v_min_i32_e32 v7, 15, v13
	v_lshlrev_b32_e32 v7, 3, v7
	v_cmp_eq_u32_e32 vcc, 0, v13
	v_and_b32_e32 v7, 0xf8, v7
	v_and_or_b32 v6, v6, 7, v7
	s_and_b64 s[28:29], vcc, s[28:29]
	v_cndmask_b32_e64 v6, v6, 0, s[28:29]
	v_or_b32_e32 v13, v6, v12
.LBB6_2780:                             ;   in Loop: Header=BB6_2208 Depth=3
	s_or_b64 exec, exec, s[68:69]
.LBB6_2781:                             ;   in Loop: Header=BB6_2208 Depth=3
	s_or_b64 exec, exec, s[66:67]
                                        ; implicit-def: $vgpr8
.LBB6_2782:                             ;   in Loop: Header=BB6_2208 Depth=3
	s_andn2_saveexec_b64 s[28:29], s[64:65]
; %bb.2783:                             ;   in Loop: Header=BB6_2208 Depth=3
	v_or_b32_sdwa v6, v8, s92 dst_sel:DWORD dst_unused:UNUSED_PAD src0_sel:BYTE_3 src1_sel:DWORD
	v_cmp_eq_u64_e32 vcc, 0, v[26:27]
	v_cndmask_b32_e32 v13, v6, v13, vcc
; %bb.2784:                             ;   in Loop: Header=BB6_2208 Depth=3
	s_or_b64 exec, exec, s[28:29]
	v_cmp_ne_u16_sdwa vcc, v14, v27 src0_sel:BYTE_0 src1_sel:DWORD
	v_mov_b32_e32 v8, 0
	v_mov_b32_e32 v9, 0
	s_and_saveexec_b64 s[28:29], vcc
	s_cbranch_execz .LBB6_2790
; %bb.2785:                             ;   in Loop: Header=BB6_2208 Depth=3
	v_cmp_ne_u16_sdwa vcc, v14, s91 src0_sel:BYTE_0 src1_sel:DWORD
	v_bfrev_b32_e32 v9, 1
	s_and_saveexec_b64 s[64:65], vcc
	s_cbranch_execz .LBB6_2789
; %bb.2786:                             ;   in Loop: Header=BB6_2208 Depth=3
	v_and_b32_e32 v12, 0x7f, v14
	v_cmp_ne_u32_e32 vcc, s92, v12
	v_mov_b32_e32 v9, 0x7f800001
	s_and_saveexec_b64 s[66:67], vcc
	s_cbranch_execz .LBB6_2788
; %bb.2787:                             ;   in Loop: Header=BB6_2208 Depth=3
	v_and_b32_e32 v6, 7, v14
	v_ffbh_u32_e32 v6, v6
	v_min_u32_e32 v6, 32, v6
	v_lshrrev_b32_e32 v7, 3, v12
	v_subrev_u32_e32 v9, 28, v6
	v_sub_u32_e32 v6, 29, v6
	v_cmp_gt_u32_e32 vcc, 8, v12
	v_cndmask_b32_e32 v12, v7, v6, vcc
	v_cndmask_b32_e32 v6, 0, v9, vcc
	v_lshlrev_b64 v[6:7], v6, v[14:15]
	v_lshlrev_b32_e32 v6, 20, v6
	v_lshlrev_b32_e32 v7, 24, v14
	v_and_b32_e32 v6, 0x700000, v6
	v_and_b32_e32 v7, 0x80000000, v7
	v_lshl_add_u32 v9, v12, 23, v31
	v_or3_b32 v9, v7, v9, v6
.LBB6_2788:                             ;   in Loop: Header=BB6_2208 Depth=3
	s_or_b64 exec, exec, s[66:67]
.LBB6_2789:                             ;   in Loop: Header=BB6_2208 Depth=3
	s_or_b64 exec, exec, s[64:65]
.LBB6_2790:                             ;   in Loop: Header=BB6_2208 Depth=3
	s_or_b64 exec, exec, s[28:29]
	v_cmp_ne_u16_sdwa vcc, v10, v27 src0_sel:BYTE_0 src1_sel:DWORD
	s_and_saveexec_b64 s[28:29], vcc
	s_cbranch_execz .LBB6_2796
; %bb.2791:                             ;   in Loop: Header=BB6_2208 Depth=3
	v_cmp_ne_u16_sdwa vcc, v10, s91 src0_sel:BYTE_0 src1_sel:DWORD
	v_bfrev_b32_e32 v8, 1
	s_and_saveexec_b64 s[64:65], vcc
	s_cbranch_execz .LBB6_2795
; %bb.2792:                             ;   in Loop: Header=BB6_2208 Depth=3
	v_and_b32_e32 v12, 0x7f, v10
	v_cmp_ne_u32_e32 vcc, s92, v12
	v_mov_b32_e32 v8, 0x7f800001
	s_and_saveexec_b64 s[66:67], vcc
	s_cbranch_execz .LBB6_2794
; %bb.2793:                             ;   in Loop: Header=BB6_2208 Depth=3
	v_and_b32_e32 v6, 7, v10
	v_ffbh_u32_e32 v6, v6
	v_min_u32_e32 v6, 32, v6
	v_lshrrev_b32_e32 v7, 3, v12
	v_subrev_u32_e32 v8, 28, v6
	v_sub_u32_e32 v6, 29, v6
	v_cmp_gt_u32_e32 vcc, 8, v12
	v_cndmask_b32_e32 v12, v7, v6, vcc
	v_cndmask_b32_e32 v6, 0, v8, vcc
	v_lshlrev_b64 v[6:7], v6, v[10:11]
	v_lshlrev_b32_e32 v6, 20, v6
	v_lshlrev_b32_e32 v7, 24, v10
	v_and_b32_e32 v6, 0x700000, v6
	v_and_b32_e32 v7, 0x80000000, v7
	v_lshl_add_u32 v8, v12, 23, v31
	v_or3_b32 v8, v7, v8, v6
.LBB6_2794:                             ;   in Loop: Header=BB6_2208 Depth=3
	s_or_b64 exec, exec, s[66:67]
.LBB6_2795:                             ;   in Loop: Header=BB6_2208 Depth=3
	s_or_b64 exec, exec, s[64:65]
.LBB6_2796:                             ;   in Loop: Header=BB6_2208 Depth=3
	s_or_b64 exec, exec, s[28:29]
	v_add_f32_e32 v8, v9, v8
	v_and_b32_sdwa v12, v8, s91 dst_sel:DWORD dst_unused:UNUSED_PAD src0_sel:BYTE_3 src1_sel:DWORD
	v_and_b32_e32 v6, 0x7f800000, v8
	v_mov_b32_e32 v7, v27
	v_and_b32_e32 v26, 0x7fffff, v8
	v_or_b32_e32 v17, 0x7e, v12
	v_cmp_ne_u64_e32 vcc, s[52:53], v[6:7]
	s_and_saveexec_b64 s[28:29], vcc
	s_xor_b64 s[64:65], exec, s[28:29]
	s_cbranch_execz .LBB6_2806
; %bb.2797:                             ;   in Loop: Header=BB6_2208 Depth=3
	v_and_b32_e32 v6, 0x7fffffff, v8
	v_mov_b32_e32 v7, v27
	v_cmp_gt_u64_e32 vcc, s[54:55], v[6:7]
	s_and_saveexec_b64 s[66:67], vcc
	s_cbranch_execz .LBB6_2805
; %bb.2798:                             ;   in Loop: Header=BB6_2208 Depth=3
	v_cmp_ne_u32_e32 vcc, 0, v8
	v_mov_b32_e32 v17, 0
	s_and_saveexec_b64 s[68:69], vcc
	s_cbranch_execz .LBB6_2804
; %bb.2799:                             ;   in Loop: Header=BB6_2208 Depth=3
	v_bfe_u32 v6, v8, 23, 8
	v_sub_u32_e32 v8, 0x79, v6
	v_cmp_gt_u32_e32 vcc, s93, v6
	v_add_u32_e32 v7, 0xffffff81, v6
	v_cndmask_b32_e32 v8, 0, v8, vcc
	v_cmp_eq_u32_e32 vcc, 0, v6
	v_mov_b32_e32 v0, 0xffffff82
	v_cndmask_b32_e32 v17, v7, v0, vcc
	v_mov_b32_e32 v0, 0x78
	v_cndmask_b32_e32 v29, v8, v0, vcc
	v_or_b32_e32 v9, 0x800000, v26
	v_add_u32_e32 v6, 20, v29
	v_cndmask_b32_e32 v26, v9, v26, vcc
	v_lshlrev_b64 v[6:7], v6, -1
	v_not_b32_e32 v6, v6
	v_lshrrev_b64 v[50:51], v29, v[26:27]
	v_not_b32_e32 v7, v7
	v_and_b32_e32 v6, v26, v6
	v_add_u32_e32 v8, 19, v29
	v_lshrrev_b32_e32 v26, 23, v50
	v_and_b32_e32 v7, 0, v7
	v_lshlrev_b64 v[8:9], v8, 1
	v_add3_u32 v29, v29, v17, v26
	v_bfe_u32 v17, v50, 20, 1
	v_add_u32_e32 v17, -1, v17
	v_cmp_eq_u64_e32 vcc, v[6:7], v[8:9]
	v_cndmask_b32_e32 v6, 0, v17, vcc
	v_add_u32_e32 v6, v6, v50
	v_and_b32_e32 v6, 0xfffff, v6
	v_add_co_u32_e32 v8, vcc, v6, v50
	v_add_u32_e32 v26, 6, v29
	v_addc_co_u32_e32 v9, vcc, 0, v51, vcc
	v_cmp_ne_u32_e32 vcc, 0, v26
                                        ; implicit-def: $vgpr17
	s_and_saveexec_b64 s[28:29], vcc
	s_xor_b64 s[28:29], exec, s[28:29]
; %bb.2800:                             ;   in Loop: Header=BB6_2208 Depth=3
	v_add_u32_e32 v6, 7, v29
	v_cmp_lt_u64_e32 vcc, s[56:57], v[8:9]
	v_cndmask_b32_e32 v17, v26, v6, vcc
	v_cndmask_b32_e64 v6, 0, 1, vcc
	v_lshrrev_b64 v[8:9], v6, v[8:9]
; %bb.2801:                             ;   in Loop: Header=BB6_2208 Depth=3
	s_andn2_saveexec_b64 s[28:29], s[28:29]
; %bb.2802:                             ;   in Loop: Header=BB6_2208 Depth=3
	v_bfe_u32 v17, v8, 23, 1
; %bb.2803:                             ;   in Loop: Header=BB6_2208 Depth=3
	s_or_b64 exec, exec, s[28:29]
	v_lshrrev_b64 v[6:7], 20, v[8:9]
	v_cmp_gt_i32_e32 vcc, 16, v17
	v_cndmask_b32_e32 v7, 0, v7, vcc
	v_cndmask_b32_e32 v6, 7, v6, vcc
	v_cmp_eq_u64_e64 s[28:29], 0, v[6:7]
	v_min_i32_e32 v7, 15, v17
	v_cmp_eq_u32_e32 vcc, 0, v17
	v_lshlrev_b32_e32 v7, 3, v7
	v_and_or_b32 v6, v6, 7, v7
	s_and_b64 s[28:29], vcc, s[28:29]
	v_cndmask_b32_e64 v6, v6, 0, s[28:29]
	v_or_b32_e32 v17, v6, v12
.LBB6_2804:                             ;   in Loop: Header=BB6_2208 Depth=3
	s_or_b64 exec, exec, s[68:69]
.LBB6_2805:                             ;   in Loop: Header=BB6_2208 Depth=3
	s_or_b64 exec, exec, s[66:67]
                                        ; implicit-def: $vgpr8
.LBB6_2806:                             ;   in Loop: Header=BB6_2208 Depth=3
	s_andn2_saveexec_b64 s[28:29], s[64:65]
; %bb.2807:                             ;   in Loop: Header=BB6_2208 Depth=3
	v_or_b32_sdwa v6, v8, s92 dst_sel:DWORD dst_unused:UNUSED_PAD src0_sel:BYTE_3 src1_sel:DWORD
	v_cmp_eq_u64_e32 vcc, 0, v[26:27]
	v_cndmask_b32_e32 v17, v6, v17, vcc
; %bb.2808:                             ;   in Loop: Header=BB6_2208 Depth=3
	s_or_b64 exec, exec, s[28:29]
	v_lshrrev_b16_e32 v8, 8, v14
	v_cmp_ne_u16_e32 vcc, 0, v8
	v_mov_b32_e32 v9, 0
	v_mov_b32_e32 v12, 0
	s_and_saveexec_b64 s[28:29], vcc
	s_cbranch_execz .LBB6_2814
; %bb.2809:                             ;   in Loop: Header=BB6_2208 Depth=3
	v_cmp_ne_u16_e32 vcc, s91, v8
	v_bfrev_b32_e32 v12, 1
	s_and_saveexec_b64 s[64:65], vcc
	s_cbranch_execz .LBB6_2813
; %bb.2810:                             ;   in Loop: Header=BB6_2208 Depth=3
	v_and_b32_e32 v26, 0x7f, v8
	v_cmp_ne_u32_e32 vcc, s92, v26
	v_mov_b32_e32 v12, 0x7f800001
	s_and_saveexec_b64 s[66:67], vcc
	s_cbranch_execz .LBB6_2812
; %bb.2811:                             ;   in Loop: Header=BB6_2208 Depth=3
	v_and_b32_e32 v12, 7, v8
	v_ffbh_u32_e32 v6, v12
	v_min_u32_e32 v32, 32, v6
	v_subrev_u32_e32 v6, 28, v32
	v_lshlrev_b64 v[6:7], v6, v[8:9]
	v_lshrrev_b32_e32 v29, 3, v26
	v_sub_u32_e32 v7, 29, v32
	v_and_b32_e32 v6, 7, v6
	v_cmp_gt_u32_e32 vcc, 8, v26
	v_cndmask_b32_e32 v7, v29, v7, vcc
	v_cndmask_b32_e32 v6, v12, v6, vcc
	v_lshlrev_b32_e32 v8, 16, v14
	v_lshlrev_b32_e32 v6, 20, v6
	v_and_b32_e32 v8, 0x80000000, v8
	v_lshl_add_u32 v7, v7, 23, v31
	v_or3_b32 v12, v8, v7, v6
.LBB6_2812:                             ;   in Loop: Header=BB6_2208 Depth=3
	s_or_b64 exec, exec, s[66:67]
.LBB6_2813:                             ;   in Loop: Header=BB6_2208 Depth=3
	s_or_b64 exec, exec, s[64:65]
.LBB6_2814:                             ;   in Loop: Header=BB6_2208 Depth=3
	s_or_b64 exec, exec, s[28:29]
	v_lshrrev_b16_e32 v8, 8, v10
	v_cmp_ne_u16_e32 vcc, 0, v8
	s_and_saveexec_b64 s[28:29], vcc
	s_cbranch_execz .LBB6_2820
; %bb.2815:                             ;   in Loop: Header=BB6_2208 Depth=3
	v_cmp_ne_u16_e32 vcc, s91, v8
	v_bfrev_b32_e32 v9, 1
	s_and_saveexec_b64 s[64:65], vcc
	s_cbranch_execz .LBB6_2819
; %bb.2816:                             ;   in Loop: Header=BB6_2208 Depth=3
	v_and_b32_e32 v26, 0x7f, v8
	v_cmp_ne_u32_e32 vcc, s92, v26
	v_mov_b32_e32 v9, 0x7f800001
	s_and_saveexec_b64 s[66:67], vcc
	s_cbranch_execz .LBB6_2818
; %bb.2817:                             ;   in Loop: Header=BB6_2208 Depth=3
	v_and_b32_e32 v9, 7, v8
	v_ffbh_u32_e32 v6, v9
	v_min_u32_e32 v32, 32, v6
	v_subrev_u32_e32 v6, 28, v32
	v_lshlrev_b64 v[6:7], v6, v[8:9]
	v_lshrrev_b32_e32 v29, 3, v26
	v_sub_u32_e32 v7, 29, v32
	v_and_b32_e32 v6, 7, v6
	v_cmp_gt_u32_e32 vcc, 8, v26
	v_cndmask_b32_e32 v7, v29, v7, vcc
	v_cndmask_b32_e32 v6, v9, v6, vcc
	v_lshlrev_b32_e32 v8, 16, v10
	v_lshlrev_b32_e32 v6, 20, v6
	v_and_b32_e32 v8, 0x80000000, v8
	v_lshl_add_u32 v7, v7, 23, v31
	v_or3_b32 v9, v8, v7, v6
.LBB6_2818:                             ;   in Loop: Header=BB6_2208 Depth=3
	s_or_b64 exec, exec, s[66:67]
.LBB6_2819:                             ;   in Loop: Header=BB6_2208 Depth=3
	s_or_b64 exec, exec, s[64:65]
.LBB6_2820:                             ;   in Loop: Header=BB6_2208 Depth=3
	s_or_b64 exec, exec, s[28:29]
	v_add_f32_e32 v8, v12, v9
	v_and_b32_sdwa v12, v8, s91 dst_sel:DWORD dst_unused:UNUSED_PAD src0_sel:BYTE_3 src1_sel:DWORD
	v_and_b32_e32 v6, 0x7f800000, v8
	v_mov_b32_e32 v7, v27
	v_and_b32_e32 v26, 0x7fffff, v8
	v_or_b32_e32 v57, 0x7e, v12
	v_cmp_ne_u64_e32 vcc, s[52:53], v[6:7]
	s_and_saveexec_b64 s[28:29], vcc
	s_xor_b64 s[64:65], exec, s[28:29]
	s_cbranch_execz .LBB6_2830
; %bb.2821:                             ;   in Loop: Header=BB6_2208 Depth=3
	v_and_b32_e32 v6, 0x7fffffff, v8
	v_mov_b32_e32 v7, v27
	v_cmp_gt_u64_e32 vcc, s[54:55], v[6:7]
	s_and_saveexec_b64 s[66:67], vcc
	s_cbranch_execz .LBB6_2829
; %bb.2822:                             ;   in Loop: Header=BB6_2208 Depth=3
	v_cmp_ne_u32_e32 vcc, 0, v8
	v_mov_b32_e32 v57, 0
	s_and_saveexec_b64 s[68:69], vcc
	s_cbranch_execz .LBB6_2828
; %bb.2823:                             ;   in Loop: Header=BB6_2208 Depth=3
	v_bfe_u32 v6, v8, 23, 8
	v_sub_u32_e32 v8, 0x79, v6
	v_cmp_gt_u32_e32 vcc, s93, v6
	v_add_u32_e32 v7, 0xffffff81, v6
	v_cndmask_b32_e32 v8, 0, v8, vcc
	v_cmp_eq_u32_e32 vcc, 0, v6
	v_mov_b32_e32 v0, 0xffffff82
	v_cndmask_b32_e32 v29, v7, v0, vcc
	v_mov_b32_e32 v0, 0x78
	v_cndmask_b32_e32 v32, v8, v0, vcc
	v_or_b32_e32 v9, 0x800000, v26
	v_add_u32_e32 v6, 20, v32
	v_cndmask_b32_e32 v26, v9, v26, vcc
	v_lshlrev_b64 v[6:7], v6, -1
	v_not_b32_e32 v6, v6
	v_lshrrev_b64 v[50:51], v32, v[26:27]
	v_not_b32_e32 v7, v7
	v_and_b32_e32 v6, v26, v6
	v_add_u32_e32 v8, 19, v32
	v_lshrrev_b32_e32 v26, 23, v50
	v_and_b32_e32 v7, 0, v7
	v_lshlrev_b64 v[8:9], v8, 1
	v_add3_u32 v39, v32, v29, v26
	v_bfe_u32 v26, v50, 20, 1
	v_add_u32_e32 v26, -1, v26
	v_cmp_eq_u64_e32 vcc, v[6:7], v[8:9]
	v_cndmask_b32_e32 v6, 0, v26, vcc
	v_add_u32_e32 v6, v6, v50
	v_and_b32_e32 v6, 0xfffff, v6
	v_add_co_u32_e32 v8, vcc, v6, v50
	v_add_u32_e32 v29, 6, v39
	v_addc_co_u32_e32 v9, vcc, 0, v51, vcc
	v_cmp_ne_u32_e32 vcc, 0, v29
                                        ; implicit-def: $vgpr26
	s_and_saveexec_b64 s[28:29], vcc
	s_xor_b64 s[28:29], exec, s[28:29]
; %bb.2824:                             ;   in Loop: Header=BB6_2208 Depth=3
	v_add_u32_e32 v6, 7, v39
	v_cmp_lt_u64_e32 vcc, s[56:57], v[8:9]
	v_cndmask_b32_e32 v26, v29, v6, vcc
	v_cndmask_b32_e64 v6, 0, 1, vcc
	v_lshrrev_b64 v[8:9], v6, v[8:9]
; %bb.2825:                             ;   in Loop: Header=BB6_2208 Depth=3
	s_andn2_saveexec_b64 s[28:29], s[28:29]
; %bb.2826:                             ;   in Loop: Header=BB6_2208 Depth=3
	v_bfe_u32 v26, v8, 23, 1
; %bb.2827:                             ;   in Loop: Header=BB6_2208 Depth=3
	s_or_b64 exec, exec, s[28:29]
	v_lshrrev_b64 v[6:7], 20, v[8:9]
	v_cmp_gt_i32_e32 vcc, 16, v26
	v_cndmask_b32_e32 v7, 0, v7, vcc
	v_cndmask_b32_e32 v6, 7, v6, vcc
	v_cmp_eq_u64_e64 s[28:29], 0, v[6:7]
	v_min_i32_e32 v7, 15, v26
	v_cmp_eq_u32_e32 vcc, 0, v26
	v_lshlrev_b32_e32 v7, 3, v7
	v_and_or_b32 v6, v6, 7, v7
	s_and_b64 s[28:29], vcc, s[28:29]
	v_cndmask_b32_e64 v6, v6, 0, s[28:29]
	v_or_b32_e32 v57, v6, v12
.LBB6_2828:                             ;   in Loop: Header=BB6_2208 Depth=3
	s_or_b64 exec, exec, s[68:69]
.LBB6_2829:                             ;   in Loop: Header=BB6_2208 Depth=3
	s_or_b64 exec, exec, s[66:67]
                                        ; implicit-def: $vgpr8
.LBB6_2830:                             ;   in Loop: Header=BB6_2208 Depth=3
	s_andn2_saveexec_b64 s[28:29], s[64:65]
; %bb.2831:                             ;   in Loop: Header=BB6_2208 Depth=3
	v_or_b32_sdwa v6, v8, s92 dst_sel:DWORD dst_unused:UNUSED_PAD src0_sel:BYTE_3 src1_sel:DWORD
	v_cmp_eq_u64_e32 vcc, 0, v[26:27]
	v_cndmask_b32_e32 v57, v6, v57, vcc
; %bb.2832:                             ;   in Loop: Header=BB6_2208 Depth=3
	s_or_b64 exec, exec, s[28:29]
	v_lshrrev_b32_e32 v8, 16, v14
	v_cmp_ne_u16_sdwa vcc, v8, v27 src0_sel:BYTE_0 src1_sel:DWORD
	v_mov_b32_e32 v9, 0
	v_mov_b32_e32 v12, 0
	s_and_saveexec_b64 s[28:29], vcc
	s_cbranch_execz .LBB6_2838
; %bb.2833:                             ;   in Loop: Header=BB6_2208 Depth=3
	v_cmp_ne_u16_sdwa vcc, v8, s91 src0_sel:BYTE_0 src1_sel:DWORD
	v_bfrev_b32_e32 v12, 1
	s_and_saveexec_b64 s[64:65], vcc
	s_cbranch_execz .LBB6_2837
; %bb.2834:                             ;   in Loop: Header=BB6_2208 Depth=3
	v_bfe_u32 v26, v14, 16, 7
	v_cmp_ne_u32_e32 vcc, s92, v26
	v_mov_b32_e32 v12, 0x7f800001
	s_and_saveexec_b64 s[66:67], vcc
	s_cbranch_execz .LBB6_2836
; %bb.2835:                             ;   in Loop: Header=BB6_2208 Depth=3
	v_and_b32_e32 v12, 7, v8
	v_ffbh_u32_e32 v6, v12
	v_min_u32_e32 v32, 32, v6
	v_subrev_u32_e32 v6, 28, v32
	v_lshlrev_b64 v[6:7], v6, v[8:9]
	v_lshrrev_b32_e32 v29, 3, v26
	v_sub_u32_e32 v7, 29, v32
	v_and_b32_e32 v6, 7, v6
	v_cmp_gt_u32_e32 vcc, 8, v26
	v_cndmask_b32_e32 v7, v29, v7, vcc
	v_cndmask_b32_e32 v6, v12, v6, vcc
	v_lshlrev_b32_e32 v8, 24, v8
	v_lshlrev_b32_e32 v6, 20, v6
	v_and_b32_e32 v8, 0x80000000, v8
	v_lshl_add_u32 v7, v7, 23, v31
	v_or3_b32 v12, v8, v7, v6
.LBB6_2836:                             ;   in Loop: Header=BB6_2208 Depth=3
	s_or_b64 exec, exec, s[66:67]
.LBB6_2837:                             ;   in Loop: Header=BB6_2208 Depth=3
	s_or_b64 exec, exec, s[64:65]
.LBB6_2838:                             ;   in Loop: Header=BB6_2208 Depth=3
	s_or_b64 exec, exec, s[28:29]
	v_lshrrev_b32_e32 v8, 16, v10
	v_cmp_ne_u16_sdwa vcc, v8, v27 src0_sel:BYTE_0 src1_sel:DWORD
	s_and_saveexec_b64 s[28:29], vcc
	s_cbranch_execz .LBB6_2844
; %bb.2839:                             ;   in Loop: Header=BB6_2208 Depth=3
	v_cmp_ne_u16_sdwa vcc, v8, s91 src0_sel:BYTE_0 src1_sel:DWORD
	v_bfrev_b32_e32 v9, 1
	s_and_saveexec_b64 s[64:65], vcc
	s_cbranch_execz .LBB6_2843
; %bb.2840:                             ;   in Loop: Header=BB6_2208 Depth=3
	v_bfe_u32 v26, v10, 16, 7
	v_cmp_ne_u32_e32 vcc, s92, v26
	v_mov_b32_e32 v9, 0x7f800001
	s_and_saveexec_b64 s[66:67], vcc
	s_cbranch_execz .LBB6_2842
; %bb.2841:                             ;   in Loop: Header=BB6_2208 Depth=3
	v_and_b32_e32 v9, 7, v8
	v_ffbh_u32_e32 v6, v9
	v_min_u32_e32 v32, 32, v6
	v_subrev_u32_e32 v6, 28, v32
	v_lshlrev_b64 v[6:7], v6, v[8:9]
	v_lshrrev_b32_e32 v29, 3, v26
	v_sub_u32_e32 v7, 29, v32
	v_and_b32_e32 v6, 7, v6
	v_cmp_gt_u32_e32 vcc, 8, v26
	v_cndmask_b32_e32 v7, v29, v7, vcc
	v_cndmask_b32_e32 v6, v9, v6, vcc
	v_lshlrev_b32_e32 v8, 8, v10
	v_lshlrev_b32_e32 v6, 20, v6
	v_and_b32_e32 v8, 0x80000000, v8
	v_lshl_add_u32 v7, v7, 23, v31
	v_or3_b32 v9, v8, v7, v6
.LBB6_2842:                             ;   in Loop: Header=BB6_2208 Depth=3
	s_or_b64 exec, exec, s[66:67]
.LBB6_2843:                             ;   in Loop: Header=BB6_2208 Depth=3
	s_or_b64 exec, exec, s[64:65]
.LBB6_2844:                             ;   in Loop: Header=BB6_2208 Depth=3
	s_or_b64 exec, exec, s[28:29]
	v_add_f32_e32 v8, v12, v9
	v_and_b32_sdwa v12, v8, s91 dst_sel:DWORD dst_unused:UNUSED_PAD src0_sel:BYTE_3 src1_sel:DWORD
	v_and_b32_e32 v6, 0x7f800000, v8
	v_mov_b32_e32 v7, v27
	v_and_b32_e32 v26, 0x7fffff, v8
	v_or_b32_e32 v54, 0x7e, v12
	v_cmp_ne_u64_e32 vcc, s[52:53], v[6:7]
	s_and_saveexec_b64 s[28:29], vcc
	s_xor_b64 s[64:65], exec, s[28:29]
	s_cbranch_execz .LBB6_2854
; %bb.2845:                             ;   in Loop: Header=BB6_2208 Depth=3
	v_and_b32_e32 v6, 0x7fffffff, v8
	v_mov_b32_e32 v7, v27
	v_cmp_gt_u64_e32 vcc, s[54:55], v[6:7]
	s_and_saveexec_b64 s[66:67], vcc
	s_cbranch_execz .LBB6_2853
; %bb.2846:                             ;   in Loop: Header=BB6_2208 Depth=3
	v_cmp_ne_u32_e32 vcc, 0, v8
	v_mov_b32_e32 v54, 0
	s_and_saveexec_b64 s[68:69], vcc
	s_cbranch_execz .LBB6_2852
; %bb.2847:                             ;   in Loop: Header=BB6_2208 Depth=3
	v_bfe_u32 v6, v8, 23, 8
	v_sub_u32_e32 v8, 0x79, v6
	v_cmp_gt_u32_e32 vcc, s93, v6
	v_add_u32_e32 v7, 0xffffff81, v6
	v_cndmask_b32_e32 v8, 0, v8, vcc
	v_cmp_eq_u32_e32 vcc, 0, v6
	v_mov_b32_e32 v0, 0xffffff82
	v_cndmask_b32_e32 v29, v7, v0, vcc
	v_mov_b32_e32 v0, 0x78
	v_cndmask_b32_e32 v32, v8, v0, vcc
	v_or_b32_e32 v9, 0x800000, v26
	v_add_u32_e32 v6, 20, v32
	v_cndmask_b32_e32 v26, v9, v26, vcc
	v_lshlrev_b64 v[6:7], v6, -1
	v_not_b32_e32 v6, v6
	v_lshrrev_b64 v[50:51], v32, v[26:27]
	v_not_b32_e32 v7, v7
	v_and_b32_e32 v6, v26, v6
	v_add_u32_e32 v8, 19, v32
	v_lshrrev_b32_e32 v26, 23, v50
	v_and_b32_e32 v7, 0, v7
	v_lshlrev_b64 v[8:9], v8, 1
	v_add3_u32 v39, v32, v29, v26
	v_bfe_u32 v26, v50, 20, 1
	v_add_u32_e32 v26, -1, v26
	v_cmp_eq_u64_e32 vcc, v[6:7], v[8:9]
	v_cndmask_b32_e32 v6, 0, v26, vcc
	v_add_u32_e32 v6, v6, v50
	v_and_b32_e32 v6, 0xfffff, v6
	v_add_co_u32_e32 v8, vcc, v6, v50
	v_add_u32_e32 v29, 6, v39
	v_addc_co_u32_e32 v9, vcc, 0, v51, vcc
	v_cmp_ne_u32_e32 vcc, 0, v29
                                        ; implicit-def: $vgpr26
	s_and_saveexec_b64 s[28:29], vcc
	s_xor_b64 s[28:29], exec, s[28:29]
; %bb.2848:                             ;   in Loop: Header=BB6_2208 Depth=3
	v_add_u32_e32 v6, 7, v39
	v_cmp_lt_u64_e32 vcc, s[56:57], v[8:9]
	v_cndmask_b32_e32 v26, v29, v6, vcc
	v_cndmask_b32_e64 v6, 0, 1, vcc
	v_lshrrev_b64 v[8:9], v6, v[8:9]
; %bb.2849:                             ;   in Loop: Header=BB6_2208 Depth=3
	s_andn2_saveexec_b64 s[28:29], s[28:29]
; %bb.2850:                             ;   in Loop: Header=BB6_2208 Depth=3
	v_bfe_u32 v26, v8, 23, 1
; %bb.2851:                             ;   in Loop: Header=BB6_2208 Depth=3
	s_or_b64 exec, exec, s[28:29]
	v_lshrrev_b64 v[6:7], 20, v[8:9]
	v_cmp_gt_i32_e32 vcc, 16, v26
	v_cndmask_b32_e32 v7, 0, v7, vcc
	v_cndmask_b32_e32 v6, 7, v6, vcc
	v_cmp_eq_u64_e64 s[28:29], 0, v[6:7]
	v_min_i32_e32 v7, 15, v26
	v_cmp_eq_u32_e32 vcc, 0, v26
	v_lshlrev_b32_e32 v7, 3, v7
	v_and_or_b32 v6, v6, 7, v7
	s_and_b64 s[28:29], vcc, s[28:29]
	v_cndmask_b32_e64 v6, v6, 0, s[28:29]
	v_or_b32_e32 v54, v6, v12
.LBB6_2852:                             ;   in Loop: Header=BB6_2208 Depth=3
	s_or_b64 exec, exec, s[68:69]
.LBB6_2853:                             ;   in Loop: Header=BB6_2208 Depth=3
	s_or_b64 exec, exec, s[66:67]
                                        ; implicit-def: $vgpr8
.LBB6_2854:                             ;   in Loop: Header=BB6_2208 Depth=3
	s_andn2_saveexec_b64 s[28:29], s[64:65]
; %bb.2855:                             ;   in Loop: Header=BB6_2208 Depth=3
	v_or_b32_sdwa v6, v8, s92 dst_sel:DWORD dst_unused:UNUSED_PAD src0_sel:BYTE_3 src1_sel:DWORD
	v_cmp_eq_u64_e32 vcc, 0, v[26:27]
	v_cndmask_b32_e32 v54, v6, v54, vcc
; %bb.2856:                             ;   in Loop: Header=BB6_2208 Depth=3
	s_or_b64 exec, exec, s[28:29]
	v_cmp_lt_u32_e32 vcc, s43, v14
	v_mov_b32_e32 v9, 0
	v_mov_b32_e32 v12, 0
	s_and_saveexec_b64 s[28:29], vcc
	s_cbranch_execz .LBB6_2862
; %bb.2857:                             ;   in Loop: Header=BB6_2208 Depth=3
	v_lshrrev_b32_e32 v8, 24, v14
	v_cmp_ne_u32_e32 vcc, s91, v8
	v_bfrev_b32_e32 v12, 1
	s_and_saveexec_b64 s[64:65], vcc
	s_cbranch_execz .LBB6_2861
; %bb.2858:                             ;   in Loop: Header=BB6_2208 Depth=3
	v_bfe_u32 v26, v14, 24, 7
	v_cmp_ne_u32_e32 vcc, s92, v26
	v_mov_b32_e32 v12, 0x7f800001
	s_and_saveexec_b64 s[66:67], vcc
	s_cbranch_execz .LBB6_2860
; %bb.2859:                             ;   in Loop: Header=BB6_2208 Depth=3
	v_and_b32_e32 v12, 7, v8
	v_ffbh_u32_e32 v6, v12
	v_min_u32_e32 v32, 32, v6
	v_subrev_u32_e32 v6, 28, v32
	v_lshlrev_b64 v[6:7], v6, v[8:9]
	v_lshrrev_b32_e32 v29, 3, v26
	v_sub_u32_e32 v7, 29, v32
	v_and_b32_e32 v6, 7, v6
	v_cmp_gt_u32_e32 vcc, 8, v26
	v_cndmask_b32_e32 v7, v29, v7, vcc
	v_cndmask_b32_e32 v6, v12, v6, vcc
	v_lshlrev_b32_e32 v8, 24, v8
	v_lshlrev_b32_e32 v6, 20, v6
	v_and_b32_e32 v8, 0x80000000, v8
	v_lshl_add_u32 v7, v7, 23, v31
	v_or3_b32 v12, v8, v7, v6
.LBB6_2860:                             ;   in Loop: Header=BB6_2208 Depth=3
	s_or_b64 exec, exec, s[66:67]
.LBB6_2861:                             ;   in Loop: Header=BB6_2208 Depth=3
	s_or_b64 exec, exec, s[64:65]
.LBB6_2862:                             ;   in Loop: Header=BB6_2208 Depth=3
	s_or_b64 exec, exec, s[28:29]
	v_cmp_lt_u32_e32 vcc, s43, v10
	s_and_saveexec_b64 s[28:29], vcc
	s_cbranch_execz .LBB6_2868
; %bb.2863:                             ;   in Loop: Header=BB6_2208 Depth=3
	v_lshrrev_b32_e32 v8, 24, v10
	v_cmp_ne_u32_e32 vcc, s91, v8
	v_bfrev_b32_e32 v9, 1
	s_and_saveexec_b64 s[64:65], vcc
	s_cbranch_execz .LBB6_2867
; %bb.2864:                             ;   in Loop: Header=BB6_2208 Depth=3
	v_bfe_u32 v26, v10, 24, 7
	v_cmp_ne_u32_e32 vcc, s92, v26
	v_mov_b32_e32 v9, 0x7f800001
	s_and_saveexec_b64 s[66:67], vcc
	s_cbranch_execz .LBB6_2866
; %bb.2865:                             ;   in Loop: Header=BB6_2208 Depth=3
	v_and_b32_e32 v9, 7, v8
	v_ffbh_u32_e32 v6, v9
	v_min_u32_e32 v32, 32, v6
	v_subrev_u32_e32 v6, 28, v32
	v_lshlrev_b64 v[6:7], v6, v[8:9]
	v_lshrrev_b32_e32 v29, 3, v26
	v_sub_u32_e32 v7, 29, v32
	v_and_b32_e32 v6, 7, v6
	v_cmp_gt_u32_e32 vcc, 8, v26
	v_cndmask_b32_e32 v7, v29, v7, vcc
	v_cndmask_b32_e32 v6, v9, v6, vcc
	v_lshlrev_b32_e32 v8, 24, v8
	v_lshlrev_b32_e32 v6, 20, v6
	v_and_b32_e32 v8, 0x80000000, v8
	v_lshl_add_u32 v7, v7, 23, v31
	v_or3_b32 v9, v8, v7, v6
.LBB6_2866:                             ;   in Loop: Header=BB6_2208 Depth=3
	s_or_b64 exec, exec, s[66:67]
.LBB6_2867:                             ;   in Loop: Header=BB6_2208 Depth=3
	s_or_b64 exec, exec, s[64:65]
.LBB6_2868:                             ;   in Loop: Header=BB6_2208 Depth=3
	s_or_b64 exec, exec, s[28:29]
	v_add_f32_e32 v8, v12, v9
	v_and_b32_sdwa v12, v8, s91 dst_sel:DWORD dst_unused:UNUSED_PAD src0_sel:BYTE_3 src1_sel:DWORD
	v_and_b32_e32 v6, 0x7f800000, v8
	v_mov_b32_e32 v7, v27
	v_and_b32_e32 v26, 0x7fffff, v8
	v_or_b32_e32 v39, 0x7e, v12
	v_cmp_ne_u64_e32 vcc, s[52:53], v[6:7]
	s_and_saveexec_b64 s[28:29], vcc
	s_xor_b64 s[64:65], exec, s[28:29]
	s_cbranch_execz .LBB6_2878
; %bb.2869:                             ;   in Loop: Header=BB6_2208 Depth=3
	v_and_b32_e32 v6, 0x7fffffff, v8
	v_mov_b32_e32 v7, v27
	v_cmp_gt_u64_e32 vcc, s[54:55], v[6:7]
	s_and_saveexec_b64 s[66:67], vcc
	s_cbranch_execz .LBB6_2877
; %bb.2870:                             ;   in Loop: Header=BB6_2208 Depth=3
	v_cmp_ne_u32_e32 vcc, 0, v8
	v_mov_b32_e32 v39, 0
	s_and_saveexec_b64 s[68:69], vcc
	s_cbranch_execz .LBB6_2876
; %bb.2871:                             ;   in Loop: Header=BB6_2208 Depth=3
	v_bfe_u32 v6, v8, 23, 8
	v_sub_u32_e32 v8, 0x79, v6
	v_cmp_gt_u32_e32 vcc, s93, v6
	v_add_u32_e32 v7, 0xffffff81, v6
	v_cndmask_b32_e32 v8, 0, v8, vcc
	v_cmp_eq_u32_e32 vcc, 0, v6
	v_mov_b32_e32 v0, 0xffffff82
	v_cndmask_b32_e32 v29, v7, v0, vcc
	v_mov_b32_e32 v0, 0x78
	v_cndmask_b32_e32 v32, v8, v0, vcc
	v_or_b32_e32 v9, 0x800000, v26
	v_add_u32_e32 v6, 20, v32
	v_cndmask_b32_e32 v26, v9, v26, vcc
	v_lshlrev_b64 v[6:7], v6, -1
	v_not_b32_e32 v6, v6
	v_lshrrev_b64 v[50:51], v32, v[26:27]
	v_not_b32_e32 v7, v7
	v_and_b32_e32 v6, v26, v6
	v_add_u32_e32 v8, 19, v32
	v_lshrrev_b32_e32 v26, 23, v50
	v_and_b32_e32 v7, 0, v7
	v_lshlrev_b64 v[8:9], v8, 1
	v_add3_u32 v39, v32, v29, v26
	v_bfe_u32 v26, v50, 20, 1
	v_add_u32_e32 v26, -1, v26
	v_cmp_eq_u64_e32 vcc, v[6:7], v[8:9]
	v_cndmask_b32_e32 v6, 0, v26, vcc
	v_add_u32_e32 v6, v6, v50
	v_and_b32_e32 v6, 0xfffff, v6
	v_add_co_u32_e32 v8, vcc, v6, v50
	v_add_u32_e32 v29, 6, v39
	v_addc_co_u32_e32 v9, vcc, 0, v51, vcc
	v_cmp_ne_u32_e32 vcc, 0, v29
                                        ; implicit-def: $vgpr26
	s_and_saveexec_b64 s[28:29], vcc
	s_xor_b64 s[28:29], exec, s[28:29]
; %bb.2872:                             ;   in Loop: Header=BB6_2208 Depth=3
	v_add_u32_e32 v6, 7, v39
	v_cmp_lt_u64_e32 vcc, s[56:57], v[8:9]
	v_cndmask_b32_e32 v26, v29, v6, vcc
	v_cndmask_b32_e64 v6, 0, 1, vcc
	v_lshrrev_b64 v[8:9], v6, v[8:9]
; %bb.2873:                             ;   in Loop: Header=BB6_2208 Depth=3
	s_andn2_saveexec_b64 s[28:29], s[28:29]
; %bb.2874:                             ;   in Loop: Header=BB6_2208 Depth=3
	v_bfe_u32 v26, v8, 23, 1
; %bb.2875:                             ;   in Loop: Header=BB6_2208 Depth=3
	s_or_b64 exec, exec, s[28:29]
	v_lshrrev_b64 v[6:7], 20, v[8:9]
	v_cmp_gt_i32_e32 vcc, 16, v26
	v_cndmask_b32_e32 v7, 0, v7, vcc
	v_cndmask_b32_e32 v6, 7, v6, vcc
	v_cmp_eq_u64_e64 s[28:29], 0, v[6:7]
	v_min_i32_e32 v7, 15, v26
	v_cmp_eq_u32_e32 vcc, 0, v26
	v_lshlrev_b32_e32 v7, 3, v7
	v_and_or_b32 v6, v6, 7, v7
	s_and_b64 s[28:29], vcc, s[28:29]
	v_cndmask_b32_e64 v6, v6, 0, s[28:29]
	v_or_b32_e32 v39, v6, v12
.LBB6_2876:                             ;   in Loop: Header=BB6_2208 Depth=3
	s_or_b64 exec, exec, s[68:69]
.LBB6_2877:                             ;   in Loop: Header=BB6_2208 Depth=3
	s_or_b64 exec, exec, s[66:67]
                                        ; implicit-def: $vgpr8
.LBB6_2878:                             ;   in Loop: Header=BB6_2208 Depth=3
	s_andn2_saveexec_b64 s[28:29], s[64:65]
; %bb.2879:                             ;   in Loop: Header=BB6_2208 Depth=3
	v_or_b32_sdwa v6, v8, s92 dst_sel:DWORD dst_unused:UNUSED_PAD src0_sel:BYTE_3 src1_sel:DWORD
	v_cmp_eq_u64_e32 vcc, 0, v[26:27]
	v_cndmask_b32_e32 v39, v6, v39, vcc
; %bb.2880:                             ;   in Loop: Header=BB6_2208 Depth=3
	s_or_b64 exec, exec, s[28:29]
	v_mov_b32_e32 v26, v15
	v_cmp_ne_u16_sdwa vcc, v15, v27 src0_sel:BYTE_0 src1_sel:DWORD
	v_mov_b32_e32 v9, 0
	v_mov_b32_e32 v8, 0
	s_and_saveexec_b64 s[28:29], vcc
	s_cbranch_execz .LBB6_2886
; %bb.2881:                             ;   in Loop: Header=BB6_2208 Depth=3
	v_cmp_ne_u16_sdwa vcc, v15, s91 src0_sel:BYTE_0 src1_sel:DWORD
	v_bfrev_b32_e32 v8, 1
	s_and_saveexec_b64 s[64:65], vcc
	s_cbranch_execz .LBB6_2885
; %bb.2882:                             ;   in Loop: Header=BB6_2208 Depth=3
	v_and_b32_e32 v12, 0x7f, v15
	v_cmp_ne_u32_e32 vcc, s92, v12
	v_mov_b32_e32 v8, 0x7f800001
	s_and_saveexec_b64 s[66:67], vcc
	s_cbranch_execz .LBB6_2884
; %bb.2883:                             ;   in Loop: Header=BB6_2208 Depth=3
	v_and_b32_e32 v6, 7, v15
	v_ffbh_u32_e32 v6, v6
	v_min_u32_e32 v6, 32, v6
	v_lshrrev_b32_e32 v7, 3, v12
	v_subrev_u32_e32 v8, 28, v6
	v_sub_u32_e32 v6, 29, v6
	v_cmp_gt_u32_e32 vcc, 8, v12
	v_cndmask_b32_e32 v12, v7, v6, vcc
	v_cndmask_b32_e32 v6, 0, v8, vcc
	v_lshlrev_b64 v[6:7], v6, v[26:27]
	v_lshlrev_b32_e32 v6, 20, v6
	v_lshlrev_b32_e32 v7, 24, v26
	v_and_b32_e32 v6, 0x700000, v6
	v_and_b32_e32 v7, 0x80000000, v7
	v_lshl_add_u32 v8, v12, 23, v31
	v_or3_b32 v8, v7, v8, v6
.LBB6_2884:                             ;   in Loop: Header=BB6_2208 Depth=3
	s_or_b64 exec, exec, s[66:67]
.LBB6_2885:                             ;   in Loop: Header=BB6_2208 Depth=3
	s_or_b64 exec, exec, s[64:65]
.LBB6_2886:                             ;   in Loop: Header=BB6_2208 Depth=3
	s_or_b64 exec, exec, s[28:29]
	v_cmp_ne_u16_sdwa vcc, v11, v27 src0_sel:BYTE_0 src1_sel:DWORD
	s_and_saveexec_b64 s[28:29], vcc
	s_cbranch_execz .LBB6_2892
; %bb.2887:                             ;   in Loop: Header=BB6_2208 Depth=3
	v_cmp_ne_u16_sdwa vcc, v11, s91 src0_sel:BYTE_0 src1_sel:DWORD
	v_bfrev_b32_e32 v9, 1
	s_and_saveexec_b64 s[64:65], vcc
	s_cbranch_execz .LBB6_2891
; %bb.2888:                             ;   in Loop: Header=BB6_2208 Depth=3
	v_and_b32_e32 v12, 0x7f, v11
	v_cmp_ne_u32_e32 vcc, s92, v12
	v_mov_b32_e32 v9, 0x7f800001
	s_and_saveexec_b64 s[66:67], vcc
	s_cbranch_execz .LBB6_2890
; %bb.2889:                             ;   in Loop: Header=BB6_2208 Depth=3
	v_and_b32_e32 v9, 7, v11
	v_ffbh_u32_e32 v9, v9
	v_min_u32_e32 v9, 32, v9
	v_subrev_u32_e32 v32, 28, v9
	v_cmp_gt_u32_e32 vcc, 8, v12
	v_mov_b32_e32 v6, v11
	v_mov_b32_e32 v7, v27
	v_lshrrev_b32_e32 v29, 3, v12
	v_cndmask_b32_e32 v12, 0, v32, vcc
	v_sub_u32_e32 v9, 29, v9
	v_lshlrev_b64 v[50:51], v12, v[6:7]
	v_cndmask_b32_e32 v9, v29, v9, vcc
	v_lshlrev_b32_e32 v7, 20, v50
	v_lshlrev_b32_e32 v6, 24, v6
	v_and_b32_e32 v7, 0x700000, v7
	v_and_b32_e32 v6, 0x80000000, v6
	v_lshl_add_u32 v9, v9, 23, v31
	v_or3_b32 v9, v6, v9, v7
.LBB6_2890:                             ;   in Loop: Header=BB6_2208 Depth=3
	s_or_b64 exec, exec, s[66:67]
.LBB6_2891:                             ;   in Loop: Header=BB6_2208 Depth=3
	s_or_b64 exec, exec, s[64:65]
.LBB6_2892:                             ;   in Loop: Header=BB6_2208 Depth=3
	s_or_b64 exec, exec, s[28:29]
	v_add_f32_e32 v29, v8, v9
	v_and_b32_sdwa v12, v29, s91 dst_sel:DWORD dst_unused:UNUSED_PAD src0_sel:BYTE_3 src1_sel:DWORD
	v_and_b32_e32 v6, 0x7f800000, v29
	v_mov_b32_e32 v7, v27
	v_and_b32_e32 v8, 0x7fffff, v29
	v_mov_b32_e32 v9, v27
	v_or_b32_e32 v43, 0x7e, v12
	v_cmp_ne_u64_e32 vcc, s[52:53], v[6:7]
	s_and_saveexec_b64 s[28:29], vcc
	s_xor_b64 s[64:65], exec, s[28:29]
	s_cbranch_execz .LBB6_2902
; %bb.2893:                             ;   in Loop: Header=BB6_2208 Depth=3
	v_and_b32_e32 v6, 0x7fffffff, v29
	v_mov_b32_e32 v7, v27
	v_cmp_gt_u64_e32 vcc, s[54:55], v[6:7]
	s_and_saveexec_b64 s[66:67], vcc
	s_cbranch_execz .LBB6_2901
; %bb.2894:                             ;   in Loop: Header=BB6_2208 Depth=3
	v_cmp_ne_u32_e32 vcc, 0, v29
	v_mov_b32_e32 v43, 0
	s_and_saveexec_b64 s[68:69], vcc
	s_cbranch_execz .LBB6_2900
; %bb.2895:                             ;   in Loop: Header=BB6_2208 Depth=3
	v_bfe_u32 v6, v29, 23, 8
	v_sub_u32_e32 v29, 0x79, v6
	v_cmp_gt_u32_e32 vcc, s93, v6
	v_add_u32_e32 v7, 0xffffff81, v6
	v_cndmask_b32_e32 v29, 0, v29, vcc
	v_cmp_eq_u32_e32 vcc, 0, v6
	v_mov_b32_e32 v0, 0xffffff82
	v_mov_b32_e32 v36, v33
	v_cndmask_b32_e32 v33, v7, v0, vcc
	v_mov_b32_e32 v0, 0x78
	v_cndmask_b32_e32 v29, v29, v0, vcc
	v_add_u32_e32 v6, 20, v29
	v_or_b32_e32 v32, 0x800000, v8
	v_lshlrev_b64 v[6:7], v6, -1
	v_cndmask_b32_e32 v8, v32, v8, vcc
	v_not_b32_e32 v6, v6
	v_and_b32_e32 v6, v8, v6
	v_add_u32_e32 v32, 19, v29
	v_lshrrev_b64 v[8:9], v29, v[8:9]
	v_not_b32_e32 v7, v7
	v_lshlrev_b64 v[42:43], v32, 1
	v_lshrrev_b32_e32 v32, 23, v8
	v_and_b32_e32 v7, 0, v7
	v_add3_u32 v51, v29, v33, v32
	v_bfe_u32 v29, v8, 20, 1
	v_add_u32_e32 v29, -1, v29
	v_cmp_eq_u64_e32 vcc, v[6:7], v[42:43]
	v_cndmask_b32_e32 v6, 0, v29, vcc
	v_add_u32_e32 v6, v6, v8
	v_and_b32_e32 v6, 0xfffff, v6
	v_add_co_u32_e32 v8, vcc, v6, v8
	v_add_u32_e32 v50, 6, v51
	v_addc_co_u32_e32 v9, vcc, 0, v9, vcc
	v_cmp_ne_u32_e32 vcc, 0, v50
                                        ; implicit-def: $vgpr29
	s_and_saveexec_b64 s[28:29], vcc
	s_xor_b64 s[28:29], exec, s[28:29]
; %bb.2896:                             ;   in Loop: Header=BB6_2208 Depth=3
	v_add_u32_e32 v6, 7, v51
	v_cmp_lt_u64_e32 vcc, s[56:57], v[8:9]
	v_cndmask_b32_e32 v29, v50, v6, vcc
	v_cndmask_b32_e64 v6, 0, 1, vcc
	v_lshrrev_b64 v[8:9], v6, v[8:9]
; %bb.2897:                             ;   in Loop: Header=BB6_2208 Depth=3
	s_andn2_saveexec_b64 s[28:29], s[28:29]
; %bb.2898:                             ;   in Loop: Header=BB6_2208 Depth=3
	v_bfe_u32 v29, v8, 23, 1
; %bb.2899:                             ;   in Loop: Header=BB6_2208 Depth=3
	s_or_b64 exec, exec, s[28:29]
	v_lshrrev_b64 v[6:7], 20, v[8:9]
	v_cmp_gt_i32_e32 vcc, 16, v29
	v_cndmask_b32_e32 v7, 0, v7, vcc
	v_cndmask_b32_e32 v6, 7, v6, vcc
	v_cmp_eq_u64_e64 s[28:29], 0, v[6:7]
	v_min_i32_e32 v7, 15, v29
	v_cmp_eq_u32_e32 vcc, 0, v29
	v_lshlrev_b32_e32 v7, 3, v7
	v_and_or_b32 v6, v6, 7, v7
	s_and_b64 s[28:29], vcc, s[28:29]
	v_cndmask_b32_e64 v6, v6, 0, s[28:29]
	v_or_b32_e32 v43, v6, v12
	v_mov_b32_e32 v33, v36
	v_mov_b32_e32 v42, v37
.LBB6_2900:                             ;   in Loop: Header=BB6_2208 Depth=3
	s_or_b64 exec, exec, s[68:69]
.LBB6_2901:                             ;   in Loop: Header=BB6_2208 Depth=3
	s_or_b64 exec, exec, s[66:67]
                                        ; implicit-def: $vgpr29
                                        ; implicit-def: $vgpr8_vgpr9
.LBB6_2902:                             ;   in Loop: Header=BB6_2208 Depth=3
	s_andn2_saveexec_b64 s[28:29], s[64:65]
; %bb.2903:                             ;   in Loop: Header=BB6_2208 Depth=3
	v_or_b32_sdwa v6, v29, s92 dst_sel:DWORD dst_unused:UNUSED_PAD src0_sel:BYTE_3 src1_sel:DWORD
	v_cmp_eq_u64_e32 vcc, 0, v[8:9]
	v_cndmask_b32_e32 v43, v6, v43, vcc
; %bb.2904:                             ;   in Loop: Header=BB6_2208 Depth=3
	s_or_b64 exec, exec, s[28:29]
	v_lshrrev_b16_e32 v8, 8, v26
	v_cmp_ne_u16_e32 vcc, 0, v8
	v_mov_b32_e32 v9, 0
	v_mov_b32_e32 v29, 0
	s_and_saveexec_b64 s[28:29], vcc
	s_cbranch_execz .LBB6_2910
; %bb.2905:                             ;   in Loop: Header=BB6_2208 Depth=3
	v_cmp_ne_u16_e32 vcc, s91, v8
	v_bfrev_b32_e32 v29, 1
	s_and_saveexec_b64 s[64:65], vcc
	s_cbranch_execz .LBB6_2909
; %bb.2906:                             ;   in Loop: Header=BB6_2208 Depth=3
	v_and_b32_e32 v12, 0x7f, v8
	v_cmp_ne_u32_e32 vcc, s92, v12
	v_mov_b32_e32 v29, 0x7f800001
	s_and_saveexec_b64 s[66:67], vcc
	s_cbranch_execz .LBB6_2908
; %bb.2907:                             ;   in Loop: Header=BB6_2208 Depth=3
	v_and_b32_e32 v29, 7, v8
	v_ffbh_u32_e32 v6, v29
	v_mov_b32_e32 v0, v33
	v_min_u32_e32 v33, 32, v6
	v_subrev_u32_e32 v6, 28, v33
	v_lshlrev_b64 v[6:7], v6, v[8:9]
	v_lshrrev_b32_e32 v32, 3, v12
	v_sub_u32_e32 v7, 29, v33
	v_and_b32_e32 v6, 7, v6
	v_cmp_gt_u32_e32 vcc, 8, v12
	v_cndmask_b32_e32 v7, v32, v7, vcc
	v_cndmask_b32_e32 v6, v29, v6, vcc
	v_lshlrev_b32_e32 v8, 16, v26
	v_lshlrev_b32_e32 v6, 20, v6
	v_and_b32_e32 v8, 0x80000000, v8
	v_lshl_add_u32 v7, v7, 23, v31
	v_mov_b32_e32 v33, v0
	v_or3_b32 v29, v8, v7, v6
.LBB6_2908:                             ;   in Loop: Header=BB6_2208 Depth=3
	s_or_b64 exec, exec, s[66:67]
.LBB6_2909:                             ;   in Loop: Header=BB6_2208 Depth=3
	s_or_b64 exec, exec, s[64:65]
.LBB6_2910:                             ;   in Loop: Header=BB6_2208 Depth=3
	s_or_b64 exec, exec, s[28:29]
	v_mov_b32_e32 v8, v11
	v_lshrrev_b16_e32 v12, 8, v8
	v_cmp_ne_u16_e32 vcc, 0, v12
	s_and_saveexec_b64 s[28:29], vcc
	s_cbranch_execz .LBB6_2916
; %bb.2911:                             ;   in Loop: Header=BB6_2208 Depth=3
	v_cmp_ne_u16_e32 vcc, s91, v12
	v_bfrev_b32_e32 v9, 1
	s_and_saveexec_b64 s[64:65], vcc
	s_cbranch_execz .LBB6_2915
; %bb.2912:                             ;   in Loop: Header=BB6_2208 Depth=3
	v_and_b32_e32 v26, 0x7f, v12
	v_cmp_ne_u32_e32 vcc, s92, v26
	v_mov_b32_e32 v9, 0x7f800001
	s_and_saveexec_b64 s[66:67], vcc
	s_cbranch_execz .LBB6_2914
; %bb.2913:                             ;   in Loop: Header=BB6_2208 Depth=3
	v_and_b32_e32 v9, 7, v12
	v_ffbh_u32_e32 v6, v9
	v_mov_b32_e32 v0, v33
	v_min_u32_e32 v33, 32, v6
	v_subrev_u32_e32 v6, 28, v33
	v_lshlrev_b64 v[6:7], v6, v[12:13]
	v_lshrrev_b32_e32 v32, 3, v26
	v_sub_u32_e32 v7, 29, v33
	v_and_b32_e32 v6, 7, v6
	v_cmp_gt_u32_e32 vcc, 8, v26
	v_cndmask_b32_e32 v7, v32, v7, vcc
	v_cndmask_b32_e32 v6, v9, v6, vcc
	v_lshlrev_b32_e32 v8, 16, v8
	v_lshlrev_b32_e32 v6, 20, v6
	v_and_b32_e32 v8, 0x80000000, v8
	v_lshl_add_u32 v7, v7, 23, v31
	v_mov_b32_e32 v33, v0
	v_or3_b32 v9, v8, v7, v6
.LBB6_2914:                             ;   in Loop: Header=BB6_2208 Depth=3
	s_or_b64 exec, exec, s[66:67]
.LBB6_2915:                             ;   in Loop: Header=BB6_2208 Depth=3
	s_or_b64 exec, exec, s[64:65]
.LBB6_2916:                             ;   in Loop: Header=BB6_2208 Depth=3
	s_or_b64 exec, exec, s[28:29]
	v_add_f32_e32 v8, v29, v9
	v_and_b32_sdwa v29, v8, s91 dst_sel:DWORD dst_unused:UNUSED_PAD src0_sel:BYTE_3 src1_sel:DWORD
	v_and_b32_e32 v6, 0x7f800000, v8
	v_mov_b32_e32 v7, v27
	v_and_b32_e32 v26, 0x7fffff, v8
	v_or_b32_e32 v12, 0x7e, v29
	v_cmp_ne_u64_e32 vcc, s[52:53], v[6:7]
	s_and_saveexec_b64 s[28:29], vcc
	s_xor_b64 s[64:65], exec, s[28:29]
	s_cbranch_execz .LBB6_2926
; %bb.2917:                             ;   in Loop: Header=BB6_2208 Depth=3
	v_and_b32_e32 v6, 0x7fffffff, v8
	v_mov_b32_e32 v7, v27
	v_cmp_gt_u64_e32 vcc, s[54:55], v[6:7]
	s_and_saveexec_b64 s[66:67], vcc
	s_cbranch_execz .LBB6_2925
; %bb.2918:                             ;   in Loop: Header=BB6_2208 Depth=3
	v_cmp_ne_u32_e32 vcc, 0, v8
	v_mov_b32_e32 v12, 0
	s_and_saveexec_b64 s[68:69], vcc
	s_cbranch_execz .LBB6_2924
; %bb.2919:                             ;   in Loop: Header=BB6_2208 Depth=3
	v_bfe_u32 v6, v8, 23, 8
	v_sub_u32_e32 v8, 0x79, v6
	v_cmp_gt_u32_e32 vcc, s93, v6
	v_add_u32_e32 v7, 0xffffff81, v6
	v_cndmask_b32_e32 v8, 0, v8, vcc
	v_cmp_eq_u32_e32 vcc, 0, v6
	v_mov_b32_e32 v0, 0xffffff82
	v_cndmask_b32_e32 v12, v7, v0, vcc
	v_mov_b32_e32 v0, 0x78
	v_cndmask_b32_e32 v32, v8, v0, vcc
	v_or_b32_e32 v9, 0x800000, v26
	v_add_u32_e32 v6, 20, v32
	v_cndmask_b32_e32 v26, v9, v26, vcc
	v_lshlrev_b64 v[6:7], v6, -1
	v_not_b32_e32 v6, v6
	v_lshrrev_b64 v[36:37], v32, v[26:27]
	v_not_b32_e32 v7, v7
	v_and_b32_e32 v6, v26, v6
	v_add_u32_e32 v8, 19, v32
	v_lshrrev_b32_e32 v26, 23, v36
	v_and_b32_e32 v7, 0, v7
	v_lshlrev_b64 v[8:9], v8, 1
	v_add3_u32 v50, v32, v12, v26
	v_bfe_u32 v12, v36, 20, 1
	v_add_u32_e32 v12, -1, v12
	v_cmp_eq_u64_e32 vcc, v[6:7], v[8:9]
	v_cndmask_b32_e32 v6, 0, v12, vcc
	v_add_u32_e32 v6, v6, v36
	v_and_b32_e32 v6, 0xfffff, v6
	v_add_co_u32_e32 v8, vcc, v6, v36
	v_add_u32_e32 v26, 6, v50
	v_addc_co_u32_e32 v9, vcc, 0, v37, vcc
	v_cmp_ne_u32_e32 vcc, 0, v26
                                        ; implicit-def: $vgpr12
	s_and_saveexec_b64 s[28:29], vcc
	s_xor_b64 s[28:29], exec, s[28:29]
; %bb.2920:                             ;   in Loop: Header=BB6_2208 Depth=3
	v_add_u32_e32 v6, 7, v50
	v_cmp_lt_u64_e32 vcc, s[56:57], v[8:9]
	v_cndmask_b32_e32 v12, v26, v6, vcc
	v_cndmask_b32_e64 v6, 0, 1, vcc
	v_lshrrev_b64 v[8:9], v6, v[8:9]
; %bb.2921:                             ;   in Loop: Header=BB6_2208 Depth=3
	s_andn2_saveexec_b64 s[28:29], s[28:29]
; %bb.2922:                             ;   in Loop: Header=BB6_2208 Depth=3
	v_bfe_u32 v12, v8, 23, 1
; %bb.2923:                             ;   in Loop: Header=BB6_2208 Depth=3
	s_or_b64 exec, exec, s[28:29]
	v_lshrrev_b64 v[6:7], 20, v[8:9]
	v_cmp_gt_i32_e32 vcc, 16, v12
	v_cndmask_b32_e32 v7, 0, v7, vcc
	v_cndmask_b32_e32 v6, 7, v6, vcc
	v_cmp_eq_u64_e64 s[28:29], 0, v[6:7]
	v_min_i32_e32 v7, 15, v12
	v_cmp_eq_u32_e32 vcc, 0, v12
	v_lshlrev_b32_e32 v7, 3, v7
	v_and_or_b32 v6, v6, 7, v7
	s_and_b64 s[28:29], vcc, s[28:29]
	v_cndmask_b32_e64 v6, v6, 0, s[28:29]
	v_or_b32_e32 v12, v6, v29
.LBB6_2924:                             ;   in Loop: Header=BB6_2208 Depth=3
	s_or_b64 exec, exec, s[68:69]
.LBB6_2925:                             ;   in Loop: Header=BB6_2208 Depth=3
	s_or_b64 exec, exec, s[66:67]
                                        ; implicit-def: $vgpr8
.LBB6_2926:                             ;   in Loop: Header=BB6_2208 Depth=3
	s_andn2_saveexec_b64 s[28:29], s[64:65]
; %bb.2927:                             ;   in Loop: Header=BB6_2208 Depth=3
	v_or_b32_sdwa v6, v8, s92 dst_sel:DWORD dst_unused:UNUSED_PAD src0_sel:BYTE_3 src1_sel:DWORD
	v_cmp_eq_u64_e32 vcc, 0, v[26:27]
	v_cndmask_b32_e32 v12, v6, v12, vcc
; %bb.2928:                             ;   in Loop: Header=BB6_2208 Depth=3
	s_or_b64 exec, exec, s[28:29]
	v_lshrrev_b32_e32 v8, 16, v15
	v_cmp_ne_u16_sdwa vcc, v8, v27 src0_sel:BYTE_0 src1_sel:DWORD
	v_mov_b32_e32 v9, 0
	v_mov_b32_e32 v26, 0
	s_and_saveexec_b64 s[28:29], vcc
	s_cbranch_execz .LBB6_2934
; %bb.2929:                             ;   in Loop: Header=BB6_2208 Depth=3
	v_cmp_ne_u16_sdwa vcc, v8, s91 src0_sel:BYTE_0 src1_sel:DWORD
	v_bfrev_b32_e32 v26, 1
	s_and_saveexec_b64 s[64:65], vcc
	s_cbranch_execz .LBB6_2933
; %bb.2930:                             ;   in Loop: Header=BB6_2208 Depth=3
	v_bfe_u32 v29, v15, 16, 7
	v_cmp_ne_u32_e32 vcc, s92, v29
	v_mov_b32_e32 v26, 0x7f800001
	s_and_saveexec_b64 s[66:67], vcc
	s_cbranch_execz .LBB6_2932
; %bb.2931:                             ;   in Loop: Header=BB6_2208 Depth=3
	v_and_b32_e32 v26, 7, v8
	v_ffbh_u32_e32 v6, v26
	v_mov_b32_e32 v0, v33
	v_min_u32_e32 v33, 32, v6
	v_subrev_u32_e32 v6, 28, v33
	v_lshlrev_b64 v[6:7], v6, v[8:9]
	v_lshrrev_b32_e32 v32, 3, v29
	v_sub_u32_e32 v7, 29, v33
	v_and_b32_e32 v6, 7, v6
	v_cmp_gt_u32_e32 vcc, 8, v29
	v_cndmask_b32_e32 v7, v32, v7, vcc
	v_cndmask_b32_e32 v6, v26, v6, vcc
	v_lshlrev_b32_e32 v8, 24, v8
	v_lshlrev_b32_e32 v6, 20, v6
	v_and_b32_e32 v8, 0x80000000, v8
	v_lshl_add_u32 v7, v7, 23, v31
	v_mov_b32_e32 v33, v0
	v_or3_b32 v26, v8, v7, v6
.LBB6_2932:                             ;   in Loop: Header=BB6_2208 Depth=3
	s_or_b64 exec, exec, s[66:67]
.LBB6_2933:                             ;   in Loop: Header=BB6_2208 Depth=3
	s_or_b64 exec, exec, s[64:65]
.LBB6_2934:                             ;   in Loop: Header=BB6_2208 Depth=3
	s_or_b64 exec, exec, s[28:29]
	v_lshrrev_b32_e32 v8, 16, v11
	v_cmp_ne_u16_sdwa vcc, v8, v27 src0_sel:BYTE_0 src1_sel:DWORD
	s_and_saveexec_b64 s[28:29], vcc
	s_cbranch_execz .LBB6_2940
; %bb.2935:                             ;   in Loop: Header=BB6_2208 Depth=3
	v_cmp_ne_u16_sdwa vcc, v8, s91 src0_sel:BYTE_0 src1_sel:DWORD
	v_bfrev_b32_e32 v9, 1
	s_and_saveexec_b64 s[64:65], vcc
	s_cbranch_execz .LBB6_2939
; %bb.2936:                             ;   in Loop: Header=BB6_2208 Depth=3
	v_bfe_u32 v29, v11, 16, 7
	v_cmp_ne_u32_e32 vcc, s92, v29
	v_mov_b32_e32 v9, 0x7f800001
	s_and_saveexec_b64 s[66:67], vcc
	s_cbranch_execz .LBB6_2938
; %bb.2937:                             ;   in Loop: Header=BB6_2208 Depth=3
	v_and_b32_e32 v9, 7, v8
	v_ffbh_u32_e32 v6, v9
	v_mov_b32_e32 v0, v33
	v_min_u32_e32 v33, 32, v6
	v_subrev_u32_e32 v6, 28, v33
	v_lshlrev_b64 v[6:7], v6, v[8:9]
	v_lshrrev_b32_e32 v32, 3, v29
	v_sub_u32_e32 v7, 29, v33
	v_and_b32_e32 v6, 7, v6
	v_cmp_gt_u32_e32 vcc, 8, v29
	v_cndmask_b32_e32 v7, v32, v7, vcc
	v_cndmask_b32_e32 v6, v9, v6, vcc
	v_lshlrev_b32_e32 v8, 8, v11
	v_lshlrev_b32_e32 v6, 20, v6
	v_and_b32_e32 v8, 0x80000000, v8
	v_lshl_add_u32 v7, v7, 23, v31
	v_mov_b32_e32 v33, v0
	v_or3_b32 v9, v8, v7, v6
.LBB6_2938:                             ;   in Loop: Header=BB6_2208 Depth=3
	s_or_b64 exec, exec, s[66:67]
.LBB6_2939:                             ;   in Loop: Header=BB6_2208 Depth=3
	s_or_b64 exec, exec, s[64:65]
.LBB6_2940:                             ;   in Loop: Header=BB6_2208 Depth=3
	s_or_b64 exec, exec, s[28:29]
	v_add_f32_e32 v8, v26, v9
	v_and_b32_sdwa v50, v8, s91 dst_sel:DWORD dst_unused:UNUSED_PAD src0_sel:BYTE_3 src1_sel:DWORD
	v_and_b32_e32 v6, 0x7f800000, v8
	v_mov_b32_e32 v7, v27
	v_and_b32_e32 v26, 0x7fffff, v8
	v_or_b32_e32 v29, 0x7e, v50
	v_cmp_ne_u64_e32 vcc, s[52:53], v[6:7]
	s_and_saveexec_b64 s[28:29], vcc
	s_xor_b64 s[64:65], exec, s[28:29]
	s_cbranch_execz .LBB6_2950
; %bb.2941:                             ;   in Loop: Header=BB6_2208 Depth=3
	v_and_b32_e32 v6, 0x7fffffff, v8
	v_mov_b32_e32 v7, v27
	v_cmp_gt_u64_e32 vcc, s[54:55], v[6:7]
	s_and_saveexec_b64 s[66:67], vcc
	s_cbranch_execz .LBB6_2949
; %bb.2942:                             ;   in Loop: Header=BB6_2208 Depth=3
	v_cmp_ne_u32_e32 vcc, 0, v8
	v_mov_b32_e32 v29, 0
	s_and_saveexec_b64 s[68:69], vcc
	s_cbranch_execz .LBB6_2948
; %bb.2943:                             ;   in Loop: Header=BB6_2208 Depth=3
	v_bfe_u32 v6, v8, 23, 8
	v_sub_u32_e32 v8, 0x79, v6
	v_cmp_gt_u32_e32 vcc, s93, v6
	v_add_u32_e32 v7, 0xffffff81, v6
	v_cndmask_b32_e32 v8, 0, v8, vcc
	v_cmp_eq_u32_e32 vcc, 0, v6
	v_mov_b32_e32 v0, 0xffffff82
	v_cndmask_b32_e32 v29, v7, v0, vcc
	v_mov_b32_e32 v0, 0x78
	v_cndmask_b32_e32 v32, v8, v0, vcc
	v_or_b32_e32 v9, 0x800000, v26
	v_add_u32_e32 v6, 20, v32
	v_cndmask_b32_e32 v26, v9, v26, vcc
	v_lshlrev_b64 v[6:7], v6, -1
	v_not_b32_e32 v6, v6
	v_lshrrev_b64 v[36:37], v32, v[26:27]
	v_not_b32_e32 v7, v7
	v_and_b32_e32 v6, v26, v6
	v_add_u32_e32 v8, 19, v32
	v_lshrrev_b32_e32 v26, 23, v36
	v_and_b32_e32 v7, 0, v7
	v_lshlrev_b64 v[8:9], v8, 1
	v_add3_u32 v51, v32, v29, v26
	v_bfe_u32 v26, v36, 20, 1
	v_add_u32_e32 v26, -1, v26
	v_cmp_eq_u64_e32 vcc, v[6:7], v[8:9]
	v_cndmask_b32_e32 v6, 0, v26, vcc
	v_add_u32_e32 v6, v6, v36
	v_and_b32_e32 v6, 0xfffff, v6
	v_add_co_u32_e32 v8, vcc, v6, v36
	v_add_u32_e32 v29, 6, v51
	v_addc_co_u32_e32 v9, vcc, 0, v37, vcc
	v_cmp_ne_u32_e32 vcc, 0, v29
                                        ; implicit-def: $vgpr26
	s_and_saveexec_b64 s[28:29], vcc
	s_xor_b64 s[28:29], exec, s[28:29]
; %bb.2944:                             ;   in Loop: Header=BB6_2208 Depth=3
	v_add_u32_e32 v6, 7, v51
	v_cmp_lt_u64_e32 vcc, s[56:57], v[8:9]
	v_cndmask_b32_e32 v26, v29, v6, vcc
	v_cndmask_b32_e64 v6, 0, 1, vcc
	v_lshrrev_b64 v[8:9], v6, v[8:9]
; %bb.2945:                             ;   in Loop: Header=BB6_2208 Depth=3
	s_andn2_saveexec_b64 s[28:29], s[28:29]
; %bb.2946:                             ;   in Loop: Header=BB6_2208 Depth=3
	v_bfe_u32 v26, v8, 23, 1
; %bb.2947:                             ;   in Loop: Header=BB6_2208 Depth=3
	s_or_b64 exec, exec, s[28:29]
	v_lshrrev_b64 v[6:7], 20, v[8:9]
	v_cmp_gt_i32_e32 vcc, 16, v26
	v_cndmask_b32_e32 v7, 0, v7, vcc
	v_cndmask_b32_e32 v6, 7, v6, vcc
	v_cmp_eq_u64_e64 s[28:29], 0, v[6:7]
	v_min_i32_e32 v7, 15, v26
	v_lshlrev_b32_e32 v7, 3, v7
	v_cmp_eq_u32_e32 vcc, 0, v26
	v_and_b32_e32 v7, 0xf8, v7
	v_and_or_b32 v6, v6, 7, v7
	s_and_b64 s[28:29], vcc, s[28:29]
	v_cndmask_b32_e64 v6, v6, 0, s[28:29]
	v_or_b32_e32 v29, v6, v50
.LBB6_2948:                             ;   in Loop: Header=BB6_2208 Depth=3
	s_or_b64 exec, exec, s[68:69]
.LBB6_2949:                             ;   in Loop: Header=BB6_2208 Depth=3
	s_or_b64 exec, exec, s[66:67]
                                        ; implicit-def: $vgpr8
.LBB6_2950:                             ;   in Loop: Header=BB6_2208 Depth=3
	s_andn2_saveexec_b64 s[28:29], s[64:65]
; %bb.2951:                             ;   in Loop: Header=BB6_2208 Depth=3
	v_or_b32_sdwa v6, v8, s92 dst_sel:DWORD dst_unused:UNUSED_PAD src0_sel:BYTE_3 src1_sel:DWORD
	v_cmp_eq_u64_e32 vcc, 0, v[26:27]
	v_cndmask_b32_e32 v29, v6, v29, vcc
; %bb.2952:                             ;   in Loop: Header=BB6_2208 Depth=3
	s_or_b64 exec, exec, s[28:29]
	v_cmp_lt_u64_e32 vcc, s[42:43], v[14:15]
	v_mov_b32_e32 v9, 0
	v_mov_b32_e32 v14, 0
	s_and_saveexec_b64 s[28:29], vcc
	s_cbranch_execz .LBB6_2958
; %bb.2953:                             ;   in Loop: Header=BB6_2208 Depth=3
	v_lshrrev_b32_e32 v8, 24, v15
	v_cmp_ne_u32_e32 vcc, s91, v8
	v_bfrev_b32_e32 v14, 1
	s_and_saveexec_b64 s[64:65], vcc
	s_cbranch_execz .LBB6_2957
; %bb.2954:                             ;   in Loop: Header=BB6_2208 Depth=3
	v_bfe_u32 v15, v15, 24, 7
	v_cmp_ne_u32_e32 vcc, s92, v15
	v_mov_b32_e32 v14, 0x7f800001
	s_and_saveexec_b64 s[66:67], vcc
	s_cbranch_execz .LBB6_2956
; %bb.2955:                             ;   in Loop: Header=BB6_2208 Depth=3
	v_and_b32_e32 v14, 7, v8
	v_ffbh_u32_e32 v6, v14
	v_min_u32_e32 v32, 32, v6
	v_subrev_u32_e32 v6, 28, v32
	v_lshlrev_b64 v[6:7], v6, v[8:9]
	v_lshrrev_b32_e32 v26, 3, v15
	v_sub_u32_e32 v7, 29, v32
	v_and_b32_e32 v6, 7, v6
	v_cmp_gt_u32_e32 vcc, 8, v15
	v_cndmask_b32_e32 v7, v26, v7, vcc
	v_cndmask_b32_e32 v6, v14, v6, vcc
	v_lshlrev_b32_e32 v8, 24, v8
	v_lshlrev_b32_e32 v6, 20, v6
	v_and_b32_e32 v8, 0x80000000, v8
	v_lshl_add_u32 v7, v7, 23, v31
	v_or3_b32 v14, v8, v7, v6
.LBB6_2956:                             ;   in Loop: Header=BB6_2208 Depth=3
	s_or_b64 exec, exec, s[66:67]
.LBB6_2957:                             ;   in Loop: Header=BB6_2208 Depth=3
	s_or_b64 exec, exec, s[64:65]
.LBB6_2958:                             ;   in Loop: Header=BB6_2208 Depth=3
	s_or_b64 exec, exec, s[28:29]
	v_cmp_lt_u64_e32 vcc, s[42:43], v[10:11]
	s_and_saveexec_b64 s[28:29], vcc
	s_cbranch_execz .LBB6_2964
; %bb.2959:                             ;   in Loop: Header=BB6_2208 Depth=3
	v_lshrrev_b32_e32 v8, 24, v11
	v_cmp_ne_u32_e32 vcc, s91, v8
	v_bfrev_b32_e32 v9, 1
	s_and_saveexec_b64 s[64:65], vcc
	s_cbranch_execz .LBB6_2963
; %bb.2960:                             ;   in Loop: Header=BB6_2208 Depth=3
	v_bfe_u32 v10, v11, 24, 7
	v_cmp_ne_u32_e32 vcc, s92, v10
	v_mov_b32_e32 v9, 0x7f800001
	s_and_saveexec_b64 s[66:67], vcc
	s_cbranch_execz .LBB6_2962
; %bb.2961:                             ;   in Loop: Header=BB6_2208 Depth=3
	v_and_b32_e32 v9, 7, v8
	v_ffbh_u32_e32 v6, v9
	v_min_u32_e32 v15, 32, v6
	v_subrev_u32_e32 v6, 28, v15
	v_lshlrev_b64 v[6:7], v6, v[8:9]
	v_lshrrev_b32_e32 v11, 3, v10
	v_sub_u32_e32 v7, 29, v15
	v_and_b32_e32 v6, 7, v6
	v_cmp_gt_u32_e32 vcc, 8, v10
	v_cndmask_b32_e32 v7, v11, v7, vcc
	v_cndmask_b32_e32 v6, v9, v6, vcc
	v_lshlrev_b32_e32 v8, 24, v8
	v_lshlrev_b32_e32 v6, 20, v6
	v_and_b32_e32 v8, 0x80000000, v8
	v_lshl_add_u32 v7, v7, 23, v31
	v_or3_b32 v9, v8, v7, v6
.LBB6_2962:                             ;   in Loop: Header=BB6_2208 Depth=3
	s_or_b64 exec, exec, s[66:67]
.LBB6_2963:                             ;   in Loop: Header=BB6_2208 Depth=3
	s_or_b64 exec, exec, s[64:65]
.LBB6_2964:                             ;   in Loop: Header=BB6_2208 Depth=3
	s_or_b64 exec, exec, s[28:29]
	v_add_f32_e32 v9, v14, v9
	v_and_b32_sdwa v10, v9, s91 dst_sel:DWORD dst_unused:UNUSED_PAD src0_sel:BYTE_3 src1_sel:DWORD
	v_and_b32_e32 v6, 0x7f800000, v9
	v_mov_b32_e32 v7, v27
	v_and_b32_e32 v26, 0x7fffff, v9
	v_or_b32_e32 v8, 0x7e, v10
	v_cmp_ne_u64_e32 vcc, s[52:53], v[6:7]
	s_and_saveexec_b64 s[28:29], vcc
	s_xor_b64 s[64:65], exec, s[28:29]
	s_cbranch_execz .LBB6_2974
; %bb.2965:                             ;   in Loop: Header=BB6_2208 Depth=3
	v_and_b32_e32 v6, 0x7fffffff, v9
	v_mov_b32_e32 v7, v27
	v_cmp_gt_u64_e32 vcc, s[54:55], v[6:7]
	s_and_saveexec_b64 s[66:67], vcc
	s_cbranch_execz .LBB6_2973
; %bb.2966:                             ;   in Loop: Header=BB6_2208 Depth=3
	v_cmp_ne_u32_e32 vcc, 0, v9
	v_mov_b32_e32 v8, 0
	s_and_saveexec_b64 s[68:69], vcc
	s_cbranch_execz .LBB6_2972
; %bb.2967:                             ;   in Loop: Header=BB6_2208 Depth=3
	v_bfe_u32 v6, v9, 23, 8
	v_sub_u32_e32 v8, 0x79, v6
	v_cmp_gt_u32_e32 vcc, s93, v6
	v_add_u32_e32 v7, 0xffffff81, v6
	v_cndmask_b32_e32 v8, 0, v8, vcc
	v_cmp_eq_u32_e32 vcc, 0, v6
	v_mov_b32_e32 v0, 0xffffff82
	v_cndmask_b32_e32 v11, v7, v0, vcc
	v_mov_b32_e32 v0, 0x78
	v_or_b32_e32 v9, 0x800000, v26
	v_cndmask_b32_e32 v14, v8, v0, vcc
	v_cndmask_b32_e32 v26, v9, v26, vcc
	v_add_u32_e32 v6, 20, v14
	v_lshlrev_b64 v[6:7], v6, -1
	v_lshrrev_b64 v[36:37], v14, v[26:27]
	v_not_b32_e32 v7, v7
	v_not_b32_e32 v6, v6
	v_add_u32_e32 v8, 19, v14
	v_lshrrev_b32_e32 v15, 23, v36
	v_and_b32_e32 v7, 0, v7
	v_and_b32_e32 v6, v26, v6
	v_lshlrev_b64 v[8:9], v8, 1
	v_add3_u32 v15, v14, v11, v15
	v_bfe_u32 v11, v36, 20, 1
	v_add_u32_e32 v11, -1, v11
	v_cmp_eq_u64_e32 vcc, v[6:7], v[8:9]
	v_cndmask_b32_e32 v6, 0, v11, vcc
	v_add_u32_e32 v6, v6, v36
	v_and_b32_e32 v6, 0xfffff, v6
	v_add_co_u32_e32 v8, vcc, v6, v36
	v_add_u32_e32 v14, 6, v15
	v_addc_co_u32_e32 v9, vcc, 0, v37, vcc
	v_cmp_ne_u32_e32 vcc, 0, v14
                                        ; implicit-def: $vgpr11
	s_and_saveexec_b64 s[28:29], vcc
	s_xor_b64 s[28:29], exec, s[28:29]
; %bb.2968:                             ;   in Loop: Header=BB6_2208 Depth=3
	v_add_u32_e32 v6, 7, v15
	v_cmp_lt_u64_e32 vcc, s[56:57], v[8:9]
	v_cndmask_b32_e32 v11, v14, v6, vcc
	v_cndmask_b32_e64 v6, 0, 1, vcc
	v_lshrrev_b64 v[8:9], v6, v[8:9]
; %bb.2969:                             ;   in Loop: Header=BB6_2208 Depth=3
	s_andn2_saveexec_b64 s[28:29], s[28:29]
; %bb.2970:                             ;   in Loop: Header=BB6_2208 Depth=3
	v_bfe_u32 v11, v8, 23, 1
; %bb.2971:                             ;   in Loop: Header=BB6_2208 Depth=3
	s_or_b64 exec, exec, s[28:29]
	v_lshrrev_b64 v[6:7], 20, v[8:9]
	v_cmp_gt_i32_e32 vcc, 16, v11
	v_cndmask_b32_e32 v7, 0, v7, vcc
	v_cndmask_b32_e32 v6, 7, v6, vcc
	v_cmp_eq_u64_e64 s[28:29], 0, v[6:7]
	v_min_i32_e32 v7, 15, v11
	v_lshlrev_b32_e32 v7, 3, v7
	v_cmp_eq_u32_e32 vcc, 0, v11
	v_and_b32_e32 v7, 0xf8, v7
	v_and_or_b32 v6, v6, 7, v7
	s_and_b64 s[28:29], vcc, s[28:29]
	v_cndmask_b32_e64 v6, v6, 0, s[28:29]
	v_or_b32_e32 v8, v6, v10
.LBB6_2972:                             ;   in Loop: Header=BB6_2208 Depth=3
	s_or_b64 exec, exec, s[68:69]
.LBB6_2973:                             ;   in Loop: Header=BB6_2208 Depth=3
	s_or_b64 exec, exec, s[66:67]
                                        ; implicit-def: $vgpr9
.LBB6_2974:                             ;   in Loop: Header=BB6_2208 Depth=3
	s_andn2_saveexec_b64 s[28:29], s[64:65]
	s_cbranch_execz .LBB6_2207
; %bb.2975:                             ;   in Loop: Header=BB6_2208 Depth=3
	v_or_b32_sdwa v6, v9, s92 dst_sel:DWORD dst_unused:UNUSED_PAD src0_sel:BYTE_3 src1_sel:DWORD
	v_cmp_eq_u64_e32 vcc, 0, v[26:27]
	v_cndmask_b32_e32 v8, v6, v8, vcc
	s_branch .LBB6_2207
.LBB6_2976:                             ;   in Loop: Header=BB6_2119 Depth=2
	s_or_b64 exec, exec, s[66:67]
	s_and_saveexec_b64 vcc, s[68:69]
	s_xor_b64 vcc, exec, vcc
	s_cbranch_execz .LBB6_2978
; %bb.2977:                             ;   in Loop: Header=BB6_2119 Depth=2
	v_mov_b32_e32 v0, 1
	ds_write_b32 v0, v0
	s_trap 2
.LBB6_2978:                             ;   in Loop: Header=BB6_2119 Depth=2
	s_or_b64 exec, exec, s[64:65]
	;;#ASMSTART
	s_wakeup
	;;#ASMEND
.LBB6_2979:                             ;   in Loop: Header=BB6_2119 Depth=2
	s_or_b64 exec, exec, s[34:35]
.LBB6_2980:                             ;   in Loop: Header=BB6_2119 Depth=2
	s_andn2_saveexec_b64 vcc, s[30:31]
	s_cbranch_execz .LBB6_2982
; %bb.2981:                             ;   in Loop: Header=BB6_2119 Depth=2
	s_waitcnt vmcnt(0) lgkmcnt(0)
	buffer_wbinvl1_vol
	s_barrier
.LBB6_2982:                             ;   in Loop: Header=BB6_2119 Depth=2
	s_or_b64 exec, exec, vcc
.LBB6_2983:                             ;   in Loop: Header=BB6_2119 Depth=2
	s_or_b64 exec, exec, s[28:29]
                                        ; implicit-def: $vgpr1
	s_and_saveexec_b64 s[28:29], s[24:25]
	s_xor_b64 s[30:31], exec, s[28:29]
	s_cbranch_execz .LBB6_2987
; %bb.2984:                             ;   in Loop: Header=BB6_2119 Depth=2
	v_and_b32_e32 v2, 16, v60
	v_cmp_lt_i32_e32 vcc, 0, v34
	v_cmp_ne_u32_e64 s[28:29], 0, v2
	v_and_b32_e32 v1, 16, v60
	s_and_b64 vcc, s[28:29], vcc
	s_and_saveexec_b64 s[28:29], vcc
	s_cbranch_execz .LBB6_2986
; %bb.2985:                             ;   in Loop: Header=BB6_2119 Depth=2
	v_mov_b32_e32 v1, 1
	s_waitcnt vmcnt(0) lgkmcnt(0)
	buffer_wbinvl1_vol
.LBB6_2986:                             ;   in Loop: Header=BB6_2119 Depth=2
	s_or_b64 exec, exec, s[28:29]
	s_andn2_saveexec_b64 s[28:29], s[30:31]
	s_cbranch_execz .LBB6_3006
	s_branch .LBB6_2988
.LBB6_2987:                             ;   in Loop: Header=BB6_2119 Depth=2
	s_andn2_saveexec_b64 s[28:29], s[30:31]
	s_cbranch_execz .LBB6_3006
.LBB6_2988:                             ;   in Loop: Header=BB6_2119 Depth=2
	s_and_saveexec_b64 vcc, s[44:45]
	s_xor_b64 s[30:31], exec, vcc
	s_cbranch_execz .LBB6_3003
; %bb.2989:                             ;   in Loop: Header=BB6_2119 Depth=2
	s_and_saveexec_b64 s[34:35], s[16:17]
	s_cbranch_execz .LBB6_3002
; %bb.2990:                             ;   in Loop: Header=BB6_2119 Depth=2
	s_mov_b64 s[66:67], exec
	v_mbcnt_lo_u32_b32 v1, s66, 0
	v_mbcnt_hi_u32_b32 v1, s67, v1
	v_cmp_eq_u32_e32 vcc, 0, v1
	;;#ASMSTART
	s_waitcnt lgkmcnt(0) vmcnt(0)
	;;#ASMEND
	s_and_saveexec_b64 s[64:65], vcc
	s_cbranch_execz .LBB6_2992
; %bb.2991:                             ;   in Loop: Header=BB6_2119 Depth=2
	s_bcnt1_i32_b64 vcc_lo, s[66:67]
	v_mov_b32_e32 v26, vcc_lo
	ds_add_u64 v0, v[26:27]
	s_trap 2
.LBB6_2992:                             ;   in Loop: Header=BB6_2119 Depth=2
	s_or_b64 exec, exec, s[64:65]
	s_trap 2
	ds_read_b64 v[2:3], v0
	v_accvgpr_read_b32 v4, a16
	v_accvgpr_read_b32 v0, a26
	;; [unrolled: 1-line block ×3, first 2 shown]
	v_add_co_u32_e32 v4, vcc, v4, v0
	v_addc_co_u32_e32 v5, vcc, 0, v5, vcc
	v_accvgpr_write_b32 a17, v5
	v_accvgpr_write_b32 a16, v4
	s_waitcnt lgkmcnt(0)
	v_cmp_lt_u64_e32 vcc, v[2:3], v[4:5]
	s_and_saveexec_b64 s[64:65], vcc
	s_cbranch_execz .LBB6_3001
; %bb.2993:                             ;   in Loop: Header=BB6_2119 Depth=2
	s_mov_b32 s83, 0
	s_mov_b64 s[66:67], 0
                                        ; implicit-def: $sgpr68_sgpr69
                                        ; implicit-def: $sgpr70_sgpr71
	s_branch .LBB6_2995
.LBB6_2994:                             ;   in Loop: Header=BB6_2995 Depth=3
	s_or_b64 exec, exec, s[74:75]
	s_and_b64 vcc, exec, vcc
	s_or_b64 s[66:67], vcc, s[66:67]
	s_andn2_b64 vcc, s[68:69], exec
	s_and_b64 s[68:69], s[70:71], exec
	s_or_b64 s[68:69], vcc, s[68:69]
	s_andn2_b64 exec, exec, s[66:67]
	s_cbranch_execz .LBB6_2999
.LBB6_2995:                             ;   Parent Loop BB6_47 Depth=1
                                        ;     Parent Loop BB6_2119 Depth=2
                                        ; =>    This Inner Loop Header: Depth=3
	s_add_i32 s83, s83, 1
	s_cmpk_lg_i32 s83, 0x2710
	s_cselect_b64 s[72:73], -1, 0
	s_and_b64 vcc, exec, s[72:73]
                                        ; implicit-def: $sgpr74_sgpr75
	s_cbranch_vccnz .LBB6_2997
; %bb.2996:                             ;   in Loop: Header=BB6_2995 Depth=3
	s_trap 2
	ds_read_b64 v[2:3], v0
	s_andn2_b64 s[72:73], s[72:73], exec
	s_mov_b32 s83, 0
	s_mov_b64 s[74:75], -1
	s_waitcnt vmcnt(0) lgkmcnt(0)
	flat_load_dword v1, v[2:3] glc
	s_waitcnt vmcnt(0) lgkmcnt(0)
	buffer_invl2
	buffer_wbinvl1_vol
	v_cmp_eq_u32_e32 vcc, 0, v1
	s_and_b64 vcc, vcc, exec
	s_or_b64 s[72:73], s[72:73], vcc
.LBB6_2997:                             ;   in Loop: Header=BB6_2995 Depth=3
	s_andn2_b64 s[70:71], s[70:71], exec
	s_and_b64 s[74:75], s[74:75], exec
	s_mov_b64 vcc, -1
	s_or_b64 s[70:71], s[70:71], s[74:75]
	s_and_saveexec_b64 s[74:75], s[72:73]
	s_cbranch_execz .LBB6_2994
; %bb.2998:                             ;   in Loop: Header=BB6_2995 Depth=3
	s_sleep 1
	s_trap 2
	ds_read_b64 v[2:3], v0
	v_accvgpr_read_b32 v4, a16
	v_accvgpr_read_b32 v5, a17
	s_andn2_b64 s[70:71], s[70:71], exec
	s_waitcnt lgkmcnt(0)
	v_cmp_ge_u64_e32 vcc, v[2:3], v[4:5]
	s_orn2_b64 vcc, vcc, exec
	s_branch .LBB6_2994
.LBB6_2999:                             ;   in Loop: Header=BB6_2119 Depth=2
	s_or_b64 exec, exec, s[66:67]
	s_and_saveexec_b64 vcc, s[68:69]
	s_xor_b64 vcc, exec, vcc
	s_cbranch_execz .LBB6_3001
; %bb.3000:                             ;   in Loop: Header=BB6_2119 Depth=2
	v_mov_b32_e32 v0, 1
	ds_write_b32 v0, v0
	s_trap 2
.LBB6_3001:                             ;   in Loop: Header=BB6_2119 Depth=2
	s_or_b64 exec, exec, s[64:65]
	;;#ASMSTART
	s_wakeup
	;;#ASMEND
.LBB6_3002:                             ;   in Loop: Header=BB6_2119 Depth=2
	s_or_b64 exec, exec, s[34:35]
.LBB6_3003:                             ;   in Loop: Header=BB6_2119 Depth=2
	s_andn2_saveexec_b64 vcc, s[30:31]
	s_cbranch_execz .LBB6_3005
; %bb.3004:                             ;   in Loop: Header=BB6_2119 Depth=2
	;;#ASMSTART
	s_waitcnt lgkmcnt(0) vmcnt(0)
	;;#ASMEND
	s_barrier
.LBB6_3005:                             ;   in Loop: Header=BB6_2119 Depth=2
	s_or_b64 exec, exec, vcc
	v_and_b32_e32 v1, 16, v60
.LBB6_3006:                             ;   in Loop: Header=BB6_2119 Depth=2
	s_or_b64 exec, exec, s[28:29]
	v_cmp_ne_u32_e32 vcc, 0, v1
	s_xor_b64 s[28:29], s[12:13], -1
	s_and_b64 vcc, vcc, s[28:29]
	s_and_saveexec_b64 s[28:29], vcc
	s_cbranch_execz .LBB6_3008
; %bb.3007:                             ;   in Loop: Header=BB6_2119 Depth=2
	v_accvgpr_read_b32 v2, a24
	v_accvgpr_read_b32 v3, a25
	v_mov_b32_e32 v0, 1
	flat_store_dword v[2:3], v0
.LBB6_3008:                             ;   in Loop: Header=BB6_2119 Depth=2
	s_or_b64 exec, exec, s[28:29]
	v_and_b32_e32 v1, 48, v60
	v_cmp_ne_u32_e32 vcc, 0, v1
	s_and_saveexec_b64 s[28:29], vcc
	s_cbranch_execz .LBB6_2118
; %bb.3009:                             ;   in Loop: Header=BB6_2119 Depth=2
	v_accvgpr_read_b32 v2, a12
	v_accvgpr_read_b32 v3, a13
	v_add_co_u32_e32 v2, vcc, 2, v2
	v_addc_co_u32_e32 v3, vcc, 0, v3, vcc
	v_accvgpr_write_b32 a13, v3
	v_accvgpr_read_b32 v4, a18
	v_accvgpr_write_b32 a12, v2
	v_accvgpr_read_b32 v5, a19
	flat_store_dwordx2 v[4:5], v[2:3]
	s_branch .LBB6_2118
.LBB6_3010:                             ;   in Loop: Header=BB6_2119 Depth=2
	s_or_b64 exec, exec, s[34:35]
	v_accvgpr_read_b32 v57, a3
	v_accvgpr_read_b32 v55, a43
	;; [unrolled: 1-line block ×4, first 2 shown]
.LBB6_3011:                             ;   in Loop: Header=BB6_2119 Depth=2
	s_or_b64 exec, exec, s[30:31]
	v_lshlrev_b32_e32 v25, 11, v1
	v_accvgpr_read_b32 v0, a61
	v_cmp_ne_u32_e32 vcc, v0, v25
	s_mov_b64 s[28:29], 0
	v_mov_b32_e32 v12, 0
                                        ; implicit-def: $vgpr4
                                        ; implicit-def: $vgpr0
                                        ; implicit-def: $vgpr1
	s_and_saveexec_b64 s[64:65], vcc
	s_cbranch_execz .LBB6_3405
; %bb.3012:                             ;   in Loop: Header=BB6_2119 Depth=2
	v_accvgpr_read_b32 v0, a61
	v_sub_u32_e32 v2, v0, v25
	v_lshlrev_b32_e32 v1, 6, v46
	v_accvgpr_read_b32 v0, a42
	v_sub_u32_e32 v1, v0, v1
	v_ashrrev_i32_e32 v3, 31, v1
	v_lshrrev_b32_e32 v3, 26, v3
	v_ashrrev_i32_e32 v5, 31, v2
	v_add_u32_e32 v3, v1, v3
	v_lshrrev_b32_e32 v5, 22, v5
	v_ashrrev_i32_e32 v4, 6, v3
	v_and_b32_e32 v3, 0xffffffc0, v3
	v_add_u32_e32 v5, v2, v5
	v_sub_u32_e32 v28, v1, v3
	v_and_b32_e32 v30, 0xfffffc00, v5
	v_lshlrev_b32_e32 v1, 4, v28
	v_sub_u32_e32 v37, v2, v30
	v_lshl_add_u32 v1, v4, 10, v1
	v_ashrrev_i32_e32 v6, 10, v5
	v_cmp_lt_i32_e64 s[28:29], 15, v37
	v_sub_u32_e32 v3, v2, v1
	v_addc_co_u32_e64 v2, vcc, 0, v6, s[28:29]
	v_sub_u32_e32 v36, v2, v4
	v_cmp_lt_i32_e32 vcc, 15, v3
	s_and_saveexec_b64 s[66:67], vcc
	s_cbranch_execz .LBB6_3402
; %bb.3013:                             ;   in Loop: Header=BB6_2119 Depth=2
	s_trap 2
	ds_read_b128 v[4:7], v0
	v_add_u32_e32 v1, v1, v25
	v_ashrrev_i32_e32 v2, 31, v1
	s_mov_b64 s[68:69], 0
	s_waitcnt lgkmcnt(0)
	v_add_co_u32_e32 v4, vcc, v4, v1
	v_addc_co_u32_e32 v5, vcc, v5, v2, vcc
	v_add_co_u32_e32 v16, vcc, v6, v1
	v_addc_co_u32_e32 v17, vcc, v7, v2, vcc
	v_pk_mov_b32 v[18:19], v[4:5], v[4:5] op_sel:[0,1]
	v_pk_mov_b32 v[20:21], v[16:17], v[16:17] op_sel:[0,1]
.LBB6_3014:                             ;   Parent Loop BB6_47 Depth=1
                                        ;     Parent Loop BB6_2119 Depth=2
                                        ; =>    This Loop Header: Depth=3
                                        ;         Child Loop BB6_3399 Depth 4
	global_load_dwordx4 v[12:15], v[18:19], off glc slc
	global_load_dwordx4 v[8:11], v[20:21], off glc slc
	v_mov_b32_e32 v1, 0
	v_mov_b32_e32 v2, 0
	s_waitcnt vmcnt(0)
	v_cmp_ne_u16_sdwa vcc, v12, v27 src0_sel:BYTE_0 src1_sel:DWORD
	s_mov_b64 s[30:31], exec
	s_and_b64 vcc, s[30:31], vcc
	v_accvgpr_read_b32 v0, a30
	s_mov_b64 exec, vcc
	s_cbranch_execz .LBB6_3020
; %bb.3015:                             ;   in Loop: Header=BB6_3014 Depth=3
	v_cmp_ne_u16_sdwa vcc, v12, s91 src0_sel:BYTE_0 src1_sel:DWORD
	v_bfrev_b32_e32 v2, 1
	s_and_saveexec_b64 s[34:35], vcc
	s_cbranch_execz .LBB6_3019
; %bb.3016:                             ;   in Loop: Header=BB6_3014 Depth=3
	v_and_b32_e32 v6, 0x7f, v12
	v_cmp_ne_u32_e32 vcc, s92, v6
	v_mov_b32_e32 v2, 0x7f800001
	s_and_saveexec_b64 s[70:71], vcc
	s_cbranch_execz .LBB6_3018
; %bb.3017:                             ;   in Loop: Header=BB6_3014 Depth=3
	v_and_b32_e32 v2, 7, v12
	v_ffbh_u32_e32 v2, v2
	v_min_u32_e32 v2, 32, v2
	v_subrev_u32_e32 v22, 28, v2
	v_cmp_gt_u32_e32 vcc, 8, v6
	v_lshrrev_b32_e32 v7, 3, v6
	v_sub_u32_e32 v2, 29, v2
	v_cndmask_b32_e32 v6, 0, v22, vcc
	v_cndmask_b32_e32 v2, v7, v2, vcc
	v_lshlrev_b64 v[6:7], v6, v[12:13]
	v_lshlrev_b32_e32 v6, 20, v6
	v_lshlrev_b32_e32 v7, 24, v12
	v_and_b32_e32 v6, 0x700000, v6
	v_and_b32_e32 v7, 0x80000000, v7
	v_lshl_add_u32 v2, v2, 23, v31
	v_or3_b32 v2, v7, v2, v6
.LBB6_3018:                             ;   in Loop: Header=BB6_3014 Depth=3
	s_or_b64 exec, exec, s[70:71]
.LBB6_3019:                             ;   in Loop: Header=BB6_3014 Depth=3
	s_or_b64 exec, exec, s[34:35]
.LBB6_3020:                             ;   in Loop: Header=BB6_3014 Depth=3
	s_or_b64 exec, exec, s[30:31]
	v_cmp_ne_u16_sdwa vcc, v8, v27 src0_sel:BYTE_0 src1_sel:DWORD
	s_and_saveexec_b64 s[30:31], vcc
	s_cbranch_execz .LBB6_3026
; %bb.3021:                             ;   in Loop: Header=BB6_3014 Depth=3
	v_cmp_ne_u16_sdwa vcc, v8, s91 src0_sel:BYTE_0 src1_sel:DWORD
	v_bfrev_b32_e32 v1, 1
	s_and_saveexec_b64 s[34:35], vcc
	s_cbranch_execz .LBB6_3025
; %bb.3022:                             ;   in Loop: Header=BB6_3014 Depth=3
	v_and_b32_e32 v6, 0x7f, v8
	v_cmp_ne_u32_e32 vcc, s92, v6
	v_mov_b32_e32 v1, 0x7f800001
	s_and_saveexec_b64 s[70:71], vcc
	s_cbranch_execz .LBB6_3024
; %bb.3023:                             ;   in Loop: Header=BB6_3014 Depth=3
	v_and_b32_e32 v1, 7, v8
	v_ffbh_u32_e32 v1, v1
	v_min_u32_e32 v1, 32, v1
	v_subrev_u32_e32 v22, 28, v1
	v_cmp_gt_u32_e32 vcc, 8, v6
	v_lshrrev_b32_e32 v7, 3, v6
	v_sub_u32_e32 v1, 29, v1
	v_cndmask_b32_e32 v6, 0, v22, vcc
	v_cndmask_b32_e32 v1, v7, v1, vcc
	v_lshlrev_b64 v[6:7], v6, v[8:9]
	v_lshlrev_b32_e32 v6, 20, v6
	v_lshlrev_b32_e32 v7, 24, v8
	v_and_b32_e32 v6, 0x700000, v6
	v_and_b32_e32 v7, 0x80000000, v7
	v_lshl_add_u32 v1, v1, 23, v31
	v_or3_b32 v1, v7, v1, v6
.LBB6_3024:                             ;   in Loop: Header=BB6_3014 Depth=3
	s_or_b64 exec, exec, s[70:71]
.LBB6_3025:                             ;   in Loop: Header=BB6_3014 Depth=3
	s_or_b64 exec, exec, s[34:35]
.LBB6_3026:                             ;   in Loop: Header=BB6_3014 Depth=3
	s_or_b64 exec, exec, s[30:31]
	v_add_f32_e32 v6, v2, v1
	v_and_b32_sdwa v2, v6, s91 dst_sel:DWORD dst_unused:UNUSED_PAD src0_sel:BYTE_3 src1_sel:DWORD
	v_and_b32_e32 v22, 0x7f800000, v6
	v_mov_b32_e32 v23, v27
	v_and_b32_e32 v26, 0x7fffff, v6
	v_or_b32_e32 v1, 0x7e, v2
	v_cmp_ne_u64_e32 vcc, s[52:53], v[22:23]
	s_and_saveexec_b64 s[30:31], vcc
	s_xor_b64 s[34:35], exec, s[30:31]
	s_cbranch_execz .LBB6_3036
; %bb.3027:                             ;   in Loop: Header=BB6_3014 Depth=3
	v_and_b32_e32 v22, 0x7fffffff, v6
	v_mov_b32_e32 v23, v27
	v_cmp_gt_u64_e32 vcc, s[54:55], v[22:23]
	s_and_saveexec_b64 s[70:71], vcc
	s_cbranch_execz .LBB6_3035
; %bb.3028:                             ;   in Loop: Header=BB6_3014 Depth=3
	v_cmp_ne_u32_e32 vcc, 0, v6
	v_mov_b32_e32 v1, 0
	s_and_saveexec_b64 s[72:73], vcc
	s_cbranch_execz .LBB6_3034
; %bb.3029:                             ;   in Loop: Header=BB6_3014 Depth=3
	v_bfe_u32 v1, v6, 23, 8
	v_cmp_eq_u32_e32 vcc, 0, v1
	v_add_u32_e32 v6, 0xffffff81, v1
	v_cmp_gt_u32_e64 s[30:31], s93, v1
	v_sub_u32_e32 v1, 0x79, v1
	v_mov_b32_e32 v22, 0xffffff82
	v_cndmask_b32_e64 v1, 0, v1, s[30:31]
	v_cndmask_b32_e32 v24, v6, v22, vcc
	v_mov_b32_e32 v6, 0x78
	v_cndmask_b32_e32 v1, v1, v6, vcc
	v_or_b32_e32 v7, 0x800000, v26
	v_add_u32_e32 v6, 20, v1
	v_cndmask_b32_e32 v26, v7, v26, vcc
	v_lshlrev_b64 v[6:7], v6, -1
	v_not_b32_e32 v7, v7
	v_not_b32_e32 v6, v6
	v_add_u32_e32 v22, 19, v1
	v_and_b32_e32 v7, 0, v7
	v_and_b32_e32 v6, v26, v6
	v_lshlrev_b64 v[22:23], v22, 1
	v_cmp_eq_u64_e32 vcc, v[6:7], v[22:23]
	v_lshrrev_b64 v[22:23], v1, v[26:27]
	v_lshrrev_b32_e32 v6, 23, v22
	v_add3_u32 v7, v1, v24, v6
	v_bfe_u32 v1, v22, 20, 1
	v_add_u32_e32 v1, -1, v1
	v_cndmask_b32_e32 v1, 0, v1, vcc
	v_add_u32_e32 v1, v1, v22
	v_and_b32_e32 v1, 0xfffff, v1
	v_add_co_u32_e32 v22, vcc, v1, v22
	v_add_u32_e32 v6, 6, v7
	v_addc_co_u32_e32 v23, vcc, 0, v23, vcc
	v_cmp_ne_u32_e32 vcc, 0, v6
                                        ; implicit-def: $vgpr1
	s_and_saveexec_b64 s[30:31], vcc
	s_xor_b64 s[30:31], exec, s[30:31]
; %bb.3030:                             ;   in Loop: Header=BB6_3014 Depth=3
	v_add_u32_e32 v1, 7, v7
	v_cmp_lt_u64_e32 vcc, s[56:57], v[22:23]
	v_cndmask_b32_e32 v1, v6, v1, vcc
	v_cndmask_b32_e64 v6, 0, 1, vcc
	v_lshrrev_b64 v[22:23], v6, v[22:23]
; %bb.3031:                             ;   in Loop: Header=BB6_3014 Depth=3
	s_andn2_saveexec_b64 vcc, s[30:31]
; %bb.3032:                             ;   in Loop: Header=BB6_3014 Depth=3
	v_bfe_u32 v1, v22, 23, 1
; %bb.3033:                             ;   in Loop: Header=BB6_3014 Depth=3
	s_or_b64 exec, exec, vcc
	v_lshrrev_b64 v[6:7], 20, v[22:23]
	v_cmp_gt_i32_e32 vcc, 16, v1
	v_cndmask_b32_e32 v7, 0, v7, vcc
	v_cndmask_b32_e32 v6, 7, v6, vcc
	v_cmp_eq_u32_e32 vcc, 0, v1
	v_min_i32_e32 v1, 15, v1
	v_cmp_eq_u64_e64 s[30:31], 0, v[6:7]
	v_lshlrev_b32_e32 v1, 3, v1
	v_and_or_b32 v1, v6, 7, v1
	s_and_b64 vcc, vcc, s[30:31]
	v_cndmask_b32_e64 v1, v1, 0, vcc
	v_or_b32_e32 v1, v1, v2
.LBB6_3034:                             ;   in Loop: Header=BB6_3014 Depth=3
	s_or_b64 exec, exec, s[72:73]
.LBB6_3035:                             ;   in Loop: Header=BB6_3014 Depth=3
	s_or_b64 exec, exec, s[70:71]
                                        ; implicit-def: $vgpr6
.LBB6_3036:                             ;   in Loop: Header=BB6_3014 Depth=3
	s_andn2_saveexec_b64 s[30:31], s[34:35]
; %bb.3037:                             ;   in Loop: Header=BB6_3014 Depth=3
	v_or_b32_sdwa v2, v6, s92 dst_sel:DWORD dst_unused:UNUSED_PAD src0_sel:BYTE_3 src1_sel:DWORD
	v_cmp_eq_u64_e32 vcc, 0, v[26:27]
	v_cndmask_b32_e32 v1, v2, v1, vcc
; %bb.3038:                             ;   in Loop: Header=BB6_3014 Depth=3
	s_or_b64 exec, exec, s[30:31]
	v_lshrrev_b16_e32 v22, 8, v12
	v_cmp_ne_u16_e32 vcc, 0, v22
	v_mov_b32_e32 v2, 0
	v_mov_b32_e32 v6, 0
	s_and_saveexec_b64 s[30:31], vcc
	s_cbranch_execz .LBB6_3044
; %bb.3039:                             ;   in Loop: Header=BB6_3014 Depth=3
	v_cmp_ne_u16_e32 vcc, s91, v22
	v_bfrev_b32_e32 v6, 1
	s_and_saveexec_b64 s[34:35], vcc
	s_cbranch_execz .LBB6_3043
; %bb.3040:                             ;   in Loop: Header=BB6_3014 Depth=3
	v_and_b32_e32 v7, 0x7f, v22
	v_cmp_ne_u32_e32 vcc, s92, v7
	v_mov_b32_e32 v6, 0x7f800001
	s_and_saveexec_b64 s[70:71], vcc
	s_cbranch_execz .LBB6_3042
; %bb.3041:                             ;   in Loop: Header=BB6_3014 Depth=3
	v_and_b32_e32 v6, 7, v22
	v_ffbh_u32_e32 v23, v6
	v_min_u32_e32 v26, 32, v23
	v_subrev_u32_e32 v23, 28, v26
	v_lshlrev_b64 v[22:23], v23, v[22:23]
	v_lshrrev_b32_e32 v24, 3, v7
	v_sub_u32_e32 v23, 29, v26
	v_and_b32_e32 v22, 7, v22
	v_cmp_gt_u32_e32 vcc, 8, v7
	v_cndmask_b32_e32 v7, v24, v23, vcc
	v_cndmask_b32_e32 v6, v6, v22, vcc
	v_lshlrev_b32_e32 v22, 16, v12
	v_lshlrev_b32_e32 v6, 20, v6
	v_and_b32_e32 v22, 0x80000000, v22
	v_lshl_add_u32 v7, v7, 23, v31
	v_or3_b32 v6, v22, v7, v6
.LBB6_3042:                             ;   in Loop: Header=BB6_3014 Depth=3
	s_or_b64 exec, exec, s[70:71]
.LBB6_3043:                             ;   in Loop: Header=BB6_3014 Depth=3
	s_or_b64 exec, exec, s[34:35]
.LBB6_3044:                             ;   in Loop: Header=BB6_3014 Depth=3
	s_or_b64 exec, exec, s[30:31]
	v_lshrrev_b16_e32 v22, 8, v8
	v_cmp_ne_u16_e32 vcc, 0, v22
	s_and_saveexec_b64 s[30:31], vcc
	s_cbranch_execz .LBB6_3050
; %bb.3045:                             ;   in Loop: Header=BB6_3014 Depth=3
	v_cmp_ne_u16_e32 vcc, s91, v22
	v_bfrev_b32_e32 v2, 1
	s_and_saveexec_b64 s[34:35], vcc
	s_cbranch_execz .LBB6_3049
; %bb.3046:                             ;   in Loop: Header=BB6_3014 Depth=3
	v_and_b32_e32 v7, 0x7f, v22
	v_cmp_ne_u32_e32 vcc, s92, v7
	v_mov_b32_e32 v2, 0x7f800001
	s_and_saveexec_b64 s[70:71], vcc
	s_cbranch_execz .LBB6_3048
; %bb.3047:                             ;   in Loop: Header=BB6_3014 Depth=3
	v_and_b32_e32 v2, 7, v22
	v_ffbh_u32_e32 v23, v2
	v_min_u32_e32 v26, 32, v23
	v_subrev_u32_e32 v23, 28, v26
	v_lshlrev_b64 v[22:23], v23, v[22:23]
	v_lshrrev_b32_e32 v24, 3, v7
	v_sub_u32_e32 v23, 29, v26
	v_and_b32_e32 v22, 7, v22
	v_cmp_gt_u32_e32 vcc, 8, v7
	v_cndmask_b32_e32 v7, v24, v23, vcc
	v_cndmask_b32_e32 v2, v2, v22, vcc
	v_lshlrev_b32_e32 v22, 16, v8
	v_lshlrev_b32_e32 v2, 20, v2
	v_and_b32_e32 v22, 0x80000000, v22
	v_lshl_add_u32 v7, v7, 23, v31
	v_or3_b32 v2, v22, v7, v2
.LBB6_3048:                             ;   in Loop: Header=BB6_3014 Depth=3
	s_or_b64 exec, exec, s[70:71]
.LBB6_3049:                             ;   in Loop: Header=BB6_3014 Depth=3
	s_or_b64 exec, exec, s[34:35]
.LBB6_3050:                             ;   in Loop: Header=BB6_3014 Depth=3
	s_or_b64 exec, exec, s[30:31]
	v_add_f32_e32 v7, v6, v2
	v_and_b32_sdwa v6, v7, s91 dst_sel:DWORD dst_unused:UNUSED_PAD src0_sel:BYTE_3 src1_sel:DWORD
	v_and_b32_e32 v22, 0x7f800000, v7
	v_mov_b32_e32 v23, v27
	v_and_b32_e32 v26, 0x7fffff, v7
	v_or_b32_e32 v2, 0x7e, v6
	v_cmp_ne_u64_e32 vcc, s[52:53], v[22:23]
	s_and_saveexec_b64 s[30:31], vcc
	s_xor_b64 s[34:35], exec, s[30:31]
	s_cbranch_execz .LBB6_3060
; %bb.3051:                             ;   in Loop: Header=BB6_3014 Depth=3
	v_and_b32_e32 v22, 0x7fffffff, v7
	v_mov_b32_e32 v23, v27
	v_cmp_gt_u64_e32 vcc, s[54:55], v[22:23]
	s_and_saveexec_b64 s[70:71], vcc
	s_cbranch_execz .LBB6_3059
; %bb.3052:                             ;   in Loop: Header=BB6_3014 Depth=3
	v_cmp_ne_u32_e32 vcc, 0, v7
	v_mov_b32_e32 v2, 0
	s_and_saveexec_b64 s[72:73], vcc
	s_cbranch_execz .LBB6_3058
; %bb.3053:                             ;   in Loop: Header=BB6_3014 Depth=3
	v_bfe_u32 v2, v7, 23, 8
	v_cmp_eq_u32_e32 vcc, 0, v2
	v_add_u32_e32 v7, 0xffffff81, v2
	v_cmp_gt_u32_e64 s[30:31], s93, v2
	v_sub_u32_e32 v2, 0x79, v2
	v_mov_b32_e32 v23, 0xffffff82
	v_cndmask_b32_e64 v2, 0, v2, s[30:31]
	v_cndmask_b32_e32 v7, v7, v23, vcc
	v_mov_b32_e32 v23, 0x78
	v_or_b32_e32 v22, 0x800000, v26
	v_cndmask_b32_e32 v2, v2, v23, vcc
	v_cndmask_b32_e32 v26, v22, v26, vcc
	v_add_u32_e32 v22, 20, v2
	v_lshlrev_b64 v[22:23], v22, -1
	v_not_b32_e32 v23, v23
	v_not_b32_e32 v22, v22
	v_add_u32_e32 v24, 19, v2
	v_and_b32_e32 v23, 0, v23
	v_and_b32_e32 v22, v26, v22
	v_lshlrev_b64 v[38:39], v24, 1
	v_cmp_eq_u64_e32 vcc, v[22:23], v[38:39]
	v_lshrrev_b64 v[22:23], v2, v[26:27]
	v_lshrrev_b32_e32 v24, 23, v22
	v_add3_u32 v24, v2, v7, v24
	v_bfe_u32 v2, v22, 20, 1
	v_add_u32_e32 v2, -1, v2
	v_cndmask_b32_e32 v2, 0, v2, vcc
	v_add_u32_e32 v2, v2, v22
	v_and_b32_e32 v2, 0xfffff, v2
	v_add_co_u32_e32 v22, vcc, v2, v22
	v_add_u32_e32 v7, 6, v24
	v_addc_co_u32_e32 v23, vcc, 0, v23, vcc
	v_cmp_ne_u32_e32 vcc, 0, v7
                                        ; implicit-def: $vgpr2
	s_and_saveexec_b64 s[30:31], vcc
	s_xor_b64 s[30:31], exec, s[30:31]
; %bb.3054:                             ;   in Loop: Header=BB6_3014 Depth=3
	v_add_u32_e32 v2, 7, v24
	v_cmp_lt_u64_e32 vcc, s[56:57], v[22:23]
	v_cndmask_b32_e32 v2, v7, v2, vcc
	v_cndmask_b32_e64 v7, 0, 1, vcc
	v_lshrrev_b64 v[22:23], v7, v[22:23]
; %bb.3055:                             ;   in Loop: Header=BB6_3014 Depth=3
	s_andn2_saveexec_b64 vcc, s[30:31]
; %bb.3056:                             ;   in Loop: Header=BB6_3014 Depth=3
	v_bfe_u32 v2, v22, 23, 1
; %bb.3057:                             ;   in Loop: Header=BB6_3014 Depth=3
	s_or_b64 exec, exec, vcc
	v_lshrrev_b64 v[22:23], 20, v[22:23]
	v_cmp_gt_i32_e32 vcc, 16, v2
	v_cndmask_b32_e32 v23, 0, v23, vcc
	v_cndmask_b32_e32 v22, 7, v22, vcc
	v_cmp_eq_u32_e32 vcc, 0, v2
	v_min_i32_e32 v2, 15, v2
	v_cmp_eq_u64_e64 s[30:31], 0, v[22:23]
	v_lshlrev_b32_e32 v2, 3, v2
	v_and_or_b32 v2, v22, 7, v2
	s_and_b64 vcc, vcc, s[30:31]
	v_cndmask_b32_e64 v2, v2, 0, vcc
	v_or_b32_e32 v2, v2, v6
.LBB6_3058:                             ;   in Loop: Header=BB6_3014 Depth=3
	s_or_b64 exec, exec, s[72:73]
.LBB6_3059:                             ;   in Loop: Header=BB6_3014 Depth=3
	s_or_b64 exec, exec, s[70:71]
                                        ; implicit-def: $vgpr7
.LBB6_3060:                             ;   in Loop: Header=BB6_3014 Depth=3
	s_andn2_saveexec_b64 s[30:31], s[34:35]
; %bb.3061:                             ;   in Loop: Header=BB6_3014 Depth=3
	v_or_b32_sdwa v6, v7, s92 dst_sel:DWORD dst_unused:UNUSED_PAD src0_sel:BYTE_3 src1_sel:DWORD
	v_cmp_eq_u64_e32 vcc, 0, v[26:27]
	v_cndmask_b32_e32 v2, v6, v2, vcc
; %bb.3062:                             ;   in Loop: Header=BB6_3014 Depth=3
	s_or_b64 exec, exec, s[30:31]
	v_lshrrev_b32_e32 v22, 16, v12
	v_cmp_ne_u16_sdwa vcc, v22, v27 src0_sel:BYTE_0 src1_sel:DWORD
	v_mov_b32_e32 v6, 0
	v_mov_b32_e32 v7, 0
	s_and_saveexec_b64 s[30:31], vcc
	s_cbranch_execz .LBB6_3068
; %bb.3063:                             ;   in Loop: Header=BB6_3014 Depth=3
	v_cmp_ne_u16_sdwa vcc, v22, s91 src0_sel:BYTE_0 src1_sel:DWORD
	v_bfrev_b32_e32 v7, 1
	s_and_saveexec_b64 s[34:35], vcc
	s_cbranch_execz .LBB6_3067
; %bb.3064:                             ;   in Loop: Header=BB6_3014 Depth=3
	v_bfe_u32 v23, v12, 16, 7
	v_cmp_ne_u32_e32 vcc, s92, v23
	v_mov_b32_e32 v7, 0x7f800001
	s_and_saveexec_b64 s[70:71], vcc
	s_cbranch_execz .LBB6_3066
; %bb.3065:                             ;   in Loop: Header=BB6_3014 Depth=3
	v_and_b32_e32 v7, 7, v22
	v_ffbh_u32_e32 v26, v7
	v_min_u32_e32 v26, 32, v26
	v_subrev_u32_e32 v29, 28, v26
	v_lshlrev_b64 v[38:39], v29, v[22:23]
	v_lshrrev_b32_e32 v24, 3, v23
	v_sub_u32_e32 v26, 29, v26
	v_and_b32_e32 v29, 7, v38
	v_cmp_gt_u32_e32 vcc, 8, v23
	v_cndmask_b32_e32 v23, v24, v26, vcc
	v_cndmask_b32_e32 v7, v7, v29, vcc
	v_lshlrev_b32_e32 v22, 24, v22
	v_lshlrev_b32_e32 v7, 20, v7
	v_and_b32_e32 v22, 0x80000000, v22
	v_lshl_add_u32 v23, v23, 23, v31
	v_or3_b32 v7, v22, v23, v7
.LBB6_3066:                             ;   in Loop: Header=BB6_3014 Depth=3
	s_or_b64 exec, exec, s[70:71]
.LBB6_3067:                             ;   in Loop: Header=BB6_3014 Depth=3
	s_or_b64 exec, exec, s[34:35]
.LBB6_3068:                             ;   in Loop: Header=BB6_3014 Depth=3
	s_or_b64 exec, exec, s[30:31]
	v_lshrrev_b32_e32 v22, 16, v8
	v_cmp_ne_u16_sdwa vcc, v22, v27 src0_sel:BYTE_0 src1_sel:DWORD
	s_and_saveexec_b64 s[30:31], vcc
	s_cbranch_execz .LBB6_3074
; %bb.3069:                             ;   in Loop: Header=BB6_3014 Depth=3
	v_cmp_ne_u16_sdwa vcc, v22, s91 src0_sel:BYTE_0 src1_sel:DWORD
	v_bfrev_b32_e32 v6, 1
	s_and_saveexec_b64 s[34:35], vcc
	s_cbranch_execz .LBB6_3073
; %bb.3070:                             ;   in Loop: Header=BB6_3014 Depth=3
	v_bfe_u32 v23, v8, 16, 7
	v_cmp_ne_u32_e32 vcc, s92, v23
	v_mov_b32_e32 v6, 0x7f800001
	s_and_saveexec_b64 s[70:71], vcc
	s_cbranch_execz .LBB6_3072
; %bb.3071:                             ;   in Loop: Header=BB6_3014 Depth=3
	v_and_b32_e32 v6, 7, v22
	v_ffbh_u32_e32 v26, v6
	v_min_u32_e32 v26, 32, v26
	v_subrev_u32_e32 v29, 28, v26
	v_lshlrev_b64 v[38:39], v29, v[22:23]
	v_lshrrev_b32_e32 v24, 3, v23
	v_sub_u32_e32 v22, 29, v26
	v_and_b32_e32 v26, 7, v38
	v_cmp_gt_u32_e32 vcc, 8, v23
	v_cndmask_b32_e32 v22, v24, v22, vcc
	v_cndmask_b32_e32 v6, v6, v26, vcc
	v_lshlrev_b32_e32 v23, 8, v8
	v_lshlrev_b32_e32 v6, 20, v6
	v_and_b32_e32 v23, 0x80000000, v23
	v_lshl_add_u32 v22, v22, 23, v31
	v_or3_b32 v6, v23, v22, v6
.LBB6_3072:                             ;   in Loop: Header=BB6_3014 Depth=3
	s_or_b64 exec, exec, s[70:71]
.LBB6_3073:                             ;   in Loop: Header=BB6_3014 Depth=3
	s_or_b64 exec, exec, s[34:35]
.LBB6_3074:                             ;   in Loop: Header=BB6_3014 Depth=3
	s_or_b64 exec, exec, s[30:31]
	v_add_f32_e32 v22, v7, v6
	v_and_b32_sdwa v7, v22, s91 dst_sel:DWORD dst_unused:UNUSED_PAD src0_sel:BYTE_3 src1_sel:DWORD
	v_and_b32_e32 v38, 0x7f800000, v22
	v_mov_b32_e32 v39, v27
	v_and_b32_e32 v26, 0x7fffff, v22
	v_or_b32_e32 v6, 0x7e, v7
	v_cmp_ne_u64_e32 vcc, s[52:53], v[38:39]
	s_and_saveexec_b64 s[30:31], vcc
	s_xor_b64 s[34:35], exec, s[30:31]
	s_cbranch_execz .LBB6_3084
; %bb.3075:                             ;   in Loop: Header=BB6_3014 Depth=3
	v_and_b32_e32 v38, 0x7fffffff, v22
	v_mov_b32_e32 v39, v27
	v_cmp_gt_u64_e32 vcc, s[54:55], v[38:39]
	s_and_saveexec_b64 s[70:71], vcc
	s_cbranch_execz .LBB6_3083
; %bb.3076:                             ;   in Loop: Header=BB6_3014 Depth=3
	v_cmp_ne_u32_e32 vcc, 0, v22
	v_mov_b32_e32 v6, 0
	s_and_saveexec_b64 s[72:73], vcc
	s_cbranch_execz .LBB6_3082
; %bb.3077:                             ;   in Loop: Header=BB6_3014 Depth=3
	v_bfe_u32 v6, v22, 23, 8
	v_cmp_eq_u32_e32 vcc, 0, v6
	v_add_u32_e32 v22, 0xffffff81, v6
	v_cmp_gt_u32_e64 s[30:31], s93, v6
	v_sub_u32_e32 v6, 0x79, v6
	v_mov_b32_e32 v24, 0xffffff82
	v_cndmask_b32_e64 v6, 0, v6, s[30:31]
	v_cndmask_b32_e32 v24, v22, v24, vcc
	v_mov_b32_e32 v22, 0x78
	v_cndmask_b32_e32 v6, v6, v22, vcc
	v_or_b32_e32 v23, 0x800000, v26
	v_add_u32_e32 v22, 20, v6
	v_cndmask_b32_e32 v26, v23, v26, vcc
	v_lshlrev_b64 v[22:23], v22, -1
	v_not_b32_e32 v23, v23
	v_not_b32_e32 v22, v22
	v_add_u32_e32 v29, 19, v6
	v_and_b32_e32 v23, 0, v23
	v_and_b32_e32 v22, v26, v22
	v_lshlrev_b64 v[38:39], v29, 1
	v_cmp_eq_u64_e32 vcc, v[22:23], v[38:39]
	v_lshrrev_b64 v[22:23], v6, v[26:27]
	v_lshrrev_b32_e32 v26, 23, v22
	v_add3_u32 v26, v6, v24, v26
	v_bfe_u32 v6, v22, 20, 1
	v_add_u32_e32 v6, -1, v6
	v_cndmask_b32_e32 v6, 0, v6, vcc
	v_add_u32_e32 v6, v6, v22
	v_and_b32_e32 v6, 0xfffff, v6
	v_add_co_u32_e32 v22, vcc, v6, v22
	v_add_u32_e32 v24, 6, v26
	v_addc_co_u32_e32 v23, vcc, 0, v23, vcc
	v_cmp_ne_u32_e32 vcc, 0, v24
                                        ; implicit-def: $vgpr6
	s_and_saveexec_b64 s[30:31], vcc
	s_xor_b64 s[30:31], exec, s[30:31]
; %bb.3078:                             ;   in Loop: Header=BB6_3014 Depth=3
	v_add_u32_e32 v6, 7, v26
	v_cmp_lt_u64_e32 vcc, s[56:57], v[22:23]
	v_cndmask_b32_e32 v6, v24, v6, vcc
	v_cndmask_b32_e64 v24, 0, 1, vcc
	v_lshrrev_b64 v[22:23], v24, v[22:23]
; %bb.3079:                             ;   in Loop: Header=BB6_3014 Depth=3
	s_andn2_saveexec_b64 vcc, s[30:31]
; %bb.3080:                             ;   in Loop: Header=BB6_3014 Depth=3
	v_bfe_u32 v6, v22, 23, 1
; %bb.3081:                             ;   in Loop: Header=BB6_3014 Depth=3
	s_or_b64 exec, exec, vcc
	v_lshrrev_b64 v[22:23], 20, v[22:23]
	v_cmp_gt_i32_e32 vcc, 16, v6
	v_cndmask_b32_e32 v23, 0, v23, vcc
	v_cndmask_b32_e32 v22, 7, v22, vcc
	v_cmp_eq_u32_e32 vcc, 0, v6
	v_min_i32_e32 v6, 15, v6
	v_cmp_eq_u64_e64 s[30:31], 0, v[22:23]
	v_lshlrev_b32_e32 v6, 3, v6
	v_and_or_b32 v6, v22, 7, v6
	s_and_b64 vcc, vcc, s[30:31]
	v_cndmask_b32_e64 v6, v6, 0, vcc
	v_or_b32_e32 v6, v6, v7
.LBB6_3082:                             ;   in Loop: Header=BB6_3014 Depth=3
	s_or_b64 exec, exec, s[72:73]
.LBB6_3083:                             ;   in Loop: Header=BB6_3014 Depth=3
	s_or_b64 exec, exec, s[70:71]
                                        ; implicit-def: $vgpr22
.LBB6_3084:                             ;   in Loop: Header=BB6_3014 Depth=3
	s_andn2_saveexec_b64 s[30:31], s[34:35]
; %bb.3085:                             ;   in Loop: Header=BB6_3014 Depth=3
	v_or_b32_sdwa v7, v22, s92 dst_sel:DWORD dst_unused:UNUSED_PAD src0_sel:BYTE_3 src1_sel:DWORD
	v_cmp_eq_u64_e32 vcc, 0, v[26:27]
	v_cndmask_b32_e32 v6, v7, v6, vcc
; %bb.3086:                             ;   in Loop: Header=BB6_3014 Depth=3
	s_or_b64 exec, exec, s[30:31]
	v_cmp_lt_u32_e32 vcc, s43, v12
	v_mov_b32_e32 v7, 0
	v_mov_b32_e32 v23, 0
	s_and_saveexec_b64 s[30:31], vcc
	s_cbranch_execz .LBB6_3092
; %bb.3087:                             ;   in Loop: Header=BB6_3014 Depth=3
	v_lshrrev_b32_e32 v22, 24, v12
	v_cmp_ne_u32_e32 vcc, s91, v22
	v_bfrev_b32_e32 v23, 1
	s_and_saveexec_b64 s[34:35], vcc
	s_cbranch_execz .LBB6_3091
; %bb.3088:                             ;   in Loop: Header=BB6_3014 Depth=3
	v_bfe_u32 v24, v12, 24, 7
	v_cmp_ne_u32_e32 vcc, s92, v24
	v_mov_b32_e32 v23, 0x7f800001
	s_and_saveexec_b64 s[70:71], vcc
	s_cbranch_execz .LBB6_3090
; %bb.3089:                             ;   in Loop: Header=BB6_3014 Depth=3
	v_and_b32_e32 v23, 7, v22
	v_ffbh_u32_e32 v29, v23
	v_min_u32_e32 v29, 32, v29
	v_subrev_u32_e32 v32, 28, v29
	v_lshlrev_b64 v[38:39], v32, v[22:23]
	v_lshrrev_b32_e32 v26, 3, v24
	v_sub_u32_e32 v29, 29, v29
	v_and_b32_e32 v32, 7, v38
	v_cmp_gt_u32_e32 vcc, 8, v24
	v_cndmask_b32_e32 v24, v26, v29, vcc
	v_cndmask_b32_e32 v23, v23, v32, vcc
	v_lshlrev_b32_e32 v22, 24, v22
	v_lshlrev_b32_e32 v23, 20, v23
	v_and_b32_e32 v22, 0x80000000, v22
	v_lshl_add_u32 v24, v24, 23, v31
	v_or3_b32 v23, v22, v24, v23
.LBB6_3090:                             ;   in Loop: Header=BB6_3014 Depth=3
	s_or_b64 exec, exec, s[70:71]
.LBB6_3091:                             ;   in Loop: Header=BB6_3014 Depth=3
	s_or_b64 exec, exec, s[34:35]
.LBB6_3092:                             ;   in Loop: Header=BB6_3014 Depth=3
	s_or_b64 exec, exec, s[30:31]
	v_cmp_lt_u32_e32 vcc, s43, v8
	s_and_saveexec_b64 s[30:31], vcc
	s_cbranch_execz .LBB6_3098
; %bb.3093:                             ;   in Loop: Header=BB6_3014 Depth=3
	v_lshrrev_b32_e32 v22, 24, v8
	v_cmp_ne_u32_e32 vcc, s91, v22
	v_bfrev_b32_e32 v7, 1
	s_and_saveexec_b64 s[34:35], vcc
	s_cbranch_execz .LBB6_3097
; %bb.3094:                             ;   in Loop: Header=BB6_3014 Depth=3
	v_bfe_u32 v24, v8, 24, 7
	v_cmp_ne_u32_e32 vcc, s92, v24
	v_mov_b32_e32 v7, 0x7f800001
	s_and_saveexec_b64 s[70:71], vcc
	s_cbranch_execz .LBB6_3096
; %bb.3095:                             ;   in Loop: Header=BB6_3014 Depth=3
	v_and_b32_e32 v7, 7, v22
	v_ffbh_u32_e32 v29, v7
	v_min_u32_e32 v29, 32, v29
	v_subrev_u32_e32 v32, 28, v29
	v_lshlrev_b64 v[38:39], v32, v[22:23]
	v_lshrrev_b32_e32 v26, 3, v24
	v_sub_u32_e32 v29, 29, v29
	v_and_b32_e32 v32, 7, v38
	v_cmp_gt_u32_e32 vcc, 8, v24
	v_cndmask_b32_e32 v24, v26, v29, vcc
	v_cndmask_b32_e32 v7, v7, v32, vcc
	v_lshlrev_b32_e32 v22, 24, v22
	v_lshlrev_b32_e32 v7, 20, v7
	v_and_b32_e32 v22, 0x80000000, v22
	v_lshl_add_u32 v24, v24, 23, v31
	v_or3_b32 v7, v22, v24, v7
.LBB6_3096:                             ;   in Loop: Header=BB6_3014 Depth=3
	s_or_b64 exec, exec, s[70:71]
.LBB6_3097:                             ;   in Loop: Header=BB6_3014 Depth=3
	s_or_b64 exec, exec, s[34:35]
.LBB6_3098:                             ;   in Loop: Header=BB6_3014 Depth=3
	s_or_b64 exec, exec, s[30:31]
	v_add_f32_e32 v22, v23, v7
	v_and_b32_sdwa v24, v22, s91 dst_sel:DWORD dst_unused:UNUSED_PAD src0_sel:BYTE_3 src1_sel:DWORD
	v_and_b32_e32 v38, 0x7f800000, v22
	v_mov_b32_e32 v39, v27
	v_and_b32_e32 v26, 0x7fffff, v22
	v_or_b32_e32 v7, 0x7e, v24
	v_cmp_ne_u64_e32 vcc, s[52:53], v[38:39]
	s_and_saveexec_b64 s[30:31], vcc
	s_xor_b64 s[34:35], exec, s[30:31]
	s_cbranch_execz .LBB6_3108
; %bb.3099:                             ;   in Loop: Header=BB6_3014 Depth=3
	v_and_b32_e32 v38, 0x7fffffff, v22
	v_mov_b32_e32 v39, v27
	v_cmp_gt_u64_e32 vcc, s[54:55], v[38:39]
	s_and_saveexec_b64 s[70:71], vcc
	s_cbranch_execz .LBB6_3107
; %bb.3100:                             ;   in Loop: Header=BB6_3014 Depth=3
	v_cmp_ne_u32_e32 vcc, 0, v22
	v_mov_b32_e32 v7, 0
	s_and_saveexec_b64 s[72:73], vcc
	s_cbranch_execz .LBB6_3106
; %bb.3101:                             ;   in Loop: Header=BB6_3014 Depth=3
	v_bfe_u32 v7, v22, 23, 8
	v_cmp_eq_u32_e32 vcc, 0, v7
	v_add_u32_e32 v22, 0xffffff81, v7
	v_cmp_gt_u32_e64 s[30:31], s93, v7
	v_sub_u32_e32 v7, 0x79, v7
	v_mov_b32_e32 v29, 0xffffff82
	v_cndmask_b32_e64 v7, 0, v7, s[30:31]
	v_cndmask_b32_e32 v29, v22, v29, vcc
	v_mov_b32_e32 v22, 0x78
	v_cndmask_b32_e32 v7, v7, v22, vcc
	v_or_b32_e32 v23, 0x800000, v26
	v_add_u32_e32 v22, 20, v7
	v_cndmask_b32_e32 v26, v23, v26, vcc
	v_lshlrev_b64 v[22:23], v22, -1
	v_not_b32_e32 v23, v23
	v_not_b32_e32 v22, v22
	v_add_u32_e32 v32, 19, v7
	v_and_b32_e32 v23, 0, v23
	v_and_b32_e32 v22, v26, v22
	v_lshlrev_b64 v[38:39], v32, 1
	v_cmp_eq_u64_e32 vcc, v[22:23], v[38:39]
	v_lshrrev_b64 v[22:23], v7, v[26:27]
	v_lshrrev_b32_e32 v26, 23, v22
	v_add3_u32 v29, v7, v29, v26
	v_bfe_u32 v7, v22, 20, 1
	v_add_u32_e32 v7, -1, v7
	v_cndmask_b32_e32 v7, 0, v7, vcc
	v_add_u32_e32 v7, v7, v22
	v_and_b32_e32 v7, 0xfffff, v7
	v_add_co_u32_e32 v22, vcc, v7, v22
	v_add_u32_e32 v26, 6, v29
	v_addc_co_u32_e32 v23, vcc, 0, v23, vcc
	v_cmp_ne_u32_e32 vcc, 0, v26
                                        ; implicit-def: $vgpr7
	s_and_saveexec_b64 s[30:31], vcc
	s_xor_b64 s[30:31], exec, s[30:31]
; %bb.3102:                             ;   in Loop: Header=BB6_3014 Depth=3
	v_add_u32_e32 v7, 7, v29
	v_cmp_lt_u64_e32 vcc, s[56:57], v[22:23]
	v_cndmask_b32_e32 v7, v26, v7, vcc
	v_cndmask_b32_e64 v26, 0, 1, vcc
	v_lshrrev_b64 v[22:23], v26, v[22:23]
; %bb.3103:                             ;   in Loop: Header=BB6_3014 Depth=3
	s_andn2_saveexec_b64 vcc, s[30:31]
; %bb.3104:                             ;   in Loop: Header=BB6_3014 Depth=3
	v_bfe_u32 v7, v22, 23, 1
; %bb.3105:                             ;   in Loop: Header=BB6_3014 Depth=3
	s_or_b64 exec, exec, vcc
	v_lshrrev_b64 v[22:23], 20, v[22:23]
	v_cmp_gt_i32_e32 vcc, 16, v7
	v_cndmask_b32_e32 v23, 0, v23, vcc
	v_cndmask_b32_e32 v22, 7, v22, vcc
	v_cmp_eq_u32_e32 vcc, 0, v7
	v_min_i32_e32 v7, 15, v7
	v_cmp_eq_u64_e64 s[30:31], 0, v[22:23]
	v_lshlrev_b32_e32 v7, 3, v7
	v_and_or_b32 v7, v22, 7, v7
	s_and_b64 vcc, vcc, s[30:31]
	v_cndmask_b32_e64 v7, v7, 0, vcc
	v_or_b32_e32 v7, v7, v24
.LBB6_3106:                             ;   in Loop: Header=BB6_3014 Depth=3
	s_or_b64 exec, exec, s[72:73]
.LBB6_3107:                             ;   in Loop: Header=BB6_3014 Depth=3
	s_or_b64 exec, exec, s[70:71]
                                        ; implicit-def: $vgpr22
.LBB6_3108:                             ;   in Loop: Header=BB6_3014 Depth=3
	s_andn2_saveexec_b64 s[30:31], s[34:35]
; %bb.3109:                             ;   in Loop: Header=BB6_3014 Depth=3
	v_or_b32_sdwa v22, v22, s92 dst_sel:DWORD dst_unused:UNUSED_PAD src0_sel:BYTE_3 src1_sel:DWORD
	v_cmp_eq_u64_e32 vcc, 0, v[26:27]
	v_cndmask_b32_e32 v7, v22, v7, vcc
; %bb.3110:                             ;   in Loop: Header=BB6_3014 Depth=3
	s_or_b64 exec, exec, s[30:31]
	v_mov_b32_e32 v26, v13
	v_cmp_ne_u16_sdwa vcc, v13, v27 src0_sel:BYTE_0 src1_sel:DWORD
	v_mov_b32_e32 v23, 0
	v_mov_b32_e32 v22, 0
	s_and_saveexec_b64 s[30:31], vcc
	s_cbranch_execz .LBB6_3116
; %bb.3111:                             ;   in Loop: Header=BB6_3014 Depth=3
	v_cmp_ne_u16_sdwa vcc, v13, s91 src0_sel:BYTE_0 src1_sel:DWORD
	v_bfrev_b32_e32 v22, 1
	s_and_saveexec_b64 s[34:35], vcc
	s_cbranch_execz .LBB6_3115
; %bb.3112:                             ;   in Loop: Header=BB6_3014 Depth=3
	v_and_b32_e32 v24, 0x7f, v13
	v_cmp_ne_u32_e32 vcc, s92, v24
	v_mov_b32_e32 v22, 0x7f800001
	s_and_saveexec_b64 s[70:71], vcc
	s_cbranch_execz .LBB6_3114
; %bb.3113:                             ;   in Loop: Header=BB6_3014 Depth=3
	v_and_b32_e32 v22, 7, v13
	v_ffbh_u32_e32 v22, v22
	v_min_u32_e32 v22, 32, v22
	v_subrev_u32_e32 v32, 28, v22
	v_cmp_gt_u32_e32 vcc, 8, v24
	v_lshrrev_b32_e32 v29, 3, v24
	v_cndmask_b32_e32 v24, 0, v32, vcc
	v_sub_u32_e32 v22, 29, v22
	v_lshlrev_b64 v[38:39], v24, v[26:27]
	v_cndmask_b32_e32 v22, v29, v22, vcc
	v_lshlrev_b32_e32 v24, 20, v38
	v_lshlrev_b32_e32 v29, 24, v26
	v_and_b32_e32 v24, 0x700000, v24
	v_and_b32_e32 v29, 0x80000000, v29
	v_lshl_add_u32 v22, v22, 23, v31
	v_or3_b32 v22, v29, v22, v24
.LBB6_3114:                             ;   in Loop: Header=BB6_3014 Depth=3
	s_or_b64 exec, exec, s[70:71]
.LBB6_3115:                             ;   in Loop: Header=BB6_3014 Depth=3
	s_or_b64 exec, exec, s[34:35]
.LBB6_3116:                             ;   in Loop: Header=BB6_3014 Depth=3
	s_or_b64 exec, exec, s[30:31]
	v_cmp_ne_u16_sdwa vcc, v9, v27 src0_sel:BYTE_0 src1_sel:DWORD
	s_and_saveexec_b64 s[30:31], vcc
	s_cbranch_execz .LBB6_3122
; %bb.3117:                             ;   in Loop: Header=BB6_3014 Depth=3
	v_cmp_ne_u16_sdwa vcc, v9, s91 src0_sel:BYTE_0 src1_sel:DWORD
	v_bfrev_b32_e32 v23, 1
	s_and_saveexec_b64 s[34:35], vcc
	s_cbranch_execz .LBB6_3121
; %bb.3118:                             ;   in Loop: Header=BB6_3014 Depth=3
	v_and_b32_e32 v24, 0x7f, v9
	v_cmp_ne_u32_e32 vcc, s92, v24
	v_mov_b32_e32 v23, 0x7f800001
	s_and_saveexec_b64 s[70:71], vcc
	s_cbranch_execz .LBB6_3120
; %bb.3119:                             ;   in Loop: Header=BB6_3014 Depth=3
	v_and_b32_e32 v23, 7, v9
	v_ffbh_u32_e32 v23, v23
	v_min_u32_e32 v23, 32, v23
	v_subrev_u32_e32 v32, 28, v23
	v_cmp_gt_u32_e32 vcc, 8, v24
	v_mov_b32_e32 v38, v9
	v_mov_b32_e32 v39, v27
	v_lshrrev_b32_e32 v29, 3, v24
	v_cndmask_b32_e32 v24, 0, v32, vcc
	v_sub_u32_e32 v23, 29, v23
	v_lshlrev_b64 v[50:51], v24, v[38:39]
	v_cndmask_b32_e32 v23, v29, v23, vcc
	v_lshlrev_b32_e32 v24, 20, v50
	v_lshlrev_b32_e32 v29, 24, v38
	v_and_b32_e32 v24, 0x700000, v24
	v_and_b32_e32 v29, 0x80000000, v29
	v_lshl_add_u32 v23, v23, 23, v31
	v_or3_b32 v23, v29, v23, v24
.LBB6_3120:                             ;   in Loop: Header=BB6_3014 Depth=3
	s_or_b64 exec, exec, s[70:71]
.LBB6_3121:                             ;   in Loop: Header=BB6_3014 Depth=3
	s_or_b64 exec, exec, s[34:35]
.LBB6_3122:                             ;   in Loop: Header=BB6_3014 Depth=3
	s_or_b64 exec, exec, s[30:31]
	v_add_f32_e32 v29, v22, v23
	v_and_b32_sdwa v24, v29, s91 dst_sel:DWORD dst_unused:UNUSED_PAD src0_sel:BYTE_3 src1_sel:DWORD
	v_and_b32_e32 v50, 0x7f800000, v29
	v_mov_b32_e32 v51, v27
	v_and_b32_e32 v22, 0x7fffff, v29
	v_mov_b32_e32 v23, v27
	v_or_b32_e32 v38, 0x7e, v24
	v_cmp_ne_u64_e32 vcc, s[52:53], v[50:51]
	s_and_saveexec_b64 s[30:31], vcc
	s_xor_b64 s[34:35], exec, s[30:31]
	s_cbranch_execz .LBB6_3132
; %bb.3123:                             ;   in Loop: Header=BB6_3014 Depth=3
	v_and_b32_e32 v50, 0x7fffffff, v29
	v_mov_b32_e32 v51, v27
	v_cmp_gt_u64_e32 vcc, s[54:55], v[50:51]
	s_and_saveexec_b64 s[70:71], vcc
	s_cbranch_execz .LBB6_3131
; %bb.3124:                             ;   in Loop: Header=BB6_3014 Depth=3
	v_cmp_ne_u32_e32 vcc, 0, v29
	v_mov_b32_e32 v38, 0
	s_and_saveexec_b64 s[72:73], vcc
	s_cbranch_execz .LBB6_3130
; %bb.3125:                             ;   in Loop: Header=BB6_3014 Depth=3
	v_bfe_u32 v29, v29, 23, 8
	v_cmp_eq_u32_e32 vcc, 0, v29
	v_add_u32_e32 v32, 0xffffff81, v29
	v_cmp_gt_u32_e64 s[30:31], s93, v29
	v_sub_u32_e32 v29, 0x79, v29
	v_mov_b32_e32 v34, 0xffffff82
	v_cndmask_b32_e64 v29, 0, v29, s[30:31]
	v_cndmask_b32_e32 v32, v32, v34, vcc
	v_mov_b32_e32 v34, 0x78
	v_or_b32_e32 v33, 0x800000, v22
	v_cndmask_b32_e32 v29, v29, v34, vcc
	v_cndmask_b32_e32 v22, v33, v22, vcc
	v_add_u32_e32 v33, 20, v29
	v_lshlrev_b64 v[38:39], v33, -1
	v_not_b32_e32 v33, v39
	v_not_b32_e32 v34, v38
	v_and_b32_e32 v39, 0, v33
	v_and_b32_e32 v38, v22, v34
	v_add_u32_e32 v33, 19, v29
	v_lshrrev_b64 v[22:23], v29, v[22:23]
	v_lshlrev_b64 v[50:51], v33, 1
	v_lshrrev_b32_e32 v33, 23, v22
	v_cmp_eq_u64_e32 vcc, v[38:39], v[50:51]
	v_add3_u32 v39, v29, v32, v33
	v_bfe_u32 v29, v22, 20, 1
	v_add_u32_e32 v29, -1, v29
	v_cndmask_b32_e32 v29, 0, v29, vcc
	v_add_u32_e32 v29, v29, v22
	v_and_b32_e32 v29, 0xfffff, v29
	v_add_co_u32_e32 v22, vcc, v29, v22
	v_add_u32_e32 v38, 6, v39
	v_addc_co_u32_e32 v23, vcc, 0, v23, vcc
	v_cmp_ne_u32_e32 vcc, 0, v38
                                        ; implicit-def: $vgpr29
	s_and_saveexec_b64 s[30:31], vcc
	s_xor_b64 s[30:31], exec, s[30:31]
; %bb.3126:                             ;   in Loop: Header=BB6_3014 Depth=3
	v_cmp_lt_u64_e32 vcc, s[56:57], v[22:23]
	v_add_u32_e32 v29, 7, v39
	v_cndmask_b32_e64 v32, 0, 1, vcc
	v_cndmask_b32_e32 v29, v38, v29, vcc
	v_lshrrev_b64 v[22:23], v32, v[22:23]
; %bb.3127:                             ;   in Loop: Header=BB6_3014 Depth=3
	s_andn2_saveexec_b64 vcc, s[30:31]
; %bb.3128:                             ;   in Loop: Header=BB6_3014 Depth=3
	v_bfe_u32 v29, v22, 23, 1
; %bb.3129:                             ;   in Loop: Header=BB6_3014 Depth=3
	s_or_b64 exec, exec, vcc
	v_lshrrev_b64 v[22:23], 20, v[22:23]
	v_cmp_gt_i32_e32 vcc, 16, v29
	v_cndmask_b32_e32 v23, 0, v23, vcc
	v_cndmask_b32_e32 v22, 7, v22, vcc
	v_cmp_eq_u64_e64 s[30:31], 0, v[22:23]
	v_min_i32_e32 v23, 15, v29
	v_cmp_eq_u32_e32 vcc, 0, v29
	v_lshlrev_b32_e32 v23, 3, v23
	v_and_or_b32 v22, v22, 7, v23
	s_and_b64 vcc, vcc, s[30:31]
	v_cndmask_b32_e64 v22, v22, 0, vcc
	v_or_b32_e32 v38, v22, v24
.LBB6_3130:                             ;   in Loop: Header=BB6_3014 Depth=3
	s_or_b64 exec, exec, s[72:73]
.LBB6_3131:                             ;   in Loop: Header=BB6_3014 Depth=3
	s_or_b64 exec, exec, s[70:71]
                                        ; implicit-def: $vgpr29
                                        ; implicit-def: $vgpr22_vgpr23
.LBB6_3132:                             ;   in Loop: Header=BB6_3014 Depth=3
	s_andn2_saveexec_b64 s[30:31], s[34:35]
; %bb.3133:                             ;   in Loop: Header=BB6_3014 Depth=3
	v_or_b32_sdwa v24, v29, s92 dst_sel:DWORD dst_unused:UNUSED_PAD src0_sel:BYTE_3 src1_sel:DWORD
	v_cmp_eq_u64_e32 vcc, 0, v[22:23]
	v_cndmask_b32_e32 v38, v24, v38, vcc
; %bb.3134:                             ;   in Loop: Header=BB6_3014 Depth=3
	s_or_b64 exec, exec, s[30:31]
	v_lshrrev_b16_e32 v22, 8, v26
	v_cmp_ne_u16_e32 vcc, 0, v22
	v_mov_b32_e32 v23, 0
	v_mov_b32_e32 v29, 0
	s_and_saveexec_b64 s[30:31], vcc
	s_cbranch_execz .LBB6_3140
; %bb.3135:                             ;   in Loop: Header=BB6_3014 Depth=3
	v_cmp_ne_u16_e32 vcc, s91, v22
	v_bfrev_b32_e32 v29, 1
	s_and_saveexec_b64 s[34:35], vcc
	s_cbranch_execz .LBB6_3139
; %bb.3136:                             ;   in Loop: Header=BB6_3014 Depth=3
	v_and_b32_e32 v24, 0x7f, v22
	v_cmp_ne_u32_e32 vcc, s92, v24
	v_mov_b32_e32 v29, 0x7f800001
	s_and_saveexec_b64 s[70:71], vcc
	s_cbranch_execz .LBB6_3138
; %bb.3137:                             ;   in Loop: Header=BB6_3014 Depth=3
	v_and_b32_e32 v29, 7, v22
	v_ffbh_u32_e32 v33, v29
	v_min_u32_e32 v33, 32, v33
	v_subrev_u32_e32 v34, 28, v33
	v_lshlrev_b64 v[50:51], v34, v[22:23]
	v_lshrrev_b32_e32 v32, 3, v24
	v_sub_u32_e32 v22, 29, v33
	v_and_b32_e32 v33, 7, v50
	v_cmp_gt_u32_e32 vcc, 8, v24
	v_cndmask_b32_e32 v22, v32, v22, vcc
	v_cndmask_b32_e32 v24, v29, v33, vcc
	v_lshlrev_b32_e32 v26, 16, v26
	v_lshlrev_b32_e32 v24, 20, v24
	v_and_b32_e32 v26, 0x80000000, v26
	v_lshl_add_u32 v22, v22, 23, v31
	v_or3_b32 v29, v26, v22, v24
.LBB6_3138:                             ;   in Loop: Header=BB6_3014 Depth=3
	s_or_b64 exec, exec, s[70:71]
.LBB6_3139:                             ;   in Loop: Header=BB6_3014 Depth=3
	s_or_b64 exec, exec, s[34:35]
.LBB6_3140:                             ;   in Loop: Header=BB6_3014 Depth=3
	s_or_b64 exec, exec, s[30:31]
	v_mov_b32_e32 v22, v9
	v_lshrrev_b16_e32 v24, 8, v22
	v_cmp_ne_u16_e32 vcc, 0, v24
	s_and_saveexec_b64 s[30:31], vcc
	s_cbranch_execz .LBB6_3146
; %bb.3141:                             ;   in Loop: Header=BB6_3014 Depth=3
	v_cmp_ne_u16_e32 vcc, s91, v24
	v_bfrev_b32_e32 v23, 1
	s_and_saveexec_b64 s[34:35], vcc
	s_cbranch_execz .LBB6_3145
; %bb.3142:                             ;   in Loop: Header=BB6_3014 Depth=3
	v_and_b32_e32 v26, 0x7f, v24
	v_cmp_ne_u32_e32 vcc, s92, v26
	v_mov_b32_e32 v23, 0x7f800001
	s_and_saveexec_b64 s[70:71], vcc
	s_cbranch_execz .LBB6_3144
; %bb.3143:                             ;   in Loop: Header=BB6_3014 Depth=3
	v_and_b32_e32 v23, 7, v24
	v_ffbh_u32_e32 v33, v23
	v_min_u32_e32 v33, 32, v33
	v_subrev_u32_e32 v34, 28, v33
	v_lshlrev_b64 v[50:51], v34, v[24:25]
	v_lshrrev_b32_e32 v32, 3, v26
	v_sub_u32_e32 v24, 29, v33
	v_and_b32_e32 v33, 7, v50
	v_cmp_gt_u32_e32 vcc, 8, v26
	v_cndmask_b32_e32 v24, v32, v24, vcc
	v_cndmask_b32_e32 v23, v23, v33, vcc
	v_lshlrev_b32_e32 v22, 16, v22
	v_lshlrev_b32_e32 v23, 20, v23
	v_and_b32_e32 v22, 0x80000000, v22
	v_lshl_add_u32 v24, v24, 23, v31
	v_or3_b32 v23, v22, v24, v23
.LBB6_3144:                             ;   in Loop: Header=BB6_3014 Depth=3
	s_or_b64 exec, exec, s[70:71]
.LBB6_3145:                             ;   in Loop: Header=BB6_3014 Depth=3
	s_or_b64 exec, exec, s[34:35]
.LBB6_3146:                             ;   in Loop: Header=BB6_3014 Depth=3
	s_or_b64 exec, exec, s[30:31]
	v_add_f32_e32 v22, v29, v23
	v_and_b32_sdwa v29, v22, s91 dst_sel:DWORD dst_unused:UNUSED_PAD src0_sel:BYTE_3 src1_sel:DWORD
	v_and_b32_e32 v50, 0x7f800000, v22
	v_mov_b32_e32 v51, v27
	v_and_b32_e32 v26, 0x7fffff, v22
	v_or_b32_e32 v24, 0x7e, v29
	v_cmp_ne_u64_e32 vcc, s[52:53], v[50:51]
	s_and_saveexec_b64 s[30:31], vcc
	s_xor_b64 s[34:35], exec, s[30:31]
	s_cbranch_execz .LBB6_3156
; %bb.3147:                             ;   in Loop: Header=BB6_3014 Depth=3
	v_and_b32_e32 v50, 0x7fffffff, v22
	v_mov_b32_e32 v51, v27
	v_cmp_gt_u64_e32 vcc, s[54:55], v[50:51]
	s_and_saveexec_b64 s[70:71], vcc
	s_cbranch_execz .LBB6_3155
; %bb.3148:                             ;   in Loop: Header=BB6_3014 Depth=3
	v_cmp_ne_u32_e32 vcc, 0, v22
	v_mov_b32_e32 v24, 0
	s_and_saveexec_b64 s[72:73], vcc
	s_cbranch_execz .LBB6_3154
; %bb.3149:                             ;   in Loop: Header=BB6_3014 Depth=3
	v_bfe_u32 v22, v22, 23, 8
	v_cmp_eq_u32_e32 vcc, 0, v22
	v_add_u32_e32 v23, 0xffffff81, v22
	v_cmp_gt_u32_e64 s[30:31], s93, v22
	v_sub_u32_e32 v22, 0x79, v22
	v_mov_b32_e32 v32, 0xffffff82
	v_cndmask_b32_e64 v22, 0, v22, s[30:31]
	v_cndmask_b32_e32 v32, v23, v32, vcc
	v_mov_b32_e32 v23, 0x78
	v_cndmask_b32_e32 v33, v22, v23, vcc
	v_add_u32_e32 v22, 20, v33
	v_or_b32_e32 v24, 0x800000, v26
	v_lshlrev_b64 v[22:23], v22, -1
	v_cndmask_b32_e32 v26, v24, v26, vcc
	v_not_b32_e32 v23, v23
	v_not_b32_e32 v22, v22
	v_add_u32_e32 v24, 19, v33
	v_and_b32_e32 v23, 0, v23
	v_and_b32_e32 v22, v26, v22
	v_lshlrev_b64 v[50:51], v24, 1
	v_cmp_eq_u64_e32 vcc, v[22:23], v[50:51]
	v_lshrrev_b64 v[22:23], v33, v[26:27]
	v_lshrrev_b32_e32 v24, 23, v22
	v_add3_u32 v39, v33, v32, v24
	v_bfe_u32 v24, v22, 20, 1
	v_add_u32_e32 v24, -1, v24
	v_cndmask_b32_e32 v24, 0, v24, vcc
	v_add_u32_e32 v24, v24, v22
	v_and_b32_e32 v24, 0xfffff, v24
	v_add_co_u32_e32 v22, vcc, v24, v22
	v_add_u32_e32 v26, 6, v39
	v_addc_co_u32_e32 v23, vcc, 0, v23, vcc
	v_cmp_ne_u32_e32 vcc, 0, v26
                                        ; implicit-def: $vgpr24
	s_and_saveexec_b64 s[30:31], vcc
	s_xor_b64 s[30:31], exec, s[30:31]
; %bb.3150:                             ;   in Loop: Header=BB6_3014 Depth=3
	v_add_u32_e32 v24, 7, v39
	v_cmp_lt_u64_e32 vcc, s[56:57], v[22:23]
	v_cndmask_b32_e32 v24, v26, v24, vcc
	v_cndmask_b32_e64 v26, 0, 1, vcc
	v_lshrrev_b64 v[22:23], v26, v[22:23]
; %bb.3151:                             ;   in Loop: Header=BB6_3014 Depth=3
	s_andn2_saveexec_b64 vcc, s[30:31]
; %bb.3152:                             ;   in Loop: Header=BB6_3014 Depth=3
	v_bfe_u32 v24, v22, 23, 1
; %bb.3153:                             ;   in Loop: Header=BB6_3014 Depth=3
	s_or_b64 exec, exec, vcc
	v_lshrrev_b64 v[22:23], 20, v[22:23]
	v_cmp_gt_i32_e32 vcc, 16, v24
	v_cndmask_b32_e32 v23, 0, v23, vcc
	v_cndmask_b32_e32 v22, 7, v22, vcc
	v_cmp_eq_u64_e64 s[30:31], 0, v[22:23]
	v_min_i32_e32 v23, 15, v24
	v_cmp_eq_u32_e32 vcc, 0, v24
	v_lshlrev_b32_e32 v23, 3, v23
	v_and_or_b32 v22, v22, 7, v23
	s_and_b64 vcc, vcc, s[30:31]
	v_cndmask_b32_e64 v22, v22, 0, vcc
	v_or_b32_e32 v24, v22, v29
.LBB6_3154:                             ;   in Loop: Header=BB6_3014 Depth=3
	s_or_b64 exec, exec, s[72:73]
.LBB6_3155:                             ;   in Loop: Header=BB6_3014 Depth=3
	s_or_b64 exec, exec, s[70:71]
                                        ; implicit-def: $vgpr22
.LBB6_3156:                             ;   in Loop: Header=BB6_3014 Depth=3
	s_andn2_saveexec_b64 s[30:31], s[34:35]
; %bb.3157:                             ;   in Loop: Header=BB6_3014 Depth=3
	v_or_b32_sdwa v22, v22, s92 dst_sel:DWORD dst_unused:UNUSED_PAD src0_sel:BYTE_3 src1_sel:DWORD
	v_cmp_eq_u64_e32 vcc, 0, v[26:27]
	v_cndmask_b32_e32 v24, v22, v24, vcc
; %bb.3158:                             ;   in Loop: Header=BB6_3014 Depth=3
	s_or_b64 exec, exec, s[30:31]
	v_lshrrev_b32_e32 v22, 16, v13
	v_cmp_ne_u16_sdwa vcc, v22, v27 src0_sel:BYTE_0 src1_sel:DWORD
	v_mov_b32_e32 v23, 0
	v_mov_b32_e32 v26, 0
	s_and_saveexec_b64 s[30:31], vcc
	s_cbranch_execz .LBB6_3164
; %bb.3159:                             ;   in Loop: Header=BB6_3014 Depth=3
	v_cmp_ne_u16_sdwa vcc, v22, s91 src0_sel:BYTE_0 src1_sel:DWORD
	v_bfrev_b32_e32 v26, 1
	s_and_saveexec_b64 s[34:35], vcc
	s_cbranch_execz .LBB6_3163
; %bb.3160:                             ;   in Loop: Header=BB6_3014 Depth=3
	v_bfe_u32 v29, v13, 16, 7
	v_cmp_ne_u32_e32 vcc, s92, v29
	v_mov_b32_e32 v26, 0x7f800001
	s_and_saveexec_b64 s[70:71], vcc
	s_cbranch_execz .LBB6_3162
; %bb.3161:                             ;   in Loop: Header=BB6_3014 Depth=3
	v_and_b32_e32 v26, 7, v22
	v_ffbh_u32_e32 v33, v26
	v_min_u32_e32 v33, 32, v33
	v_subrev_u32_e32 v34, 28, v33
	v_lshlrev_b64 v[50:51], v34, v[22:23]
	v_lshrrev_b32_e32 v32, 3, v29
	v_sub_u32_e32 v33, 29, v33
	v_and_b32_e32 v34, 7, v50
	v_cmp_gt_u32_e32 vcc, 8, v29
	v_cndmask_b32_e32 v29, v32, v33, vcc
	v_cndmask_b32_e32 v26, v26, v34, vcc
	v_lshlrev_b32_e32 v22, 24, v22
	v_lshlrev_b32_e32 v26, 20, v26
	v_and_b32_e32 v22, 0x80000000, v22
	v_lshl_add_u32 v29, v29, 23, v31
	v_or3_b32 v26, v22, v29, v26
.LBB6_3162:                             ;   in Loop: Header=BB6_3014 Depth=3
	s_or_b64 exec, exec, s[70:71]
.LBB6_3163:                             ;   in Loop: Header=BB6_3014 Depth=3
	s_or_b64 exec, exec, s[34:35]
.LBB6_3164:                             ;   in Loop: Header=BB6_3014 Depth=3
	s_or_b64 exec, exec, s[30:31]
	v_lshrrev_b32_e32 v22, 16, v9
	v_cmp_ne_u16_sdwa vcc, v22, v27 src0_sel:BYTE_0 src1_sel:DWORD
	s_and_saveexec_b64 s[30:31], vcc
	s_cbranch_execz .LBB6_3170
; %bb.3165:                             ;   in Loop: Header=BB6_3014 Depth=3
	v_cmp_ne_u16_sdwa vcc, v22, s91 src0_sel:BYTE_0 src1_sel:DWORD
	v_bfrev_b32_e32 v23, 1
	s_and_saveexec_b64 s[34:35], vcc
	s_cbranch_execz .LBB6_3169
; %bb.3166:                             ;   in Loop: Header=BB6_3014 Depth=3
	v_bfe_u32 v29, v9, 16, 7
	v_cmp_ne_u32_e32 vcc, s92, v29
	v_mov_b32_e32 v23, 0x7f800001
	s_and_saveexec_b64 s[70:71], vcc
	s_cbranch_execz .LBB6_3168
; %bb.3167:                             ;   in Loop: Header=BB6_3014 Depth=3
	v_and_b32_e32 v32, 7, v22
	v_ffbh_u32_e32 v23, v32
	v_min_u32_e32 v34, 32, v23
	v_subrev_u32_e32 v23, 28, v34
	v_lshlrev_b64 v[22:23], v23, v[22:23]
	v_lshrrev_b32_e32 v33, 3, v29
	v_sub_u32_e32 v23, 29, v34
	v_and_b32_e32 v22, 7, v22
	v_cmp_gt_u32_e32 vcc, 8, v29
	v_cndmask_b32_e32 v23, v33, v23, vcc
	v_cndmask_b32_e32 v22, v32, v22, vcc
	v_lshlrev_b32_e32 v29, 8, v9
	v_lshlrev_b32_e32 v22, 20, v22
	v_and_b32_e32 v29, 0x80000000, v29
	v_lshl_add_u32 v23, v23, 23, v31
	v_or3_b32 v23, v29, v23, v22
.LBB6_3168:                             ;   in Loop: Header=BB6_3014 Depth=3
	s_or_b64 exec, exec, s[70:71]
.LBB6_3169:                             ;   in Loop: Header=BB6_3014 Depth=3
	s_or_b64 exec, exec, s[34:35]
.LBB6_3170:                             ;   in Loop: Header=BB6_3014 Depth=3
	s_or_b64 exec, exec, s[30:31]
	v_add_f32_e32 v23, v26, v23
	v_and_b32_sdwa v29, v23, s91 dst_sel:DWORD dst_unused:UNUSED_PAD src0_sel:BYTE_3 src1_sel:DWORD
	v_and_b32_e32 v50, 0x7f800000, v23
	v_mov_b32_e32 v51, v27
	v_and_b32_e32 v26, 0x7fffff, v23
	v_or_b32_e32 v22, 0x7e, v29
	v_cmp_ne_u64_e32 vcc, s[52:53], v[50:51]
	s_and_saveexec_b64 s[30:31], vcc
	s_xor_b64 s[34:35], exec, s[30:31]
	s_cbranch_execz .LBB6_3180
; %bb.3171:                             ;   in Loop: Header=BB6_3014 Depth=3
	v_and_b32_e32 v50, 0x7fffffff, v23
	v_mov_b32_e32 v51, v27
	v_cmp_gt_u64_e32 vcc, s[54:55], v[50:51]
	s_and_saveexec_b64 s[70:71], vcc
	s_cbranch_execz .LBB6_3179
; %bb.3172:                             ;   in Loop: Header=BB6_3014 Depth=3
	v_cmp_ne_u32_e32 vcc, 0, v23
	v_mov_b32_e32 v22, 0
	s_and_saveexec_b64 s[72:73], vcc
	s_cbranch_execz .LBB6_3178
; %bb.3173:                             ;   in Loop: Header=BB6_3014 Depth=3
	v_bfe_u32 v22, v23, 23, 8
	v_cmp_eq_u32_e32 vcc, 0, v22
	v_add_u32_e32 v23, 0xffffff81, v22
	v_cmp_gt_u32_e64 s[30:31], s93, v22
	v_sub_u32_e32 v22, 0x79, v22
	v_mov_b32_e32 v33, 0xffffff82
	v_cndmask_b32_e64 v22, 0, v22, s[30:31]
	v_cndmask_b32_e32 v33, v23, v33, vcc
	v_mov_b32_e32 v23, 0x78
	v_cndmask_b32_e32 v34, v22, v23, vcc
	v_add_u32_e32 v22, 20, v34
	v_or_b32_e32 v32, 0x800000, v26
	v_lshlrev_b64 v[22:23], v22, -1
	v_cndmask_b32_e32 v26, v32, v26, vcc
	v_not_b32_e32 v23, v23
	v_not_b32_e32 v22, v22
	v_add_u32_e32 v32, 19, v34
	v_and_b32_e32 v23, 0, v23
	v_and_b32_e32 v22, v26, v22
	v_lshlrev_b64 v[50:51], v32, 1
	v_cmp_eq_u64_e32 vcc, v[22:23], v[50:51]
	v_lshrrev_b64 v[22:23], v34, v[26:27]
	v_lshrrev_b32_e32 v26, 23, v22
	v_add3_u32 v50, v34, v33, v26
	v_bfe_u32 v26, v22, 20, 1
	v_add_u32_e32 v26, -1, v26
	v_cndmask_b32_e32 v26, 0, v26, vcc
	v_add_u32_e32 v26, v26, v22
	v_and_b32_e32 v26, 0xfffff, v26
	v_add_co_u32_e32 v22, vcc, v26, v22
	v_add_u32_e32 v39, 6, v50
	v_addc_co_u32_e32 v23, vcc, 0, v23, vcc
	v_cmp_ne_u32_e32 vcc, 0, v39
                                        ; implicit-def: $vgpr26
	s_and_saveexec_b64 s[30:31], vcc
	s_xor_b64 s[30:31], exec, s[30:31]
; %bb.3174:                             ;   in Loop: Header=BB6_3014 Depth=3
	v_cmp_lt_u64_e32 vcc, s[56:57], v[22:23]
	v_add_u32_e32 v26, 7, v50
	v_cndmask_b32_e64 v32, 0, 1, vcc
	v_cndmask_b32_e32 v26, v39, v26, vcc
	v_lshrrev_b64 v[22:23], v32, v[22:23]
; %bb.3175:                             ;   in Loop: Header=BB6_3014 Depth=3
	s_andn2_saveexec_b64 vcc, s[30:31]
; %bb.3176:                             ;   in Loop: Header=BB6_3014 Depth=3
	v_bfe_u32 v26, v22, 23, 1
; %bb.3177:                             ;   in Loop: Header=BB6_3014 Depth=3
	s_or_b64 exec, exec, vcc
	v_lshrrev_b64 v[22:23], 20, v[22:23]
	v_cmp_gt_i32_e32 vcc, 16, v26
	v_cndmask_b32_e32 v23, 0, v23, vcc
	v_cndmask_b32_e32 v22, 7, v22, vcc
	v_cmp_eq_u64_e64 s[30:31], 0, v[22:23]
	v_min_i32_e32 v23, 15, v26
	v_lshlrev_b32_e32 v23, 3, v23
	v_cmp_eq_u32_e32 vcc, 0, v26
	v_and_b32_e32 v23, 0xf8, v23
	v_and_or_b32 v22, v22, 7, v23
	s_and_b64 vcc, vcc, s[30:31]
	v_cndmask_b32_e64 v22, v22, 0, vcc
	v_or_b32_e32 v22, v22, v29
.LBB6_3178:                             ;   in Loop: Header=BB6_3014 Depth=3
	s_or_b64 exec, exec, s[72:73]
.LBB6_3179:                             ;   in Loop: Header=BB6_3014 Depth=3
	s_or_b64 exec, exec, s[70:71]
                                        ; implicit-def: $vgpr23
.LBB6_3180:                             ;   in Loop: Header=BB6_3014 Depth=3
	s_andn2_saveexec_b64 s[30:31], s[34:35]
; %bb.3181:                             ;   in Loop: Header=BB6_3014 Depth=3
	v_or_b32_sdwa v23, v23, s92 dst_sel:DWORD dst_unused:UNUSED_PAD src0_sel:BYTE_3 src1_sel:DWORD
	v_cmp_eq_u64_e32 vcc, 0, v[26:27]
	v_cndmask_b32_e32 v22, v23, v22, vcc
; %bb.3182:                             ;   in Loop: Header=BB6_3014 Depth=3
	s_or_b64 exec, exec, s[30:31]
	v_cmp_lt_u64_e32 vcc, s[42:43], v[12:13]
	v_mov_b32_e32 v23, 0
	v_mov_b32_e32 v26, 0
	s_and_saveexec_b64 s[30:31], vcc
	s_cbranch_execz .LBB6_3188
; %bb.3183:                             ;   in Loop: Header=BB6_3014 Depth=3
	v_lshrrev_b32_e32 v12, 24, v13
	v_cmp_ne_u32_e32 vcc, s91, v12
	v_bfrev_b32_e32 v26, 1
	s_and_saveexec_b64 s[34:35], vcc
	s_cbranch_execz .LBB6_3187
; %bb.3184:                             ;   in Loop: Header=BB6_3014 Depth=3
	v_bfe_u32 v13, v13, 24, 7
	v_cmp_ne_u32_e32 vcc, s92, v13
	v_mov_b32_e32 v26, 0x7f800001
	s_and_saveexec_b64 s[70:71], vcc
	s_cbranch_execz .LBB6_3186
; %bb.3185:                             ;   in Loop: Header=BB6_3014 Depth=3
	v_and_b32_e32 v26, 7, v12
	v_ffbh_u32_e32 v32, v26
	v_min_u32_e32 v32, 32, v32
	v_subrev_u32_e32 v33, 28, v32
	v_lshlrev_b64 v[50:51], v33, v[12:13]
	v_lshrrev_b32_e32 v29, 3, v13
	v_sub_u32_e32 v32, 29, v32
	v_and_b32_e32 v33, 7, v50
	v_cmp_gt_u32_e32 vcc, 8, v13
	v_cndmask_b32_e32 v13, v29, v32, vcc
	v_cndmask_b32_e32 v26, v26, v33, vcc
	v_lshlrev_b32_e32 v12, 24, v12
	v_lshlrev_b32_e32 v26, 20, v26
	v_and_b32_e32 v12, 0x80000000, v12
	v_lshl_add_u32 v13, v13, 23, v31
	v_or3_b32 v26, v12, v13, v26
.LBB6_3186:                             ;   in Loop: Header=BB6_3014 Depth=3
	s_or_b64 exec, exec, s[70:71]
.LBB6_3187:                             ;   in Loop: Header=BB6_3014 Depth=3
	s_or_b64 exec, exec, s[34:35]
.LBB6_3188:                             ;   in Loop: Header=BB6_3014 Depth=3
	s_or_b64 exec, exec, s[30:31]
	v_cmp_lt_u64_e32 vcc, s[42:43], v[8:9]
	s_and_saveexec_b64 s[30:31], vcc
	s_cbranch_execz .LBB6_3194
; %bb.3189:                             ;   in Loop: Header=BB6_3014 Depth=3
	v_lshrrev_b32_e32 v8, 24, v9
	v_cmp_ne_u32_e32 vcc, s91, v8
	v_bfrev_b32_e32 v23, 1
	s_and_saveexec_b64 s[34:35], vcc
	s_cbranch_execz .LBB6_3193
; %bb.3190:                             ;   in Loop: Header=BB6_3014 Depth=3
	v_bfe_u32 v9, v9, 24, 7
	v_cmp_ne_u32_e32 vcc, s92, v9
	v_mov_b32_e32 v23, 0x7f800001
	s_and_saveexec_b64 s[70:71], vcc
	s_cbranch_execz .LBB6_3192
; %bb.3191:                             ;   in Loop: Header=BB6_3014 Depth=3
	v_and_b32_e32 v23, 7, v8
	v_ffbh_u32_e32 v12, v23
	v_min_u32_e32 v32, 32, v12
	v_subrev_u32_e32 v12, 28, v32
	v_lshlrev_b64 v[12:13], v12, v[8:9]
	v_lshrrev_b32_e32 v29, 3, v9
	v_sub_u32_e32 v13, 29, v32
	v_and_b32_e32 v12, 7, v12
	v_cmp_gt_u32_e32 vcc, 8, v9
	v_cndmask_b32_e32 v9, v29, v13, vcc
	v_cndmask_b32_e32 v12, v23, v12, vcc
	v_lshlrev_b32_e32 v8, 24, v8
	v_lshlrev_b32_e32 v12, 20, v12
	v_and_b32_e32 v8, 0x80000000, v8
	v_lshl_add_u32 v9, v9, 23, v31
	v_or3_b32 v23, v8, v9, v12
.LBB6_3192:                             ;   in Loop: Header=BB6_3014 Depth=3
	s_or_b64 exec, exec, s[70:71]
.LBB6_3193:                             ;   in Loop: Header=BB6_3014 Depth=3
	s_or_b64 exec, exec, s[34:35]
.LBB6_3194:                             ;   in Loop: Header=BB6_3014 Depth=3
	s_or_b64 exec, exec, s[30:31]
	v_add_f32_e32 v8, v26, v23
	v_and_b32_sdwa v12, v8, s91 dst_sel:DWORD dst_unused:UNUSED_PAD src0_sel:BYTE_3 src1_sel:DWORD
	v_and_b32_e32 v50, 0x7f800000, v8
	v_mov_b32_e32 v51, v27
	v_and_b32_e32 v26, 0x7fffff, v8
	v_or_b32_e32 v13, 0x7e, v12
	v_cmp_ne_u64_e32 vcc, s[52:53], v[50:51]
	s_and_saveexec_b64 s[30:31], vcc
	s_xor_b64 s[34:35], exec, s[30:31]
	s_cbranch_execz .LBB6_3204
; %bb.3195:                             ;   in Loop: Header=BB6_3014 Depth=3
	v_and_b32_e32 v50, 0x7fffffff, v8
	v_mov_b32_e32 v51, v27
	v_cmp_gt_u64_e32 vcc, s[54:55], v[50:51]
	s_and_saveexec_b64 s[70:71], vcc
	s_cbranch_execz .LBB6_3203
; %bb.3196:                             ;   in Loop: Header=BB6_3014 Depth=3
	v_cmp_ne_u32_e32 vcc, 0, v8
	v_mov_b32_e32 v13, 0
	s_and_saveexec_b64 s[72:73], vcc
	s_cbranch_execz .LBB6_3202
; %bb.3197:                             ;   in Loop: Header=BB6_3014 Depth=3
	v_bfe_u32 v8, v8, 23, 8
	v_cmp_eq_u32_e32 vcc, 0, v8
	v_add_u32_e32 v9, 0xffffff81, v8
	v_cmp_gt_u32_e64 s[30:31], s93, v8
	v_sub_u32_e32 v8, 0x79, v8
	v_mov_b32_e32 v23, 0xffffff82
	v_cndmask_b32_e64 v8, 0, v8, s[30:31]
	v_cndmask_b32_e32 v23, v9, v23, vcc
	v_mov_b32_e32 v9, 0x78
	v_cndmask_b32_e32 v29, v8, v9, vcc
	v_add_u32_e32 v8, 20, v29
	v_or_b32_e32 v13, 0x800000, v26
	v_lshlrev_b64 v[8:9], v8, -1
	v_cndmask_b32_e32 v26, v13, v26, vcc
	v_not_b32_e32 v9, v9
	v_not_b32_e32 v8, v8
	v_add_u32_e32 v13, 19, v29
	v_and_b32_e32 v9, 0, v9
	v_and_b32_e32 v8, v26, v8
	v_lshlrev_b64 v[50:51], v13, 1
	v_cmp_eq_u64_e32 vcc, v[8:9], v[50:51]
	v_lshrrev_b64 v[8:9], v29, v[26:27]
	v_lshrrev_b32_e32 v13, 23, v8
	v_add3_u32 v26, v29, v23, v13
	v_bfe_u32 v13, v8, 20, 1
	v_add_u32_e32 v13, -1, v13
	v_cndmask_b32_e32 v13, 0, v13, vcc
	v_add_u32_e32 v13, v13, v8
	v_and_b32_e32 v13, 0xfffff, v13
	v_add_co_u32_e32 v8, vcc, v13, v8
	v_add_u32_e32 v23, 6, v26
	v_addc_co_u32_e32 v9, vcc, 0, v9, vcc
	v_cmp_ne_u32_e32 vcc, 0, v23
                                        ; implicit-def: $vgpr13
	s_and_saveexec_b64 s[30:31], vcc
	s_xor_b64 s[30:31], exec, s[30:31]
; %bb.3198:                             ;   in Loop: Header=BB6_3014 Depth=3
	v_add_u32_e32 v13, 7, v26
	v_cmp_lt_u64_e32 vcc, s[56:57], v[8:9]
	v_cndmask_b32_e32 v13, v23, v13, vcc
	v_cndmask_b32_e64 v23, 0, 1, vcc
	v_lshrrev_b64 v[8:9], v23, v[8:9]
; %bb.3199:                             ;   in Loop: Header=BB6_3014 Depth=3
	s_andn2_saveexec_b64 vcc, s[30:31]
; %bb.3200:                             ;   in Loop: Header=BB6_3014 Depth=3
	v_bfe_u32 v13, v8, 23, 1
; %bb.3201:                             ;   in Loop: Header=BB6_3014 Depth=3
	s_or_b64 exec, exec, vcc
	v_lshrrev_b64 v[8:9], 20, v[8:9]
	v_cmp_gt_i32_e32 vcc, 16, v13
	v_cndmask_b32_e32 v9, 0, v9, vcc
	v_cndmask_b32_e32 v8, 7, v8, vcc
	v_cmp_eq_u64_e64 s[30:31], 0, v[8:9]
	v_min_i32_e32 v9, 15, v13
	v_lshlrev_b32_e32 v9, 3, v9
	v_cmp_eq_u32_e32 vcc, 0, v13
	v_and_b32_e32 v9, 0xf8, v9
	v_and_or_b32 v8, v8, 7, v9
	s_and_b64 vcc, vcc, s[30:31]
	v_cndmask_b32_e64 v8, v8, 0, vcc
	v_or_b32_e32 v13, v8, v12
.LBB6_3202:                             ;   in Loop: Header=BB6_3014 Depth=3
	s_or_b64 exec, exec, s[72:73]
.LBB6_3203:                             ;   in Loop: Header=BB6_3014 Depth=3
	s_or_b64 exec, exec, s[70:71]
                                        ; implicit-def: $vgpr8
.LBB6_3204:                             ;   in Loop: Header=BB6_3014 Depth=3
	s_andn2_saveexec_b64 s[30:31], s[34:35]
; %bb.3205:                             ;   in Loop: Header=BB6_3014 Depth=3
	v_or_b32_sdwa v8, v8, s92 dst_sel:DWORD dst_unused:UNUSED_PAD src0_sel:BYTE_3 src1_sel:DWORD
	v_cmp_eq_u64_e32 vcc, 0, v[26:27]
	v_cndmask_b32_e32 v13, v8, v13, vcc
; %bb.3206:                             ;   in Loop: Header=BB6_3014 Depth=3
	s_or_b64 exec, exec, s[30:31]
	v_cmp_ne_u16_sdwa vcc, v14, v27 src0_sel:BYTE_0 src1_sel:DWORD
	v_mov_b32_e32 v8, 0
	v_mov_b32_e32 v9, 0
	s_and_saveexec_b64 s[30:31], vcc
	s_cbranch_execz .LBB6_3212
; %bb.3207:                             ;   in Loop: Header=BB6_3014 Depth=3
	v_cmp_ne_u16_sdwa vcc, v14, s91 src0_sel:BYTE_0 src1_sel:DWORD
	v_bfrev_b32_e32 v9, 1
	s_and_saveexec_b64 s[34:35], vcc
	s_cbranch_execz .LBB6_3211
; %bb.3208:                             ;   in Loop: Header=BB6_3014 Depth=3
	v_and_b32_e32 v12, 0x7f, v14
	v_cmp_ne_u32_e32 vcc, s92, v12
	v_mov_b32_e32 v9, 0x7f800001
	s_and_saveexec_b64 s[70:71], vcc
	s_cbranch_execz .LBB6_3210
; %bb.3209:                             ;   in Loop: Header=BB6_3014 Depth=3
	v_and_b32_e32 v9, 7, v14
	v_ffbh_u32_e32 v9, v9
	v_min_u32_e32 v9, 32, v9
	v_subrev_u32_e32 v26, 28, v9
	v_cmp_gt_u32_e32 vcc, 8, v12
	v_lshrrev_b32_e32 v23, 3, v12
	v_cndmask_b32_e32 v12, 0, v26, vcc
	v_sub_u32_e32 v9, 29, v9
	v_lshlrev_b64 v[50:51], v12, v[14:15]
	v_cndmask_b32_e32 v9, v23, v9, vcc
	v_lshlrev_b32_e32 v12, 20, v50
	v_lshlrev_b32_e32 v23, 24, v14
	v_and_b32_e32 v12, 0x700000, v12
	v_and_b32_e32 v23, 0x80000000, v23
	v_lshl_add_u32 v9, v9, 23, v31
	v_or3_b32 v9, v23, v9, v12
.LBB6_3210:                             ;   in Loop: Header=BB6_3014 Depth=3
	s_or_b64 exec, exec, s[70:71]
.LBB6_3211:                             ;   in Loop: Header=BB6_3014 Depth=3
	s_or_b64 exec, exec, s[34:35]
.LBB6_3212:                             ;   in Loop: Header=BB6_3014 Depth=3
	s_or_b64 exec, exec, s[30:31]
	v_cmp_ne_u16_sdwa vcc, v10, v27 src0_sel:BYTE_0 src1_sel:DWORD
	s_and_saveexec_b64 s[30:31], vcc
	s_cbranch_execz .LBB6_3218
; %bb.3213:                             ;   in Loop: Header=BB6_3014 Depth=3
	v_cmp_ne_u16_sdwa vcc, v10, s91 src0_sel:BYTE_0 src1_sel:DWORD
	v_bfrev_b32_e32 v8, 1
	s_and_saveexec_b64 s[34:35], vcc
	s_cbranch_execz .LBB6_3217
; %bb.3214:                             ;   in Loop: Header=BB6_3014 Depth=3
	v_and_b32_e32 v12, 0x7f, v10
	v_cmp_ne_u32_e32 vcc, s92, v12
	v_mov_b32_e32 v8, 0x7f800001
	s_and_saveexec_b64 s[70:71], vcc
	s_cbranch_execz .LBB6_3216
; %bb.3215:                             ;   in Loop: Header=BB6_3014 Depth=3
	v_and_b32_e32 v8, 7, v10
	v_ffbh_u32_e32 v8, v8
	v_min_u32_e32 v8, 32, v8
	v_subrev_u32_e32 v26, 28, v8
	v_cmp_gt_u32_e32 vcc, 8, v12
	v_lshrrev_b32_e32 v23, 3, v12
	v_cndmask_b32_e32 v12, 0, v26, vcc
	v_sub_u32_e32 v8, 29, v8
	v_lshlrev_b64 v[50:51], v12, v[10:11]
	v_cndmask_b32_e32 v8, v23, v8, vcc
	v_lshlrev_b32_e32 v12, 20, v50
	v_lshlrev_b32_e32 v23, 24, v10
	v_and_b32_e32 v12, 0x700000, v12
	v_and_b32_e32 v23, 0x80000000, v23
	v_lshl_add_u32 v8, v8, 23, v31
	v_or3_b32 v8, v23, v8, v12
.LBB6_3216:                             ;   in Loop: Header=BB6_3014 Depth=3
	s_or_b64 exec, exec, s[70:71]
.LBB6_3217:                             ;   in Loop: Header=BB6_3014 Depth=3
	s_or_b64 exec, exec, s[34:35]
.LBB6_3218:                             ;   in Loop: Header=BB6_3014 Depth=3
	s_or_b64 exec, exec, s[30:31]
	v_add_f32_e32 v8, v9, v8
	v_and_b32_sdwa v12, v8, s91 dst_sel:DWORD dst_unused:UNUSED_PAD src0_sel:BYTE_3 src1_sel:DWORD
	v_and_b32_e32 v50, 0x7f800000, v8
	v_mov_b32_e32 v51, v27
	v_and_b32_e32 v26, 0x7fffff, v8
	v_or_b32_e32 v23, 0x7e, v12
	v_cmp_ne_u64_e32 vcc, s[52:53], v[50:51]
	s_and_saveexec_b64 s[30:31], vcc
	s_xor_b64 s[34:35], exec, s[30:31]
	s_cbranch_execz .LBB6_3228
; %bb.3219:                             ;   in Loop: Header=BB6_3014 Depth=3
	v_and_b32_e32 v50, 0x7fffffff, v8
	v_mov_b32_e32 v51, v27
	v_cmp_gt_u64_e32 vcc, s[54:55], v[50:51]
	s_and_saveexec_b64 s[70:71], vcc
	s_cbranch_execz .LBB6_3227
; %bb.3220:                             ;   in Loop: Header=BB6_3014 Depth=3
	v_cmp_ne_u32_e32 vcc, 0, v8
	v_mov_b32_e32 v23, 0
	s_and_saveexec_b64 s[72:73], vcc
	s_cbranch_execz .LBB6_3226
; %bb.3221:                             ;   in Loop: Header=BB6_3014 Depth=3
	v_bfe_u32 v8, v8, 23, 8
	v_cmp_eq_u32_e32 vcc, 0, v8
	v_add_u32_e32 v9, 0xffffff81, v8
	v_cmp_gt_u32_e64 s[30:31], s93, v8
	v_sub_u32_e32 v8, 0x79, v8
	v_mov_b32_e32 v29, 0xffffff82
	v_cndmask_b32_e64 v8, 0, v8, s[30:31]
	v_cndmask_b32_e32 v29, v9, v29, vcc
	v_mov_b32_e32 v9, 0x78
	v_cndmask_b32_e32 v32, v8, v9, vcc
	v_add_u32_e32 v8, 20, v32
	v_or_b32_e32 v23, 0x800000, v26
	v_lshlrev_b64 v[8:9], v8, -1
	v_cndmask_b32_e32 v26, v23, v26, vcc
	v_not_b32_e32 v9, v9
	v_not_b32_e32 v8, v8
	v_add_u32_e32 v23, 19, v32
	v_and_b32_e32 v9, 0, v9
	v_and_b32_e32 v8, v26, v8
	v_lshlrev_b64 v[50:51], v23, 1
	v_cmp_eq_u64_e32 vcc, v[8:9], v[50:51]
	v_lshrrev_b64 v[8:9], v32, v[26:27]
	v_lshrrev_b32_e32 v23, 23, v8
	v_add3_u32 v29, v32, v29, v23
	v_bfe_u32 v23, v8, 20, 1
	v_add_u32_e32 v23, -1, v23
	v_cndmask_b32_e32 v23, 0, v23, vcc
	v_add_u32_e32 v23, v23, v8
	v_and_b32_e32 v23, 0xfffff, v23
	v_add_co_u32_e32 v8, vcc, v23, v8
	v_add_u32_e32 v26, 6, v29
	v_addc_co_u32_e32 v9, vcc, 0, v9, vcc
	v_cmp_ne_u32_e32 vcc, 0, v26
                                        ; implicit-def: $vgpr23
	s_and_saveexec_b64 s[30:31], vcc
	s_xor_b64 s[30:31], exec, s[30:31]
; %bb.3222:                             ;   in Loop: Header=BB6_3014 Depth=3
	v_add_u32_e32 v23, 7, v29
	v_cmp_lt_u64_e32 vcc, s[56:57], v[8:9]
	v_cndmask_b32_e32 v23, v26, v23, vcc
	v_cndmask_b32_e64 v26, 0, 1, vcc
	v_lshrrev_b64 v[8:9], v26, v[8:9]
; %bb.3223:                             ;   in Loop: Header=BB6_3014 Depth=3
	s_andn2_saveexec_b64 vcc, s[30:31]
; %bb.3224:                             ;   in Loop: Header=BB6_3014 Depth=3
	v_bfe_u32 v23, v8, 23, 1
; %bb.3225:                             ;   in Loop: Header=BB6_3014 Depth=3
	s_or_b64 exec, exec, vcc
	v_lshrrev_b64 v[8:9], 20, v[8:9]
	v_cmp_gt_i32_e32 vcc, 16, v23
	v_cndmask_b32_e32 v9, 0, v9, vcc
	v_cndmask_b32_e32 v8, 7, v8, vcc
	v_cmp_eq_u64_e64 s[30:31], 0, v[8:9]
	v_min_i32_e32 v9, 15, v23
	v_cmp_eq_u32_e32 vcc, 0, v23
	v_lshlrev_b32_e32 v9, 3, v9
	v_and_or_b32 v8, v8, 7, v9
	s_and_b64 vcc, vcc, s[30:31]
	v_cndmask_b32_e64 v8, v8, 0, vcc
	v_or_b32_e32 v23, v8, v12
.LBB6_3226:                             ;   in Loop: Header=BB6_3014 Depth=3
	s_or_b64 exec, exec, s[72:73]
.LBB6_3227:                             ;   in Loop: Header=BB6_3014 Depth=3
	s_or_b64 exec, exec, s[70:71]
                                        ; implicit-def: $vgpr8
.LBB6_3228:                             ;   in Loop: Header=BB6_3014 Depth=3
	s_andn2_saveexec_b64 s[30:31], s[34:35]
; %bb.3229:                             ;   in Loop: Header=BB6_3014 Depth=3
	v_or_b32_sdwa v8, v8, s92 dst_sel:DWORD dst_unused:UNUSED_PAD src0_sel:BYTE_3 src1_sel:DWORD
	v_cmp_eq_u64_e32 vcc, 0, v[26:27]
	v_cndmask_b32_e32 v23, v8, v23, vcc
; %bb.3230:                             ;   in Loop: Header=BB6_3014 Depth=3
	s_or_b64 exec, exec, s[30:31]
	v_lshrrev_b16_e32 v8, 8, v14
	v_cmp_ne_u16_e32 vcc, 0, v8
	v_mov_b32_e32 v9, 0
	v_mov_b32_e32 v12, 0
	s_and_saveexec_b64 s[30:31], vcc
	s_cbranch_execz .LBB6_3236
; %bb.3231:                             ;   in Loop: Header=BB6_3014 Depth=3
	v_cmp_ne_u16_e32 vcc, s91, v8
	v_bfrev_b32_e32 v12, 1
	s_and_saveexec_b64 s[34:35], vcc
	s_cbranch_execz .LBB6_3235
; %bb.3232:                             ;   in Loop: Header=BB6_3014 Depth=3
	v_and_b32_e32 v26, 0x7f, v8
	v_cmp_ne_u32_e32 vcc, s92, v26
	v_mov_b32_e32 v12, 0x7f800001
	s_and_saveexec_b64 s[70:71], vcc
	s_cbranch_execz .LBB6_3234
; %bb.3233:                             ;   in Loop: Header=BB6_3014 Depth=3
	v_and_b32_e32 v12, 7, v8
	v_ffbh_u32_e32 v32, v12
	v_min_u32_e32 v32, 32, v32
	v_subrev_u32_e32 v33, 28, v32
	v_lshlrev_b64 v[50:51], v33, v[8:9]
	v_lshrrev_b32_e32 v29, 3, v26
	v_sub_u32_e32 v8, 29, v32
	v_and_b32_e32 v32, 7, v50
	v_cmp_gt_u32_e32 vcc, 8, v26
	v_cndmask_b32_e32 v8, v29, v8, vcc
	v_cndmask_b32_e32 v12, v12, v32, vcc
	v_lshlrev_b32_e32 v26, 16, v14
	v_lshlrev_b32_e32 v12, 20, v12
	v_and_b32_e32 v26, 0x80000000, v26
	v_lshl_add_u32 v8, v8, 23, v31
	v_or3_b32 v12, v26, v8, v12
.LBB6_3234:                             ;   in Loop: Header=BB6_3014 Depth=3
	s_or_b64 exec, exec, s[70:71]
.LBB6_3235:                             ;   in Loop: Header=BB6_3014 Depth=3
	s_or_b64 exec, exec, s[34:35]
.LBB6_3236:                             ;   in Loop: Header=BB6_3014 Depth=3
	s_or_b64 exec, exec, s[30:31]
	v_lshrrev_b16_e32 v8, 8, v10
	v_cmp_ne_u16_e32 vcc, 0, v8
	s_and_saveexec_b64 s[30:31], vcc
	s_cbranch_execz .LBB6_3242
; %bb.3237:                             ;   in Loop: Header=BB6_3014 Depth=3
	v_cmp_ne_u16_e32 vcc, s91, v8
	v_bfrev_b32_e32 v9, 1
	s_and_saveexec_b64 s[34:35], vcc
	s_cbranch_execz .LBB6_3241
; %bb.3238:                             ;   in Loop: Header=BB6_3014 Depth=3
	v_and_b32_e32 v26, 0x7f, v8
	v_cmp_ne_u32_e32 vcc, s92, v26
	v_mov_b32_e32 v9, 0x7f800001
	s_and_saveexec_b64 s[70:71], vcc
	s_cbranch_execz .LBB6_3240
; %bb.3239:                             ;   in Loop: Header=BB6_3014 Depth=3
	v_and_b32_e32 v29, 7, v8
	v_ffbh_u32_e32 v9, v29
	v_min_u32_e32 v33, 32, v9
	v_subrev_u32_e32 v9, 28, v33
	v_lshlrev_b64 v[8:9], v9, v[8:9]
	v_lshrrev_b32_e32 v32, 3, v26
	v_sub_u32_e32 v9, 29, v33
	v_and_b32_e32 v8, 7, v8
	v_cmp_gt_u32_e32 vcc, 8, v26
	v_cndmask_b32_e32 v9, v32, v9, vcc
	v_cndmask_b32_e32 v8, v29, v8, vcc
	v_lshlrev_b32_e32 v26, 16, v10
	v_lshlrev_b32_e32 v8, 20, v8
	v_and_b32_e32 v26, 0x80000000, v26
	v_lshl_add_u32 v9, v9, 23, v31
	v_or3_b32 v9, v26, v9, v8
.LBB6_3240:                             ;   in Loop: Header=BB6_3014 Depth=3
	s_or_b64 exec, exec, s[70:71]
.LBB6_3241:                             ;   in Loop: Header=BB6_3014 Depth=3
	s_or_b64 exec, exec, s[34:35]
.LBB6_3242:                             ;   in Loop: Header=BB6_3014 Depth=3
	s_or_b64 exec, exec, s[30:31]
	v_add_f32_e32 v8, v12, v9
	v_and_b32_sdwa v12, v8, s91 dst_sel:DWORD dst_unused:UNUSED_PAD src0_sel:BYTE_3 src1_sel:DWORD
	v_and_b32_e32 v50, 0x7f800000, v8
	v_mov_b32_e32 v51, v27
	v_and_b32_e32 v26, 0x7fffff, v8
	v_or_b32_e32 v39, 0x7e, v12
	v_cmp_ne_u64_e32 vcc, s[52:53], v[50:51]
	s_and_saveexec_b64 s[30:31], vcc
	s_xor_b64 s[34:35], exec, s[30:31]
	s_cbranch_execz .LBB6_3252
; %bb.3243:                             ;   in Loop: Header=BB6_3014 Depth=3
	v_and_b32_e32 v50, 0x7fffffff, v8
	v_mov_b32_e32 v51, v27
	v_cmp_gt_u64_e32 vcc, s[54:55], v[50:51]
	s_and_saveexec_b64 s[70:71], vcc
	s_cbranch_execz .LBB6_3251
; %bb.3244:                             ;   in Loop: Header=BB6_3014 Depth=3
	v_cmp_ne_u32_e32 vcc, 0, v8
	v_mov_b32_e32 v39, 0
	s_and_saveexec_b64 s[72:73], vcc
	s_cbranch_execz .LBB6_3250
; %bb.3245:                             ;   in Loop: Header=BB6_3014 Depth=3
	v_bfe_u32 v8, v8, 23, 8
	v_cmp_eq_u32_e32 vcc, 0, v8
	v_add_u32_e32 v9, 0xffffff81, v8
	v_cmp_gt_u32_e64 s[30:31], s93, v8
	v_sub_u32_e32 v8, 0x79, v8
	v_mov_b32_e32 v32, 0xffffff82
	v_cndmask_b32_e64 v8, 0, v8, s[30:31]
	v_cndmask_b32_e32 v32, v9, v32, vcc
	v_mov_b32_e32 v9, 0x78
	v_cndmask_b32_e32 v33, v8, v9, vcc
	v_add_u32_e32 v8, 20, v33
	v_or_b32_e32 v29, 0x800000, v26
	v_lshlrev_b64 v[8:9], v8, -1
	v_cndmask_b32_e32 v26, v29, v26, vcc
	v_not_b32_e32 v9, v9
	v_not_b32_e32 v8, v8
	v_add_u32_e32 v29, 19, v33
	v_and_b32_e32 v9, 0, v9
	v_and_b32_e32 v8, v26, v8
	v_lshlrev_b64 v[50:51], v29, 1
	v_cmp_eq_u64_e32 vcc, v[8:9], v[50:51]
	v_lshrrev_b64 v[8:9], v33, v[26:27]
	v_lshrrev_b32_e32 v26, 23, v8
	v_add3_u32 v39, v33, v32, v26
	v_bfe_u32 v26, v8, 20, 1
	v_add_u32_e32 v26, -1, v26
	v_cndmask_b32_e32 v26, 0, v26, vcc
	v_add_u32_e32 v26, v26, v8
	v_and_b32_e32 v26, 0xfffff, v26
	v_add_co_u32_e32 v8, vcc, v26, v8
	v_add_u32_e32 v29, 6, v39
	v_addc_co_u32_e32 v9, vcc, 0, v9, vcc
	v_cmp_ne_u32_e32 vcc, 0, v29
                                        ; implicit-def: $vgpr26
	s_and_saveexec_b64 s[30:31], vcc
	s_xor_b64 s[30:31], exec, s[30:31]
; %bb.3246:                             ;   in Loop: Header=BB6_3014 Depth=3
	v_add_u32_e32 v26, 7, v39
	v_cmp_lt_u64_e32 vcc, s[56:57], v[8:9]
	v_cndmask_b32_e32 v26, v29, v26, vcc
	v_cndmask_b32_e64 v29, 0, 1, vcc
	v_lshrrev_b64 v[8:9], v29, v[8:9]
; %bb.3247:                             ;   in Loop: Header=BB6_3014 Depth=3
	s_andn2_saveexec_b64 vcc, s[30:31]
; %bb.3248:                             ;   in Loop: Header=BB6_3014 Depth=3
	v_bfe_u32 v26, v8, 23, 1
; %bb.3249:                             ;   in Loop: Header=BB6_3014 Depth=3
	s_or_b64 exec, exec, vcc
	v_lshrrev_b64 v[8:9], 20, v[8:9]
	v_cmp_gt_i32_e32 vcc, 16, v26
	v_cndmask_b32_e32 v9, 0, v9, vcc
	v_cndmask_b32_e32 v8, 7, v8, vcc
	v_cmp_eq_u64_e64 s[30:31], 0, v[8:9]
	v_min_i32_e32 v9, 15, v26
	v_cmp_eq_u32_e32 vcc, 0, v26
	v_lshlrev_b32_e32 v9, 3, v9
	v_and_or_b32 v8, v8, 7, v9
	s_and_b64 vcc, vcc, s[30:31]
	v_cndmask_b32_e64 v8, v8, 0, vcc
	v_or_b32_e32 v39, v8, v12
.LBB6_3250:                             ;   in Loop: Header=BB6_3014 Depth=3
	s_or_b64 exec, exec, s[72:73]
.LBB6_3251:                             ;   in Loop: Header=BB6_3014 Depth=3
	s_or_b64 exec, exec, s[70:71]
                                        ; implicit-def: $vgpr8
.LBB6_3252:                             ;   in Loop: Header=BB6_3014 Depth=3
	s_andn2_saveexec_b64 s[30:31], s[34:35]
; %bb.3253:                             ;   in Loop: Header=BB6_3014 Depth=3
	v_or_b32_sdwa v8, v8, s92 dst_sel:DWORD dst_unused:UNUSED_PAD src0_sel:BYTE_3 src1_sel:DWORD
	v_cmp_eq_u64_e32 vcc, 0, v[26:27]
	v_cndmask_b32_e32 v39, v8, v39, vcc
; %bb.3254:                             ;   in Loop: Header=BB6_3014 Depth=3
	s_or_b64 exec, exec, s[30:31]
	v_lshrrev_b32_e32 v8, 16, v14
	v_cmp_ne_u16_sdwa vcc, v8, v27 src0_sel:BYTE_0 src1_sel:DWORD
	v_mov_b32_e32 v9, 0
	v_mov_b32_e32 v12, 0
	s_and_saveexec_b64 s[30:31], vcc
	s_cbranch_execz .LBB6_3260
; %bb.3255:                             ;   in Loop: Header=BB6_3014 Depth=3
	v_cmp_ne_u16_sdwa vcc, v8, s91 src0_sel:BYTE_0 src1_sel:DWORD
	v_bfrev_b32_e32 v12, 1
	s_and_saveexec_b64 s[34:35], vcc
	s_cbranch_execz .LBB6_3259
; %bb.3256:                             ;   in Loop: Header=BB6_3014 Depth=3
	v_bfe_u32 v26, v14, 16, 7
	v_cmp_ne_u32_e32 vcc, s92, v26
	v_mov_b32_e32 v12, 0x7f800001
	s_and_saveexec_b64 s[70:71], vcc
	s_cbranch_execz .LBB6_3258
; %bb.3257:                             ;   in Loop: Header=BB6_3014 Depth=3
	v_and_b32_e32 v12, 7, v8
	v_ffbh_u32_e32 v32, v12
	v_min_u32_e32 v32, 32, v32
	v_subrev_u32_e32 v33, 28, v32
	v_lshlrev_b64 v[50:51], v33, v[8:9]
	v_lshrrev_b32_e32 v29, 3, v26
	v_sub_u32_e32 v32, 29, v32
	v_and_b32_e32 v33, 7, v50
	v_cmp_gt_u32_e32 vcc, 8, v26
	v_cndmask_b32_e32 v26, v29, v32, vcc
	v_cndmask_b32_e32 v12, v12, v33, vcc
	v_lshlrev_b32_e32 v8, 24, v8
	v_lshlrev_b32_e32 v12, 20, v12
	v_and_b32_e32 v8, 0x80000000, v8
	v_lshl_add_u32 v26, v26, 23, v31
	v_or3_b32 v12, v8, v26, v12
.LBB6_3258:                             ;   in Loop: Header=BB6_3014 Depth=3
	s_or_b64 exec, exec, s[70:71]
.LBB6_3259:                             ;   in Loop: Header=BB6_3014 Depth=3
	s_or_b64 exec, exec, s[34:35]
.LBB6_3260:                             ;   in Loop: Header=BB6_3014 Depth=3
	s_or_b64 exec, exec, s[30:31]
	v_lshrrev_b32_e32 v8, 16, v10
	v_cmp_ne_u16_sdwa vcc, v8, v27 src0_sel:BYTE_0 src1_sel:DWORD
	s_and_saveexec_b64 s[30:31], vcc
	s_cbranch_execz .LBB6_3266
; %bb.3261:                             ;   in Loop: Header=BB6_3014 Depth=3
	v_cmp_ne_u16_sdwa vcc, v8, s91 src0_sel:BYTE_0 src1_sel:DWORD
	v_bfrev_b32_e32 v9, 1
	s_and_saveexec_b64 s[34:35], vcc
	s_cbranch_execz .LBB6_3265
; %bb.3262:                             ;   in Loop: Header=BB6_3014 Depth=3
	v_bfe_u32 v26, v10, 16, 7
	v_cmp_ne_u32_e32 vcc, s92, v26
	v_mov_b32_e32 v9, 0x7f800001
	s_and_saveexec_b64 s[70:71], vcc
	s_cbranch_execz .LBB6_3264
; %bb.3263:                             ;   in Loop: Header=BB6_3014 Depth=3
	v_and_b32_e32 v29, 7, v8
	v_ffbh_u32_e32 v9, v29
	v_min_u32_e32 v33, 32, v9
	v_subrev_u32_e32 v9, 28, v33
	v_lshlrev_b64 v[8:9], v9, v[8:9]
	v_lshrrev_b32_e32 v32, 3, v26
	v_sub_u32_e32 v9, 29, v33
	v_and_b32_e32 v8, 7, v8
	v_cmp_gt_u32_e32 vcc, 8, v26
	v_cndmask_b32_e32 v9, v32, v9, vcc
	v_cndmask_b32_e32 v8, v29, v8, vcc
	v_lshlrev_b32_e32 v26, 8, v10
	v_lshlrev_b32_e32 v8, 20, v8
	v_and_b32_e32 v26, 0x80000000, v26
	v_lshl_add_u32 v9, v9, 23, v31
	v_or3_b32 v9, v26, v9, v8
.LBB6_3264:                             ;   in Loop: Header=BB6_3014 Depth=3
	s_or_b64 exec, exec, s[70:71]
.LBB6_3265:                             ;   in Loop: Header=BB6_3014 Depth=3
	s_or_b64 exec, exec, s[34:35]
.LBB6_3266:                             ;   in Loop: Header=BB6_3014 Depth=3
	s_or_b64 exec, exec, s[30:31]
	v_add_f32_e32 v8, v12, v9
	v_and_b32_sdwa v12, v8, s91 dst_sel:DWORD dst_unused:UNUSED_PAD src0_sel:BYTE_3 src1_sel:DWORD
	v_and_b32_e32 v50, 0x7f800000, v8
	v_mov_b32_e32 v51, v27
	v_and_b32_e32 v26, 0x7fffff, v8
	v_or_b32_e32 v52, 0x7e, v12
	v_cmp_ne_u64_e32 vcc, s[52:53], v[50:51]
	s_and_saveexec_b64 s[30:31], vcc
	s_xor_b64 s[34:35], exec, s[30:31]
	s_cbranch_execz .LBB6_3276
; %bb.3267:                             ;   in Loop: Header=BB6_3014 Depth=3
	v_and_b32_e32 v50, 0x7fffffff, v8
	v_mov_b32_e32 v51, v27
	v_cmp_gt_u64_e32 vcc, s[54:55], v[50:51]
	s_and_saveexec_b64 s[70:71], vcc
	s_cbranch_execz .LBB6_3275
; %bb.3268:                             ;   in Loop: Header=BB6_3014 Depth=3
	v_cmp_ne_u32_e32 vcc, 0, v8
	v_mov_b32_e32 v52, 0
	s_and_saveexec_b64 s[72:73], vcc
	s_cbranch_execz .LBB6_3274
; %bb.3269:                             ;   in Loop: Header=BB6_3014 Depth=3
	v_bfe_u32 v8, v8, 23, 8
	v_cmp_eq_u32_e32 vcc, 0, v8
	v_add_u32_e32 v9, 0xffffff81, v8
	v_cmp_gt_u32_e64 s[30:31], s93, v8
	v_sub_u32_e32 v8, 0x79, v8
	v_mov_b32_e32 v32, 0xffffff82
	v_cndmask_b32_e64 v8, 0, v8, s[30:31]
	v_cndmask_b32_e32 v32, v9, v32, vcc
	v_mov_b32_e32 v9, 0x78
	v_cndmask_b32_e32 v33, v8, v9, vcc
	v_add_u32_e32 v8, 20, v33
	v_or_b32_e32 v29, 0x800000, v26
	v_lshlrev_b64 v[8:9], v8, -1
	v_cndmask_b32_e32 v26, v29, v26, vcc
	v_not_b32_e32 v9, v9
	v_not_b32_e32 v8, v8
	v_add_u32_e32 v29, 19, v33
	v_and_b32_e32 v9, 0, v9
	v_and_b32_e32 v8, v26, v8
	v_lshlrev_b64 v[50:51], v29, 1
	v_cmp_eq_u64_e32 vcc, v[8:9], v[50:51]
	v_lshrrev_b64 v[8:9], v33, v[26:27]
	v_lshrrev_b32_e32 v26, 23, v8
	v_add3_u32 v50, v33, v32, v26
	v_bfe_u32 v26, v8, 20, 1
	v_add_u32_e32 v26, -1, v26
	v_cndmask_b32_e32 v26, 0, v26, vcc
	v_add_u32_e32 v26, v26, v8
	v_and_b32_e32 v26, 0xfffff, v26
	v_add_co_u32_e32 v8, vcc, v26, v8
	v_add_u32_e32 v29, 6, v50
	v_addc_co_u32_e32 v9, vcc, 0, v9, vcc
	v_cmp_ne_u32_e32 vcc, 0, v29
                                        ; implicit-def: $vgpr26
	s_and_saveexec_b64 s[30:31], vcc
	s_xor_b64 s[30:31], exec, s[30:31]
; %bb.3270:                             ;   in Loop: Header=BB6_3014 Depth=3
	v_add_u32_e32 v26, 7, v50
	v_cmp_lt_u64_e32 vcc, s[56:57], v[8:9]
	v_cndmask_b32_e32 v26, v29, v26, vcc
	v_cndmask_b32_e64 v29, 0, 1, vcc
	v_lshrrev_b64 v[8:9], v29, v[8:9]
; %bb.3271:                             ;   in Loop: Header=BB6_3014 Depth=3
	s_andn2_saveexec_b64 vcc, s[30:31]
; %bb.3272:                             ;   in Loop: Header=BB6_3014 Depth=3
	v_bfe_u32 v26, v8, 23, 1
; %bb.3273:                             ;   in Loop: Header=BB6_3014 Depth=3
	s_or_b64 exec, exec, vcc
	v_lshrrev_b64 v[8:9], 20, v[8:9]
	v_cmp_gt_i32_e32 vcc, 16, v26
	v_cndmask_b32_e32 v9, 0, v9, vcc
	v_cndmask_b32_e32 v8, 7, v8, vcc
	v_cmp_eq_u64_e64 s[30:31], 0, v[8:9]
	v_min_i32_e32 v9, 15, v26
	v_cmp_eq_u32_e32 vcc, 0, v26
	v_lshlrev_b32_e32 v9, 3, v9
	v_and_or_b32 v8, v8, 7, v9
	s_and_b64 vcc, vcc, s[30:31]
	v_cndmask_b32_e64 v8, v8, 0, vcc
	v_or_b32_e32 v52, v8, v12
.LBB6_3274:                             ;   in Loop: Header=BB6_3014 Depth=3
	s_or_b64 exec, exec, s[72:73]
.LBB6_3275:                             ;   in Loop: Header=BB6_3014 Depth=3
	s_or_b64 exec, exec, s[70:71]
                                        ; implicit-def: $vgpr8
.LBB6_3276:                             ;   in Loop: Header=BB6_3014 Depth=3
	s_andn2_saveexec_b64 s[30:31], s[34:35]
; %bb.3277:                             ;   in Loop: Header=BB6_3014 Depth=3
	v_or_b32_sdwa v8, v8, s92 dst_sel:DWORD dst_unused:UNUSED_PAD src0_sel:BYTE_3 src1_sel:DWORD
	v_cmp_eq_u64_e32 vcc, 0, v[26:27]
	v_cndmask_b32_e32 v52, v8, v52, vcc
; %bb.3278:                             ;   in Loop: Header=BB6_3014 Depth=3
	s_or_b64 exec, exec, s[30:31]
	v_cmp_lt_u32_e32 vcc, s43, v14
	v_mov_b32_e32 v9, 0
	v_mov_b32_e32 v12, 0
	s_and_saveexec_b64 s[30:31], vcc
	s_cbranch_execz .LBB6_3284
; %bb.3279:                             ;   in Loop: Header=BB6_3014 Depth=3
	v_lshrrev_b32_e32 v8, 24, v14
	v_cmp_ne_u32_e32 vcc, s91, v8
	v_bfrev_b32_e32 v12, 1
	s_and_saveexec_b64 s[34:35], vcc
	s_cbranch_execz .LBB6_3283
; %bb.3280:                             ;   in Loop: Header=BB6_3014 Depth=3
	v_bfe_u32 v26, v14, 24, 7
	v_cmp_ne_u32_e32 vcc, s92, v26
	v_mov_b32_e32 v12, 0x7f800001
	s_and_saveexec_b64 s[70:71], vcc
	s_cbranch_execz .LBB6_3282
; %bb.3281:                             ;   in Loop: Header=BB6_3014 Depth=3
	v_and_b32_e32 v12, 7, v8
	v_ffbh_u32_e32 v32, v12
	v_min_u32_e32 v32, 32, v32
	v_subrev_u32_e32 v33, 28, v32
	v_lshlrev_b64 v[50:51], v33, v[8:9]
	v_lshrrev_b32_e32 v29, 3, v26
	v_sub_u32_e32 v32, 29, v32
	v_and_b32_e32 v33, 7, v50
	v_cmp_gt_u32_e32 vcc, 8, v26
	v_cndmask_b32_e32 v26, v29, v32, vcc
	v_cndmask_b32_e32 v12, v12, v33, vcc
	v_lshlrev_b32_e32 v8, 24, v8
	v_lshlrev_b32_e32 v12, 20, v12
	v_and_b32_e32 v8, 0x80000000, v8
	v_lshl_add_u32 v26, v26, 23, v31
	v_or3_b32 v12, v8, v26, v12
.LBB6_3282:                             ;   in Loop: Header=BB6_3014 Depth=3
	s_or_b64 exec, exec, s[70:71]
.LBB6_3283:                             ;   in Loop: Header=BB6_3014 Depth=3
	s_or_b64 exec, exec, s[34:35]
.LBB6_3284:                             ;   in Loop: Header=BB6_3014 Depth=3
	s_or_b64 exec, exec, s[30:31]
	v_cmp_lt_u32_e32 vcc, s43, v10
	s_and_saveexec_b64 s[30:31], vcc
	s_cbranch_execz .LBB6_3290
; %bb.3285:                             ;   in Loop: Header=BB6_3014 Depth=3
	v_lshrrev_b32_e32 v8, 24, v10
	v_cmp_ne_u32_e32 vcc, s91, v8
	v_bfrev_b32_e32 v9, 1
	s_and_saveexec_b64 s[34:35], vcc
	s_cbranch_execz .LBB6_3289
; %bb.3286:                             ;   in Loop: Header=BB6_3014 Depth=3
	v_bfe_u32 v26, v10, 24, 7
	v_cmp_ne_u32_e32 vcc, s92, v26
	v_mov_b32_e32 v9, 0x7f800001
	s_and_saveexec_b64 s[70:71], vcc
	s_cbranch_execz .LBB6_3288
; %bb.3287:                             ;   in Loop: Header=BB6_3014 Depth=3
	v_and_b32_e32 v9, 7, v8
	v_ffbh_u32_e32 v32, v9
	v_min_u32_e32 v32, 32, v32
	v_subrev_u32_e32 v33, 28, v32
	v_lshlrev_b64 v[50:51], v33, v[8:9]
	v_lshrrev_b32_e32 v29, 3, v26
	v_sub_u32_e32 v32, 29, v32
	v_and_b32_e32 v33, 7, v50
	v_cmp_gt_u32_e32 vcc, 8, v26
	v_cndmask_b32_e32 v26, v29, v32, vcc
	v_cndmask_b32_e32 v9, v9, v33, vcc
	v_lshlrev_b32_e32 v8, 24, v8
	v_lshlrev_b32_e32 v9, 20, v9
	v_and_b32_e32 v8, 0x80000000, v8
	v_lshl_add_u32 v26, v26, 23, v31
	v_or3_b32 v9, v8, v26, v9
.LBB6_3288:                             ;   in Loop: Header=BB6_3014 Depth=3
	s_or_b64 exec, exec, s[70:71]
.LBB6_3289:                             ;   in Loop: Header=BB6_3014 Depth=3
	s_or_b64 exec, exec, s[34:35]
.LBB6_3290:                             ;   in Loop: Header=BB6_3014 Depth=3
	s_or_b64 exec, exec, s[30:31]
	v_add_f32_e32 v8, v12, v9
	v_and_b32_sdwa v12, v8, s91 dst_sel:DWORD dst_unused:UNUSED_PAD src0_sel:BYTE_3 src1_sel:DWORD
	v_and_b32_e32 v50, 0x7f800000, v8
	v_mov_b32_e32 v51, v27
	v_and_b32_e32 v26, 0x7fffff, v8
	v_or_b32_e32 v53, 0x7e, v12
	v_cmp_ne_u64_e32 vcc, s[52:53], v[50:51]
	s_and_saveexec_b64 s[30:31], vcc
	s_xor_b64 s[34:35], exec, s[30:31]
	s_cbranch_execz .LBB6_3300
; %bb.3291:                             ;   in Loop: Header=BB6_3014 Depth=3
	v_and_b32_e32 v50, 0x7fffffff, v8
	v_mov_b32_e32 v51, v27
	v_cmp_gt_u64_e32 vcc, s[54:55], v[50:51]
	s_and_saveexec_b64 s[70:71], vcc
	s_cbranch_execz .LBB6_3299
; %bb.3292:                             ;   in Loop: Header=BB6_3014 Depth=3
	v_cmp_ne_u32_e32 vcc, 0, v8
	v_mov_b32_e32 v53, 0
	s_and_saveexec_b64 s[72:73], vcc
	s_cbranch_execz .LBB6_3298
; %bb.3293:                             ;   in Loop: Header=BB6_3014 Depth=3
	v_bfe_u32 v8, v8, 23, 8
	v_cmp_eq_u32_e32 vcc, 0, v8
	v_add_u32_e32 v9, 0xffffff81, v8
	v_cmp_gt_u32_e64 s[30:31], s93, v8
	v_sub_u32_e32 v8, 0x79, v8
	v_mov_b32_e32 v32, 0xffffff82
	v_cndmask_b32_e64 v8, 0, v8, s[30:31]
	v_cndmask_b32_e32 v32, v9, v32, vcc
	v_mov_b32_e32 v9, 0x78
	v_cndmask_b32_e32 v33, v8, v9, vcc
	v_add_u32_e32 v8, 20, v33
	v_or_b32_e32 v29, 0x800000, v26
	v_lshlrev_b64 v[8:9], v8, -1
	v_cndmask_b32_e32 v26, v29, v26, vcc
	v_not_b32_e32 v9, v9
	v_not_b32_e32 v8, v8
	v_add_u32_e32 v29, 19, v33
	v_and_b32_e32 v9, 0, v9
	v_and_b32_e32 v8, v26, v8
	v_lshlrev_b64 v[50:51], v29, 1
	v_cmp_eq_u64_e32 vcc, v[8:9], v[50:51]
	v_lshrrev_b64 v[8:9], v33, v[26:27]
	v_lshrrev_b32_e32 v26, 23, v8
	v_add3_u32 v50, v33, v32, v26
	v_bfe_u32 v26, v8, 20, 1
	v_add_u32_e32 v26, -1, v26
	v_cndmask_b32_e32 v26, 0, v26, vcc
	v_add_u32_e32 v26, v26, v8
	v_and_b32_e32 v26, 0xfffff, v26
	v_add_co_u32_e32 v8, vcc, v26, v8
	v_add_u32_e32 v29, 6, v50
	v_addc_co_u32_e32 v9, vcc, 0, v9, vcc
	v_cmp_ne_u32_e32 vcc, 0, v29
                                        ; implicit-def: $vgpr26
	s_and_saveexec_b64 s[30:31], vcc
	s_xor_b64 s[30:31], exec, s[30:31]
; %bb.3294:                             ;   in Loop: Header=BB6_3014 Depth=3
	v_add_u32_e32 v26, 7, v50
	v_cmp_lt_u64_e32 vcc, s[56:57], v[8:9]
	v_cndmask_b32_e32 v26, v29, v26, vcc
	v_cndmask_b32_e64 v29, 0, 1, vcc
	v_lshrrev_b64 v[8:9], v29, v[8:9]
; %bb.3295:                             ;   in Loop: Header=BB6_3014 Depth=3
	s_andn2_saveexec_b64 vcc, s[30:31]
; %bb.3296:                             ;   in Loop: Header=BB6_3014 Depth=3
	v_bfe_u32 v26, v8, 23, 1
; %bb.3297:                             ;   in Loop: Header=BB6_3014 Depth=3
	s_or_b64 exec, exec, vcc
	v_lshrrev_b64 v[8:9], 20, v[8:9]
	v_cmp_gt_i32_e32 vcc, 16, v26
	v_cndmask_b32_e32 v9, 0, v9, vcc
	v_cndmask_b32_e32 v8, 7, v8, vcc
	v_cmp_eq_u64_e64 s[30:31], 0, v[8:9]
	v_min_i32_e32 v9, 15, v26
	v_cmp_eq_u32_e32 vcc, 0, v26
	v_lshlrev_b32_e32 v9, 3, v9
	v_and_or_b32 v8, v8, 7, v9
	s_and_b64 vcc, vcc, s[30:31]
	v_cndmask_b32_e64 v8, v8, 0, vcc
	v_or_b32_e32 v53, v8, v12
.LBB6_3298:                             ;   in Loop: Header=BB6_3014 Depth=3
	s_or_b64 exec, exec, s[72:73]
.LBB6_3299:                             ;   in Loop: Header=BB6_3014 Depth=3
	s_or_b64 exec, exec, s[70:71]
                                        ; implicit-def: $vgpr8
.LBB6_3300:                             ;   in Loop: Header=BB6_3014 Depth=3
	s_andn2_saveexec_b64 s[30:31], s[34:35]
; %bb.3301:                             ;   in Loop: Header=BB6_3014 Depth=3
	v_or_b32_sdwa v8, v8, s92 dst_sel:DWORD dst_unused:UNUSED_PAD src0_sel:BYTE_3 src1_sel:DWORD
	v_cmp_eq_u64_e32 vcc, 0, v[26:27]
	v_cndmask_b32_e32 v53, v8, v53, vcc
; %bb.3302:                             ;   in Loop: Header=BB6_3014 Depth=3
	s_or_b64 exec, exec, s[30:31]
	v_mov_b32_e32 v26, v15
	v_cmp_ne_u16_sdwa vcc, v15, v27 src0_sel:BYTE_0 src1_sel:DWORD
	v_mov_b32_e32 v9, 0
	v_mov_b32_e32 v8, 0
	s_and_saveexec_b64 s[30:31], vcc
	s_cbranch_execz .LBB6_3308
; %bb.3303:                             ;   in Loop: Header=BB6_3014 Depth=3
	v_cmp_ne_u16_sdwa vcc, v15, s91 src0_sel:BYTE_0 src1_sel:DWORD
	v_bfrev_b32_e32 v8, 1
	s_and_saveexec_b64 s[34:35], vcc
	s_cbranch_execz .LBB6_3307
; %bb.3304:                             ;   in Loop: Header=BB6_3014 Depth=3
	v_and_b32_e32 v12, 0x7f, v15
	v_cmp_ne_u32_e32 vcc, s92, v12
	v_mov_b32_e32 v8, 0x7f800001
	s_and_saveexec_b64 s[70:71], vcc
	s_cbranch_execz .LBB6_3306
; %bb.3305:                             ;   in Loop: Header=BB6_3014 Depth=3
	v_and_b32_e32 v8, 7, v15
	v_ffbh_u32_e32 v8, v8
	v_min_u32_e32 v8, 32, v8
	v_subrev_u32_e32 v32, 28, v8
	v_cmp_gt_u32_e32 vcc, 8, v12
	v_lshrrev_b32_e32 v29, 3, v12
	v_cndmask_b32_e32 v12, 0, v32, vcc
	v_sub_u32_e32 v8, 29, v8
	v_lshlrev_b64 v[50:51], v12, v[26:27]
	v_cndmask_b32_e32 v8, v29, v8, vcc
	v_lshlrev_b32_e32 v12, 20, v50
	v_lshlrev_b32_e32 v29, 24, v26
	v_and_b32_e32 v12, 0x700000, v12
	v_and_b32_e32 v29, 0x80000000, v29
	v_lshl_add_u32 v8, v8, 23, v31
	v_or3_b32 v8, v29, v8, v12
.LBB6_3306:                             ;   in Loop: Header=BB6_3014 Depth=3
	s_or_b64 exec, exec, s[70:71]
.LBB6_3307:                             ;   in Loop: Header=BB6_3014 Depth=3
	s_or_b64 exec, exec, s[34:35]
.LBB6_3308:                             ;   in Loop: Header=BB6_3014 Depth=3
	s_or_b64 exec, exec, s[30:31]
	v_cmp_ne_u16_sdwa vcc, v11, v27 src0_sel:BYTE_0 src1_sel:DWORD
	s_and_saveexec_b64 s[30:31], vcc
	s_cbranch_execz .LBB6_3314
; %bb.3309:                             ;   in Loop: Header=BB6_3014 Depth=3
	v_cmp_ne_u16_sdwa vcc, v11, s91 src0_sel:BYTE_0 src1_sel:DWORD
	v_bfrev_b32_e32 v9, 1
	s_and_saveexec_b64 s[34:35], vcc
	s_cbranch_execz .LBB6_3313
; %bb.3310:                             ;   in Loop: Header=BB6_3014 Depth=3
	v_and_b32_e32 v12, 0x7f, v11
	v_cmp_ne_u32_e32 vcc, s92, v12
	v_mov_b32_e32 v9, 0x7f800001
	s_and_saveexec_b64 s[70:71], vcc
	s_cbranch_execz .LBB6_3312
; %bb.3311:                             ;   in Loop: Header=BB6_3014 Depth=3
	v_and_b32_e32 v9, 7, v11
	v_ffbh_u32_e32 v9, v9
	v_min_u32_e32 v9, 32, v9
	v_subrev_u32_e32 v32, 28, v9
	v_cmp_gt_u32_e32 vcc, 8, v12
	v_mov_b32_e32 v50, v11
	v_mov_b32_e32 v51, v27
	v_lshrrev_b32_e32 v29, 3, v12
	v_cndmask_b32_e32 v12, 0, v32, vcc
	v_sub_u32_e32 v9, 29, v9
	v_lshlrev_b64 v[40:41], v12, v[50:51]
	v_cndmask_b32_e32 v9, v29, v9, vcc
	v_lshlrev_b32_e32 v12, 20, v40
	v_lshlrev_b32_e32 v29, 24, v50
	v_and_b32_e32 v12, 0x700000, v12
	v_and_b32_e32 v29, 0x80000000, v29
	v_lshl_add_u32 v9, v9, 23, v31
	v_accvgpr_read_b32 v41, a44
	v_accvgpr_read_b32 v55, a43
	v_or3_b32 v9, v29, v9, v12
.LBB6_3312:                             ;   in Loop: Header=BB6_3014 Depth=3
	s_or_b64 exec, exec, s[70:71]
.LBB6_3313:                             ;   in Loop: Header=BB6_3014 Depth=3
	s_or_b64 exec, exec, s[34:35]
.LBB6_3314:                             ;   in Loop: Header=BB6_3014 Depth=3
	s_or_b64 exec, exec, s[30:31]
	v_add_f32_e32 v29, v8, v9
	v_and_b32_sdwa v12, v29, s91 dst_sel:DWORD dst_unused:UNUSED_PAD src0_sel:BYTE_3 src1_sel:DWORD
	v_and_b32_e32 v50, 0x7f800000, v29
	v_mov_b32_e32 v51, v27
	v_and_b32_e32 v8, 0x7fffff, v29
	v_mov_b32_e32 v9, v27
	v_or_b32_e32 v54, 0x7e, v12
	v_cmp_ne_u64_e32 vcc, s[52:53], v[50:51]
	s_and_saveexec_b64 s[30:31], vcc
	s_xor_b64 s[34:35], exec, s[30:31]
	s_cbranch_execz .LBB6_3324
; %bb.3315:                             ;   in Loop: Header=BB6_3014 Depth=3
	v_and_b32_e32 v50, 0x7fffffff, v29
	v_mov_b32_e32 v51, v27
	v_cmp_gt_u64_e32 vcc, s[54:55], v[50:51]
	s_and_saveexec_b64 s[70:71], vcc
	s_cbranch_execz .LBB6_3323
; %bb.3316:                             ;   in Loop: Header=BB6_3014 Depth=3
	v_cmp_ne_u32_e32 vcc, 0, v29
	v_mov_b32_e32 v54, 0
	s_and_saveexec_b64 s[72:73], vcc
	s_cbranch_execz .LBB6_3322
; %bb.3317:                             ;   in Loop: Header=BB6_3014 Depth=3
	v_bfe_u32 v29, v29, 23, 8
	v_cmp_eq_u32_e32 vcc, 0, v29
	v_add_u32_e32 v32, 0xffffff81, v29
	v_cmp_gt_u32_e64 s[30:31], s93, v29
	v_sub_u32_e32 v29, 0x79, v29
	v_mov_b32_e32 v34, 0xffffff82
	v_cndmask_b32_e64 v29, 0, v29, s[30:31]
	v_cndmask_b32_e32 v32, v32, v34, vcc
	v_mov_b32_e32 v34, 0x78
	v_or_b32_e32 v33, 0x800000, v8
	v_cndmask_b32_e32 v29, v29, v34, vcc
	v_cndmask_b32_e32 v8, v33, v8, vcc
	v_add_u32_e32 v33, 20, v29
	v_lshlrev_b64 v[50:51], v33, -1
	v_not_b32_e32 v33, v51
	v_not_b32_e32 v34, v50
	v_and_b32_e32 v51, 0, v33
	v_and_b32_e32 v50, v8, v34
	v_add_u32_e32 v33, 19, v29
	v_lshrrev_b64 v[8:9], v29, v[8:9]
	v_lshlrev_b64 v[40:41], v33, 1
	v_lshrrev_b32_e32 v33, 23, v8
	v_cmp_eq_u64_e32 vcc, v[50:51], v[40:41]
	v_add3_u32 v51, v29, v32, v33
	v_bfe_u32 v29, v8, 20, 1
	v_add_u32_e32 v29, -1, v29
	v_cndmask_b32_e32 v29, 0, v29, vcc
	v_add_u32_e32 v29, v29, v8
	v_and_b32_e32 v29, 0xfffff, v29
	v_add_co_u32_e32 v8, vcc, v29, v8
	v_add_u32_e32 v50, 6, v51
	v_addc_co_u32_e32 v9, vcc, 0, v9, vcc
	v_cmp_ne_u32_e32 vcc, 0, v50
                                        ; implicit-def: $vgpr29
	s_and_saveexec_b64 s[30:31], vcc
	s_xor_b64 s[30:31], exec, s[30:31]
; %bb.3318:                             ;   in Loop: Header=BB6_3014 Depth=3
	v_cmp_lt_u64_e32 vcc, s[56:57], v[8:9]
	v_add_u32_e32 v29, 7, v51
	v_cndmask_b32_e64 v32, 0, 1, vcc
	v_cndmask_b32_e32 v29, v50, v29, vcc
	v_lshrrev_b64 v[8:9], v32, v[8:9]
; %bb.3319:                             ;   in Loop: Header=BB6_3014 Depth=3
	s_andn2_saveexec_b64 vcc, s[30:31]
; %bb.3320:                             ;   in Loop: Header=BB6_3014 Depth=3
	v_bfe_u32 v29, v8, 23, 1
; %bb.3321:                             ;   in Loop: Header=BB6_3014 Depth=3
	s_or_b64 exec, exec, vcc
	v_lshrrev_b64 v[8:9], 20, v[8:9]
	v_cmp_gt_i32_e32 vcc, 16, v29
	v_cndmask_b32_e32 v9, 0, v9, vcc
	v_cndmask_b32_e32 v8, 7, v8, vcc
	v_cmp_eq_u64_e64 s[30:31], 0, v[8:9]
	v_min_i32_e32 v9, 15, v29
	v_cmp_eq_u32_e32 vcc, 0, v29
	v_lshlrev_b32_e32 v9, 3, v9
	v_and_or_b32 v8, v8, 7, v9
	s_and_b64 vcc, vcc, s[30:31]
	v_cndmask_b32_e64 v8, v8, 0, vcc
	v_or_b32_e32 v54, v8, v12
	v_accvgpr_read_b32 v55, a43
	v_accvgpr_read_b32 v41, a44
.LBB6_3322:                             ;   in Loop: Header=BB6_3014 Depth=3
	s_or_b64 exec, exec, s[72:73]
.LBB6_3323:                             ;   in Loop: Header=BB6_3014 Depth=3
	s_or_b64 exec, exec, s[70:71]
                                        ; implicit-def: $vgpr29
                                        ; implicit-def: $vgpr8_vgpr9
.LBB6_3324:                             ;   in Loop: Header=BB6_3014 Depth=3
	s_andn2_saveexec_b64 s[30:31], s[34:35]
; %bb.3325:                             ;   in Loop: Header=BB6_3014 Depth=3
	v_or_b32_sdwa v12, v29, s92 dst_sel:DWORD dst_unused:UNUSED_PAD src0_sel:BYTE_3 src1_sel:DWORD
	v_cmp_eq_u64_e32 vcc, 0, v[8:9]
	v_cndmask_b32_e32 v54, v12, v54, vcc
; %bb.3326:                             ;   in Loop: Header=BB6_3014 Depth=3
	s_or_b64 exec, exec, s[30:31]
	v_lshrrev_b16_e32 v8, 8, v26
	v_cmp_ne_u16_e32 vcc, 0, v8
	v_mov_b32_e32 v9, 0
	v_mov_b32_e32 v29, 0
	s_and_saveexec_b64 s[30:31], vcc
	s_cbranch_execz .LBB6_3332
; %bb.3327:                             ;   in Loop: Header=BB6_3014 Depth=3
	v_cmp_ne_u16_e32 vcc, s91, v8
	v_bfrev_b32_e32 v29, 1
	s_and_saveexec_b64 s[34:35], vcc
	s_cbranch_execz .LBB6_3331
; %bb.3328:                             ;   in Loop: Header=BB6_3014 Depth=3
	v_and_b32_e32 v12, 0x7f, v8
	v_cmp_ne_u32_e32 vcc, s92, v12
	v_mov_b32_e32 v29, 0x7f800001
	s_and_saveexec_b64 s[70:71], vcc
	s_cbranch_execz .LBB6_3330
; %bb.3329:                             ;   in Loop: Header=BB6_3014 Depth=3
	v_and_b32_e32 v29, 7, v8
	v_ffbh_u32_e32 v33, v29
	v_min_u32_e32 v33, 32, v33
	v_subrev_u32_e32 v34, 28, v33
	v_lshlrev_b64 v[50:51], v34, v[8:9]
	v_lshrrev_b32_e32 v32, 3, v12
	v_sub_u32_e32 v8, 29, v33
	v_and_b32_e32 v33, 7, v50
	v_cmp_gt_u32_e32 vcc, 8, v12
	v_cndmask_b32_e32 v8, v32, v8, vcc
	v_cndmask_b32_e32 v12, v29, v33, vcc
	v_lshlrev_b32_e32 v26, 16, v26
	v_lshlrev_b32_e32 v12, 20, v12
	v_and_b32_e32 v26, 0x80000000, v26
	v_lshl_add_u32 v8, v8, 23, v31
	v_or3_b32 v29, v26, v8, v12
.LBB6_3330:                             ;   in Loop: Header=BB6_3014 Depth=3
	s_or_b64 exec, exec, s[70:71]
.LBB6_3331:                             ;   in Loop: Header=BB6_3014 Depth=3
	s_or_b64 exec, exec, s[34:35]
.LBB6_3332:                             ;   in Loop: Header=BB6_3014 Depth=3
	s_or_b64 exec, exec, s[30:31]
	v_mov_b32_e32 v8, v11
	v_lshrrev_b16_e32 v12, 8, v8
	v_cmp_ne_u16_e32 vcc, 0, v12
	s_and_saveexec_b64 s[30:31], vcc
	s_cbranch_execz .LBB6_3338
; %bb.3333:                             ;   in Loop: Header=BB6_3014 Depth=3
	v_cmp_ne_u16_e32 vcc, s91, v12
	v_bfrev_b32_e32 v9, 1
	s_and_saveexec_b64 s[34:35], vcc
	s_cbranch_execz .LBB6_3337
; %bb.3334:                             ;   in Loop: Header=BB6_3014 Depth=3
	v_and_b32_e32 v26, 0x7f, v12
	v_cmp_ne_u32_e32 vcc, s92, v26
	v_mov_b32_e32 v9, 0x7f800001
	s_and_saveexec_b64 s[70:71], vcc
	s_cbranch_execz .LBB6_3336
; %bb.3335:                             ;   in Loop: Header=BB6_3014 Depth=3
	v_and_b32_e32 v9, 7, v12
	v_ffbh_u32_e32 v33, v9
	v_min_u32_e32 v33, 32, v33
	v_subrev_u32_e32 v34, 28, v33
	v_lshlrev_b64 v[50:51], v34, v[12:13]
	v_lshrrev_b32_e32 v32, 3, v26
	v_sub_u32_e32 v12, 29, v33
	v_and_b32_e32 v33, 7, v50
	v_cmp_gt_u32_e32 vcc, 8, v26
	v_cndmask_b32_e32 v12, v32, v12, vcc
	v_cndmask_b32_e32 v9, v9, v33, vcc
	v_lshlrev_b32_e32 v8, 16, v8
	v_lshlrev_b32_e32 v9, 20, v9
	v_and_b32_e32 v8, 0x80000000, v8
	v_lshl_add_u32 v12, v12, 23, v31
	v_or3_b32 v9, v8, v12, v9
.LBB6_3336:                             ;   in Loop: Header=BB6_3014 Depth=3
	s_or_b64 exec, exec, s[70:71]
.LBB6_3337:                             ;   in Loop: Header=BB6_3014 Depth=3
	s_or_b64 exec, exec, s[34:35]
.LBB6_3338:                             ;   in Loop: Header=BB6_3014 Depth=3
	s_or_b64 exec, exec, s[30:31]
	v_add_f32_e32 v8, v29, v9
	v_and_b32_sdwa v29, v8, s91 dst_sel:DWORD dst_unused:UNUSED_PAD src0_sel:BYTE_3 src1_sel:DWORD
	v_and_b32_e32 v50, 0x7f800000, v8
	v_mov_b32_e32 v51, v27
	v_and_b32_e32 v26, 0x7fffff, v8
	v_or_b32_e32 v12, 0x7e, v29
	v_cmp_ne_u64_e32 vcc, s[52:53], v[50:51]
	s_and_saveexec_b64 s[30:31], vcc
	s_xor_b64 s[34:35], exec, s[30:31]
	s_cbranch_execz .LBB6_3348
; %bb.3339:                             ;   in Loop: Header=BB6_3014 Depth=3
	v_and_b32_e32 v50, 0x7fffffff, v8
	v_mov_b32_e32 v51, v27
	v_cmp_gt_u64_e32 vcc, s[54:55], v[50:51]
	s_and_saveexec_b64 s[70:71], vcc
	s_cbranch_execz .LBB6_3347
; %bb.3340:                             ;   in Loop: Header=BB6_3014 Depth=3
	v_cmp_ne_u32_e32 vcc, 0, v8
	v_mov_b32_e32 v12, 0
	s_and_saveexec_b64 s[72:73], vcc
	s_cbranch_execz .LBB6_3346
; %bb.3341:                             ;   in Loop: Header=BB6_3014 Depth=3
	v_bfe_u32 v8, v8, 23, 8
	v_cmp_eq_u32_e32 vcc, 0, v8
	v_add_u32_e32 v9, 0xffffff81, v8
	v_cmp_gt_u32_e64 s[30:31], s93, v8
	v_sub_u32_e32 v8, 0x79, v8
	v_mov_b32_e32 v32, 0xffffff82
	v_cndmask_b32_e64 v8, 0, v8, s[30:31]
	v_cndmask_b32_e32 v32, v9, v32, vcc
	v_mov_b32_e32 v9, 0x78
	v_cndmask_b32_e32 v33, v8, v9, vcc
	v_add_u32_e32 v8, 20, v33
	v_or_b32_e32 v12, 0x800000, v26
	v_lshlrev_b64 v[8:9], v8, -1
	v_cndmask_b32_e32 v26, v12, v26, vcc
	v_not_b32_e32 v9, v9
	v_not_b32_e32 v8, v8
	v_add_u32_e32 v12, 19, v33
	v_and_b32_e32 v9, 0, v9
	v_and_b32_e32 v8, v26, v8
	v_lshlrev_b64 v[50:51], v12, 1
	v_cmp_eq_u64_e32 vcc, v[8:9], v[50:51]
	v_lshrrev_b64 v[8:9], v33, v[26:27]
	v_lshrrev_b32_e32 v12, 23, v8
	v_add3_u32 v50, v33, v32, v12
	v_bfe_u32 v12, v8, 20, 1
	v_add_u32_e32 v12, -1, v12
	v_cndmask_b32_e32 v12, 0, v12, vcc
	v_add_u32_e32 v12, v12, v8
	v_and_b32_e32 v12, 0xfffff, v12
	v_add_co_u32_e32 v8, vcc, v12, v8
	v_add_u32_e32 v26, 6, v50
	v_addc_co_u32_e32 v9, vcc, 0, v9, vcc
	v_cmp_ne_u32_e32 vcc, 0, v26
                                        ; implicit-def: $vgpr12
	s_and_saveexec_b64 s[30:31], vcc
	s_xor_b64 s[30:31], exec, s[30:31]
; %bb.3342:                             ;   in Loop: Header=BB6_3014 Depth=3
	v_add_u32_e32 v12, 7, v50
	v_cmp_lt_u64_e32 vcc, s[56:57], v[8:9]
	v_cndmask_b32_e32 v12, v26, v12, vcc
	v_cndmask_b32_e64 v26, 0, 1, vcc
	v_lshrrev_b64 v[8:9], v26, v[8:9]
; %bb.3343:                             ;   in Loop: Header=BB6_3014 Depth=3
	s_andn2_saveexec_b64 vcc, s[30:31]
; %bb.3344:                             ;   in Loop: Header=BB6_3014 Depth=3
	v_bfe_u32 v12, v8, 23, 1
; %bb.3345:                             ;   in Loop: Header=BB6_3014 Depth=3
	s_or_b64 exec, exec, vcc
	v_lshrrev_b64 v[8:9], 20, v[8:9]
	v_cmp_gt_i32_e32 vcc, 16, v12
	v_cndmask_b32_e32 v9, 0, v9, vcc
	v_cndmask_b32_e32 v8, 7, v8, vcc
	v_cmp_eq_u64_e64 s[30:31], 0, v[8:9]
	v_min_i32_e32 v9, 15, v12
	v_cmp_eq_u32_e32 vcc, 0, v12
	v_lshlrev_b32_e32 v9, 3, v9
	v_and_or_b32 v8, v8, 7, v9
	s_and_b64 vcc, vcc, s[30:31]
	v_cndmask_b32_e64 v8, v8, 0, vcc
	v_or_b32_e32 v12, v8, v29
.LBB6_3346:                             ;   in Loop: Header=BB6_3014 Depth=3
	s_or_b64 exec, exec, s[72:73]
.LBB6_3347:                             ;   in Loop: Header=BB6_3014 Depth=3
	s_or_b64 exec, exec, s[70:71]
                                        ; implicit-def: $vgpr8
.LBB6_3348:                             ;   in Loop: Header=BB6_3014 Depth=3
	s_andn2_saveexec_b64 s[30:31], s[34:35]
; %bb.3349:                             ;   in Loop: Header=BB6_3014 Depth=3
	v_or_b32_sdwa v8, v8, s92 dst_sel:DWORD dst_unused:UNUSED_PAD src0_sel:BYTE_3 src1_sel:DWORD
	v_cmp_eq_u64_e32 vcc, 0, v[26:27]
	v_cndmask_b32_e32 v12, v8, v12, vcc
; %bb.3350:                             ;   in Loop: Header=BB6_3014 Depth=3
	s_or_b64 exec, exec, s[30:31]
	v_lshrrev_b32_e32 v8, 16, v15
	v_cmp_ne_u16_sdwa vcc, v8, v27 src0_sel:BYTE_0 src1_sel:DWORD
	v_mov_b32_e32 v9, 0
	v_mov_b32_e32 v26, 0
	s_and_saveexec_b64 s[30:31], vcc
	s_cbranch_execz .LBB6_3356
; %bb.3351:                             ;   in Loop: Header=BB6_3014 Depth=3
	v_cmp_ne_u16_sdwa vcc, v8, s91 src0_sel:BYTE_0 src1_sel:DWORD
	v_bfrev_b32_e32 v26, 1
	s_and_saveexec_b64 s[34:35], vcc
	s_cbranch_execz .LBB6_3355
; %bb.3352:                             ;   in Loop: Header=BB6_3014 Depth=3
	v_bfe_u32 v29, v15, 16, 7
	v_cmp_ne_u32_e32 vcc, s92, v29
	v_mov_b32_e32 v26, 0x7f800001
	s_and_saveexec_b64 s[70:71], vcc
	s_cbranch_execz .LBB6_3354
; %bb.3353:                             ;   in Loop: Header=BB6_3014 Depth=3
	v_and_b32_e32 v26, 7, v8
	v_ffbh_u32_e32 v33, v26
	v_min_u32_e32 v33, 32, v33
	v_subrev_u32_e32 v34, 28, v33
	v_lshlrev_b64 v[50:51], v34, v[8:9]
	v_lshrrev_b32_e32 v32, 3, v29
	v_sub_u32_e32 v33, 29, v33
	v_and_b32_e32 v34, 7, v50
	v_cmp_gt_u32_e32 vcc, 8, v29
	v_cndmask_b32_e32 v29, v32, v33, vcc
	v_cndmask_b32_e32 v26, v26, v34, vcc
	v_lshlrev_b32_e32 v8, 24, v8
	v_lshlrev_b32_e32 v26, 20, v26
	v_and_b32_e32 v8, 0x80000000, v8
	v_lshl_add_u32 v29, v29, 23, v31
	v_or3_b32 v26, v8, v29, v26
.LBB6_3354:                             ;   in Loop: Header=BB6_3014 Depth=3
	s_or_b64 exec, exec, s[70:71]
.LBB6_3355:                             ;   in Loop: Header=BB6_3014 Depth=3
	s_or_b64 exec, exec, s[34:35]
.LBB6_3356:                             ;   in Loop: Header=BB6_3014 Depth=3
	s_or_b64 exec, exec, s[30:31]
	v_lshrrev_b32_e32 v8, 16, v11
	v_cmp_ne_u16_sdwa vcc, v8, v27 src0_sel:BYTE_0 src1_sel:DWORD
	s_and_saveexec_b64 s[30:31], vcc
	s_cbranch_execz .LBB6_3362
; %bb.3357:                             ;   in Loop: Header=BB6_3014 Depth=3
	v_cmp_ne_u16_sdwa vcc, v8, s91 src0_sel:BYTE_0 src1_sel:DWORD
	v_bfrev_b32_e32 v9, 1
	s_and_saveexec_b64 s[34:35], vcc
	s_cbranch_execz .LBB6_3361
; %bb.3358:                             ;   in Loop: Header=BB6_3014 Depth=3
	v_bfe_u32 v29, v11, 16, 7
	v_cmp_ne_u32_e32 vcc, s92, v29
	v_mov_b32_e32 v9, 0x7f800001
	s_and_saveexec_b64 s[70:71], vcc
	s_cbranch_execz .LBB6_3360
; %bb.3359:                             ;   in Loop: Header=BB6_3014 Depth=3
	v_and_b32_e32 v32, 7, v8
	v_ffbh_u32_e32 v9, v32
	v_min_u32_e32 v34, 32, v9
	v_subrev_u32_e32 v9, 28, v34
	v_lshlrev_b64 v[8:9], v9, v[8:9]
	v_lshrrev_b32_e32 v33, 3, v29
	v_sub_u32_e32 v9, 29, v34
	v_and_b32_e32 v8, 7, v8
	v_cmp_gt_u32_e32 vcc, 8, v29
	v_cndmask_b32_e32 v9, v33, v9, vcc
	v_cndmask_b32_e32 v8, v32, v8, vcc
	v_lshlrev_b32_e32 v29, 8, v11
	v_lshlrev_b32_e32 v8, 20, v8
	v_and_b32_e32 v29, 0x80000000, v29
	v_lshl_add_u32 v9, v9, 23, v31
	v_or3_b32 v9, v29, v9, v8
.LBB6_3360:                             ;   in Loop: Header=BB6_3014 Depth=3
	s_or_b64 exec, exec, s[70:71]
.LBB6_3361:                             ;   in Loop: Header=BB6_3014 Depth=3
	s_or_b64 exec, exec, s[34:35]
.LBB6_3362:                             ;   in Loop: Header=BB6_3014 Depth=3
	s_or_b64 exec, exec, s[30:31]
	v_add_f32_e32 v8, v26, v9
	v_and_b32_sdwa v40, v8, s91 dst_sel:DWORD dst_unused:UNUSED_PAD src0_sel:BYTE_3 src1_sel:DWORD
	v_and_b32_e32 v50, 0x7f800000, v8
	v_mov_b32_e32 v51, v27
	v_and_b32_e32 v26, 0x7fffff, v8
	v_or_b32_e32 v29, 0x7e, v40
	v_cmp_ne_u64_e32 vcc, s[52:53], v[50:51]
	s_and_saveexec_b64 s[30:31], vcc
	s_xor_b64 s[34:35], exec, s[30:31]
	s_cbranch_execz .LBB6_3372
; %bb.3363:                             ;   in Loop: Header=BB6_3014 Depth=3
	v_and_b32_e32 v50, 0x7fffffff, v8
	v_mov_b32_e32 v51, v27
	v_cmp_gt_u64_e32 vcc, s[54:55], v[50:51]
	s_and_saveexec_b64 s[70:71], vcc
	s_cbranch_execz .LBB6_3371
; %bb.3364:                             ;   in Loop: Header=BB6_3014 Depth=3
	v_cmp_ne_u32_e32 vcc, 0, v8
	v_mov_b32_e32 v29, 0
	s_and_saveexec_b64 s[72:73], vcc
	s_cbranch_execz .LBB6_3370
; %bb.3365:                             ;   in Loop: Header=BB6_3014 Depth=3
	v_bfe_u32 v8, v8, 23, 8
	v_cmp_eq_u32_e32 vcc, 0, v8
	v_add_u32_e32 v9, 0xffffff81, v8
	v_cmp_gt_u32_e64 s[30:31], s93, v8
	v_sub_u32_e32 v8, 0x79, v8
	v_mov_b32_e32 v32, 0xffffff82
	v_cndmask_b32_e64 v8, 0, v8, s[30:31]
	v_cndmask_b32_e32 v32, v9, v32, vcc
	v_mov_b32_e32 v9, 0x78
	v_cndmask_b32_e32 v33, v8, v9, vcc
	v_add_u32_e32 v8, 20, v33
	v_or_b32_e32 v29, 0x800000, v26
	v_lshlrev_b64 v[8:9], v8, -1
	v_cndmask_b32_e32 v26, v29, v26, vcc
	v_not_b32_e32 v9, v9
	v_not_b32_e32 v8, v8
	v_add_u32_e32 v29, 19, v33
	v_and_b32_e32 v9, 0, v9
	v_and_b32_e32 v8, v26, v8
	v_lshlrev_b64 v[50:51], v29, 1
	v_cmp_eq_u64_e32 vcc, v[8:9], v[50:51]
	v_lshrrev_b64 v[8:9], v33, v[26:27]
	v_lshrrev_b32_e32 v26, 23, v8
	v_add3_u32 v50, v33, v32, v26
	v_bfe_u32 v26, v8, 20, 1
	v_add_u32_e32 v26, -1, v26
	v_cndmask_b32_e32 v26, 0, v26, vcc
	v_add_u32_e32 v26, v26, v8
	v_and_b32_e32 v26, 0xfffff, v26
	v_add_co_u32_e32 v8, vcc, v26, v8
	v_add_u32_e32 v29, 6, v50
	v_addc_co_u32_e32 v9, vcc, 0, v9, vcc
	v_cmp_ne_u32_e32 vcc, 0, v29
                                        ; implicit-def: $vgpr26
	s_and_saveexec_b64 s[30:31], vcc
	s_xor_b64 s[30:31], exec, s[30:31]
; %bb.3366:                             ;   in Loop: Header=BB6_3014 Depth=3
	v_add_u32_e32 v26, 7, v50
	v_cmp_lt_u64_e32 vcc, s[56:57], v[8:9]
	v_cndmask_b32_e32 v26, v29, v26, vcc
	v_cndmask_b32_e64 v29, 0, 1, vcc
	v_lshrrev_b64 v[8:9], v29, v[8:9]
; %bb.3367:                             ;   in Loop: Header=BB6_3014 Depth=3
	s_andn2_saveexec_b64 vcc, s[30:31]
; %bb.3368:                             ;   in Loop: Header=BB6_3014 Depth=3
	v_bfe_u32 v26, v8, 23, 1
; %bb.3369:                             ;   in Loop: Header=BB6_3014 Depth=3
	s_or_b64 exec, exec, vcc
	v_lshrrev_b64 v[8:9], 20, v[8:9]
	v_cmp_gt_i32_e32 vcc, 16, v26
	v_cndmask_b32_e32 v9, 0, v9, vcc
	v_cndmask_b32_e32 v8, 7, v8, vcc
	v_cmp_eq_u64_e64 s[30:31], 0, v[8:9]
	v_min_i32_e32 v9, 15, v26
	v_lshlrev_b32_e32 v9, 3, v9
	v_cmp_eq_u32_e32 vcc, 0, v26
	v_and_b32_e32 v9, 0xf8, v9
	v_and_or_b32 v8, v8, 7, v9
	s_and_b64 vcc, vcc, s[30:31]
	v_cndmask_b32_e64 v8, v8, 0, vcc
	v_or_b32_e32 v29, v8, v40
.LBB6_3370:                             ;   in Loop: Header=BB6_3014 Depth=3
	s_or_b64 exec, exec, s[72:73]
.LBB6_3371:                             ;   in Loop: Header=BB6_3014 Depth=3
	s_or_b64 exec, exec, s[70:71]
                                        ; implicit-def: $vgpr8
.LBB6_3372:                             ;   in Loop: Header=BB6_3014 Depth=3
	s_andn2_saveexec_b64 s[30:31], s[34:35]
; %bb.3373:                             ;   in Loop: Header=BB6_3014 Depth=3
	v_or_b32_sdwa v8, v8, s92 dst_sel:DWORD dst_unused:UNUSED_PAD src0_sel:BYTE_3 src1_sel:DWORD
	v_cmp_eq_u64_e32 vcc, 0, v[26:27]
	v_cndmask_b32_e32 v29, v8, v29, vcc
; %bb.3374:                             ;   in Loop: Header=BB6_3014 Depth=3
	s_or_b64 exec, exec, s[30:31]
	v_cmp_lt_u64_e32 vcc, s[42:43], v[14:15]
	v_mov_b32_e32 v9, 0
	v_mov_b32_e32 v14, 0
	s_and_saveexec_b64 s[30:31], vcc
	s_cbranch_execz .LBB6_3380
; %bb.3375:                             ;   in Loop: Header=BB6_3014 Depth=3
	v_lshrrev_b32_e32 v8, 24, v15
	v_cmp_ne_u32_e32 vcc, s91, v8
	v_bfrev_b32_e32 v14, 1
	s_and_saveexec_b64 s[34:35], vcc
	s_cbranch_execz .LBB6_3379
; %bb.3376:                             ;   in Loop: Header=BB6_3014 Depth=3
	v_bfe_u32 v15, v15, 24, 7
	v_cmp_ne_u32_e32 vcc, s92, v15
	v_mov_b32_e32 v14, 0x7f800001
	s_and_saveexec_b64 s[70:71], vcc
	s_cbranch_execz .LBB6_3378
; %bb.3377:                             ;   in Loop: Header=BB6_3014 Depth=3
	v_and_b32_e32 v14, 7, v8
	v_ffbh_u32_e32 v32, v14
	v_min_u32_e32 v32, 32, v32
	v_subrev_u32_e32 v33, 28, v32
	v_lshlrev_b64 v[50:51], v33, v[8:9]
	v_lshrrev_b32_e32 v26, 3, v15
	v_sub_u32_e32 v32, 29, v32
	v_and_b32_e32 v33, 7, v50
	v_cmp_gt_u32_e32 vcc, 8, v15
	v_cndmask_b32_e32 v15, v26, v32, vcc
	v_cndmask_b32_e32 v14, v14, v33, vcc
	v_lshlrev_b32_e32 v8, 24, v8
	v_lshlrev_b32_e32 v14, 20, v14
	v_and_b32_e32 v8, 0x80000000, v8
	v_lshl_add_u32 v15, v15, 23, v31
	v_or3_b32 v14, v8, v15, v14
.LBB6_3378:                             ;   in Loop: Header=BB6_3014 Depth=3
	s_or_b64 exec, exec, s[70:71]
.LBB6_3379:                             ;   in Loop: Header=BB6_3014 Depth=3
	s_or_b64 exec, exec, s[34:35]
.LBB6_3380:                             ;   in Loop: Header=BB6_3014 Depth=3
	s_or_b64 exec, exec, s[30:31]
	v_cmp_lt_u64_e32 vcc, s[42:43], v[10:11]
	s_and_saveexec_b64 s[30:31], vcc
	s_cbranch_execz .LBB6_3386
; %bb.3381:                             ;   in Loop: Header=BB6_3014 Depth=3
	v_lshrrev_b32_e32 v8, 24, v11
	v_cmp_ne_u32_e32 vcc, s91, v8
	v_bfrev_b32_e32 v9, 1
	s_and_saveexec_b64 s[34:35], vcc
	s_cbranch_execz .LBB6_3385
; %bb.3382:                             ;   in Loop: Header=BB6_3014 Depth=3
	v_bfe_u32 v10, v11, 24, 7
	v_cmp_ne_u32_e32 vcc, s92, v10
	v_mov_b32_e32 v9, 0x7f800001
	s_and_saveexec_b64 s[70:71], vcc
	s_cbranch_execz .LBB6_3384
; %bb.3383:                             ;   in Loop: Header=BB6_3014 Depth=3
	v_and_b32_e32 v9, 7, v8
	v_ffbh_u32_e32 v15, v9
	v_min_u32_e32 v15, 32, v15
	v_subrev_u32_e32 v26, 28, v15
	v_lshlrev_b64 v[50:51], v26, v[8:9]
	v_lshrrev_b32_e32 v11, 3, v10
	v_sub_u32_e32 v15, 29, v15
	v_and_b32_e32 v26, 7, v50
	v_cmp_gt_u32_e32 vcc, 8, v10
	v_cndmask_b32_e32 v10, v11, v15, vcc
	v_cndmask_b32_e32 v9, v9, v26, vcc
	v_lshlrev_b32_e32 v8, 24, v8
	v_lshlrev_b32_e32 v9, 20, v9
	v_and_b32_e32 v8, 0x80000000, v8
	v_lshl_add_u32 v10, v10, 23, v31
	v_or3_b32 v9, v8, v10, v9
.LBB6_3384:                             ;   in Loop: Header=BB6_3014 Depth=3
	s_or_b64 exec, exec, s[70:71]
.LBB6_3385:                             ;   in Loop: Header=BB6_3014 Depth=3
	s_or_b64 exec, exec, s[34:35]
.LBB6_3386:                             ;   in Loop: Header=BB6_3014 Depth=3
	s_or_b64 exec, exec, s[30:31]
	v_add_f32_e32 v8, v14, v9
	v_and_b32_sdwa v10, v8, s91 dst_sel:DWORD dst_unused:UNUSED_PAD src0_sel:BYTE_3 src1_sel:DWORD
	v_and_b32_e32 v14, 0x7f800000, v8
	v_mov_b32_e32 v15, v27
	v_and_b32_e32 v26, 0x7fffff, v8
	v_or_b32_e32 v11, 0x7e, v10
	v_cmp_ne_u64_e32 vcc, s[52:53], v[14:15]
	s_and_saveexec_b64 s[30:31], vcc
	s_xor_b64 s[34:35], exec, s[30:31]
	s_cbranch_execz .LBB6_3396
; %bb.3387:                             ;   in Loop: Header=BB6_3014 Depth=3
	v_and_b32_e32 v14, 0x7fffffff, v8
	v_mov_b32_e32 v15, v27
	v_cmp_gt_u64_e32 vcc, s[54:55], v[14:15]
	s_and_saveexec_b64 s[70:71], vcc
	s_cbranch_execz .LBB6_3395
; %bb.3388:                             ;   in Loop: Header=BB6_3014 Depth=3
	v_cmp_ne_u32_e32 vcc, 0, v8
	v_mov_b32_e32 v11, 0
	s_and_saveexec_b64 s[72:73], vcc
	s_cbranch_execz .LBB6_3394
; %bb.3389:                             ;   in Loop: Header=BB6_3014 Depth=3
	v_bfe_u32 v8, v8, 23, 8
	v_cmp_eq_u32_e32 vcc, 0, v8
	v_add_u32_e32 v9, 0xffffff81, v8
	v_cmp_gt_u32_e64 s[30:31], s93, v8
	v_sub_u32_e32 v8, 0x79, v8
	v_mov_b32_e32 v14, 0xffffff82
	v_cndmask_b32_e64 v8, 0, v8, s[30:31]
	v_cndmask_b32_e32 v32, v9, v14, vcc
	v_mov_b32_e32 v9, 0x78
	v_cndmask_b32_e32 v33, v8, v9, vcc
	v_add_u32_e32 v8, 20, v33
	v_or_b32_e32 v11, 0x800000, v26
	v_lshlrev_b64 v[8:9], v8, -1
	v_cndmask_b32_e32 v26, v11, v26, vcc
	v_not_b32_e32 v9, v9
	v_not_b32_e32 v8, v8
	v_add_u32_e32 v11, 19, v33
	v_and_b32_e32 v9, 0, v9
	v_and_b32_e32 v8, v26, v8
	v_lshlrev_b64 v[14:15], v11, 1
	v_cmp_eq_u64_e32 vcc, v[8:9], v[14:15]
	v_lshrrev_b64 v[8:9], v33, v[26:27]
	v_lshrrev_b32_e32 v11, 23, v8
	v_add3_u32 v15, v33, v32, v11
	v_bfe_u32 v11, v8, 20, 1
	v_add_u32_e32 v11, -1, v11
	v_cndmask_b32_e32 v11, 0, v11, vcc
	v_add_u32_e32 v11, v11, v8
	v_and_b32_e32 v11, 0xfffff, v11
	v_add_co_u32_e32 v8, vcc, v11, v8
	v_add_u32_e32 v14, 6, v15
	v_addc_co_u32_e32 v9, vcc, 0, v9, vcc
	v_cmp_ne_u32_e32 vcc, 0, v14
                                        ; implicit-def: $vgpr11
	s_and_saveexec_b64 s[30:31], vcc
	s_xor_b64 s[30:31], exec, s[30:31]
; %bb.3390:                             ;   in Loop: Header=BB6_3014 Depth=3
	v_add_u32_e32 v11, 7, v15
	v_cmp_lt_u64_e32 vcc, s[56:57], v[8:9]
	v_cndmask_b32_e32 v11, v14, v11, vcc
	v_cndmask_b32_e64 v14, 0, 1, vcc
	v_lshrrev_b64 v[8:9], v14, v[8:9]
; %bb.3391:                             ;   in Loop: Header=BB6_3014 Depth=3
	s_andn2_saveexec_b64 vcc, s[30:31]
; %bb.3392:                             ;   in Loop: Header=BB6_3014 Depth=3
	v_bfe_u32 v11, v8, 23, 1
; %bb.3393:                             ;   in Loop: Header=BB6_3014 Depth=3
	s_or_b64 exec, exec, vcc
	v_lshrrev_b64 v[8:9], 20, v[8:9]
	v_cmp_gt_i32_e32 vcc, 16, v11
	v_cndmask_b32_e32 v9, 0, v9, vcc
	v_cndmask_b32_e32 v8, 7, v8, vcc
	v_cmp_eq_u64_e64 s[30:31], 0, v[8:9]
	v_min_i32_e32 v9, 15, v11
	v_lshlrev_b32_e32 v9, 3, v9
	v_cmp_eq_u32_e32 vcc, 0, v11
	v_and_b32_e32 v9, 0xf8, v9
	v_and_or_b32 v8, v8, 7, v9
	s_and_b64 vcc, vcc, s[30:31]
	v_cndmask_b32_e64 v8, v8, 0, vcc
	v_or_b32_e32 v11, v8, v10
.LBB6_3394:                             ;   in Loop: Header=BB6_3014 Depth=3
	s_or_b64 exec, exec, s[72:73]
.LBB6_3395:                             ;   in Loop: Header=BB6_3014 Depth=3
	s_or_b64 exec, exec, s[70:71]
                                        ; implicit-def: $vgpr8
.LBB6_3396:                             ;   in Loop: Header=BB6_3014 Depth=3
	s_andn2_saveexec_b64 s[30:31], s[34:35]
; %bb.3397:                             ;   in Loop: Header=BB6_3014 Depth=3
	v_or_b32_sdwa v8, v8, s92 dst_sel:DWORD dst_unused:UNUSED_PAD src0_sel:BYTE_3 src1_sel:DWORD
	v_cmp_eq_u64_e32 vcc, 0, v[26:27]
	v_cndmask_b32_e32 v11, v8, v11, vcc
; %bb.3398:                             ;   in Loop: Header=BB6_3014 Depth=3
	s_or_b64 exec, exec, s[30:31]
	v_lshlrev_b32_e32 v8, 8, v24
	v_perm_b32 v8, v8, v38, s94
	v_and_b32_e32 v6, 0xff, v6
	v_lshlrev_b32_e32 v2, 8, v2
	v_lshl_or_b32 v8, v22, 16, v8
	v_lshlrev_b32_e32 v7, 24, v7
	v_lshlrev_b32_e32 v6, 16, v6
	v_perm_b32 v1, v2, v1, s94
	v_lshl_or_b32 v9, v13, 24, v8
	v_or3_b32 v8, v7, v6, v1
	v_and_b32_e32 v1, 0xff, v52
	v_lshlrev_b32_e32 v6, 8, v39
	v_lshlrev_b32_e32 v2, 24, v53
	v_lshlrev_b32_e32 v1, 16, v1
	v_perm_b32 v6, v6, v23, s94
	v_or3_b32 v10, v2, v1, v6
	v_lshlrev_b32_e32 v1, 8, v12
	v_perm_b32 v1, v1, v54, s94
	v_lshl_or_b32 v1, v29, 16, v1
	v_lshl_or_b32 v11, v11, 24, v1
	s_mov_b64 s[34:35], 0
	s_mov_b64 s[70:71], -1
.LBB6_3399:                             ;   Parent Loop BB6_47 Depth=1
                                        ;     Parent Loop BB6_2119 Depth=2
                                        ;       Parent Loop BB6_3014 Depth=3
                                        ; =>      This Inner Loop Header: Depth=4
	s_cmp_eq_u32 s34, 0
	s_cselect_b64 s[30:31], -1, 0
	s_cmp_eq_u32 s34, 1
	s_cselect_b64 s[34:35], -1, 0
	v_cndmask_b32_e64 v6, v4, v16, s[34:35]
	v_cndmask_b32_e64 v7, v5, v17, s[34:35]
	v_add_co_u32_e32 v1, vcc, 0x400, v6
	v_addc_co_u32_e32 v2, vcc, 0, v7, vcc
	v_cndmask_b32_e64 v17, v17, v2, s[34:35]
	v_cndmask_b32_e64 v16, v16, v1, s[34:35]
	;; [unrolled: 1-line block ×4, first 2 shown]
	s_mov_b64 s[34:35], 1
	s_andn2_b64 vcc, exec, s[70:71]
	s_mov_b64 s[70:71], 0
	global_store_dwordx4 v[6:7], v[8:11], off glc slc
	s_cbranch_vccz .LBB6_3399
; %bb.3400:                             ;   in Loop: Header=BB6_3014 Depth=3
	v_add_co_u32_e32 v18, vcc, v18, v55
	v_addc_co_u32_e32 v19, vcc, v19, v41, vcc
	v_add_co_u32_e32 v20, vcc, v20, v55
	v_addc_co_u32_e32 v21, vcc, v21, v41, vcc
	v_accvgpr_read_b32 v2, a34
	v_add_co_u32_e32 v4, vcc, v4, v2
	v_accvgpr_read_b32 v1, a37
	v_addc_co_u32_e32 v5, vcc, v5, v1, vcc
	v_add_co_u32_e32 v16, vcc, v16, v2
	v_addc_co_u32_e32 v17, vcc, v17, v1, vcc
	v_sub_u32_e32 v3, v3, v0
	v_cmp_gt_i32_e32 vcc, 16, v3
	v_accvgpr_read_b32 v0, a26
	s_or_b64 s[68:69], vcc, s[68:69]
	v_sub_u32_e32 v36, v36, v0
	s_andn2_b64 exec, exec, s[68:69]
	s_cbranch_execnz .LBB6_3014
; %bb.3401:                             ;   in Loop: Header=BB6_2119 Depth=2
	s_or_b64 exec, exec, s[68:69]
.LBB6_3402:                             ;   in Loop: Header=BB6_2119 Depth=2
	s_or_b64 exec, exec, s[66:67]
	v_accvgpr_read_b32 v0, a61
	v_and_b32_e32 v2, 15, v0
	v_cndmask_b32_e64 v4, v37, v2, s[28:29]
	v_cmp_ne_u32_e32 vcc, 0, v4
	s_mov_b64 s[30:31], 0
	v_mov_b32_e32 v12, 0
                                        ; implicit-def: $vgpr0
                                        ; implicit-def: $vgpr1
	s_and_saveexec_b64 s[34:35], vcc
	s_cbranch_execz .LBB6_3404
; %bb.3403:                             ;   in Loop: Header=BB6_2119 Depth=2
	v_sub_u32_e32 v1, v37, v2
	v_cndmask_b32_e64 v1, 0, v1, s[28:29]
	v_cmp_lt_i32_e32 vcc, 0, v36
	v_accvgpr_read_b32 v0, a26
	v_add3_u32 v12, v30, v25, v1
	v_cndmask_b32_e32 v1, 0, v0, vcc
	v_sub_u32_e32 v1, v1, v36
	v_lshl_add_u32 v0, v1, 6, v28
	v_ashrrev_i32_e32 v1, 31, v0
	v_lshrrev_b32_e32 v1, 26, v1
	v_add_u32_e32 v1, v0, v1
	s_mov_b64 s[30:31], exec
	v_ashrrev_i32_e32 v1, 6, v1
.LBB6_3404:                             ;   in Loop: Header=BB6_2119 Depth=2
	s_or_b64 exec, exec, s[34:35]
	s_and_b64 s[28:29], s[30:31], exec
.LBB6_3405:                             ;   in Loop: Header=BB6_2119 Depth=2
	s_or_b64 exec, exec, s[64:65]
	v_accvgpr_read_b32 v33, a57
	v_accvgpr_read_b32 v34, a61
	s_and_saveexec_b64 s[34:35], s[28:29]
	s_cbranch_execz .LBB6_2191
.LBB6_3406:                             ;   in Loop: Header=BB6_2119 Depth=2
	v_ashrrev_i32_e32 v2, 31, v4
	v_lshrrev_b32_e32 v2, 22, v2
	v_add_u32_e32 v2, v4, v2
	v_ashrrev_i32_e32 v3, 10, v2
	v_sub_u32_e32 v16, v3, v1
	v_ashrrev_i32_e32 v2, 31, v0
	v_cmp_lt_i32_e32 vcc, 0, v16
	v_lshrrev_b32_e32 v2, 26, v2
	s_and_saveexec_b64 s[30:31], vcc
	s_cbranch_execz .LBB6_3858
; %bb.3407:                             ;   in Loop: Header=BB6_2119 Depth=2
	s_trap 2
	ds_read_b128 v[8:11], v0
	v_accvgpr_write_b32 a63, v2
	v_add_u32_e32 v2, v0, v2
	v_and_b32_e32 v2, 0xffffffc0, v2
	v_sub_u32_e32 v2, v0, v2
	v_lshlrev_b32_e32 v1, 10, v1
	v_add3_u32 v1, v12, v2, v1
	v_accvgpr_write_b32 a61, v4
	v_ashrrev_i32_e32 v2, 31, v1
	s_waitcnt lgkmcnt(0)
	v_add_co_u32_e32 v4, vcc, v8, v1
	v_addc_co_u32_e32 v5, vcc, v9, v2, vcc
	v_add_co_u32_e32 v8, vcc, v10, v1
	v_addc_co_u32_e32 v9, vcc, v11, v2, vcc
	v_accvgpr_write_b32 a8, v3
	v_accvgpr_write_b32 a62, v0
	;; [unrolled: 1-line block ×3, first 2 shown]
	s_mov_b64 s[64:65], 0
	v_pk_mov_b32 v[10:11], v[4:5], v[4:5] op_sel:[0,1]
	v_pk_mov_b32 v[12:13], v[8:9], v[8:9] op_sel:[0,1]
	s_branch .LBB6_3409
.LBB6_3408:                             ;   in Loop: Header=BB6_3409 Depth=3
	s_or_b64 exec, exec, s[28:29]
	v_accvgpr_read_b32 v55, a43
	flat_store_byte v[10:11], v19 glc slc
	flat_store_byte v[10:11], v1 offset:64 glc slc
	flat_store_byte v[10:11], v23 offset:128 glc slc
	flat_store_byte v[10:11], v28 offset:192 glc slc
	flat_store_byte v[10:11], v37 offset:256 glc slc
	flat_store_byte v[10:11], v52 offset:320 glc slc
	flat_store_byte v[10:11], v41 offset:384 glc slc
	flat_store_byte v[10:11], v47 offset:448 glc slc
	flat_store_byte v[10:11], v56 offset:512 glc slc
	flat_store_byte v[10:11], v44 offset:576 glc slc
	flat_store_byte v[10:11], v53 offset:640 glc slc
	flat_store_byte v[10:11], v38 offset:704 glc slc
	flat_store_byte v[10:11], v17 offset:768 glc slc
	flat_store_byte v[10:11], v24 offset:832 glc slc
	flat_store_byte v[10:11], v2 offset:896 glc slc
	flat_store_byte v[10:11], v15 offset:960 glc slc
	flat_store_byte v[12:13], v19 glc slc
	flat_store_byte v[12:13], v1 offset:64 glc slc
	flat_store_byte v[12:13], v23 offset:128 glc slc
	;; [unrolled: 1-line block ×15, first 2 shown]
	v_add_co_u32_e32 v4, vcc, v4, v55
	v_accvgpr_read_b32 v41, a44
	v_addc_co_u32_e32 v5, vcc, v5, v41, vcc
	v_add_co_u32_e32 v8, vcc, v8, v55
	v_addc_co_u32_e32 v9, vcc, v9, v41, vcc
	v_add_co_u32_e32 v10, vcc, v10, v55
	v_accvgpr_read_b32 v0, a26
	v_addc_co_u32_e32 v11, vcc, v11, v41, vcc
	v_sub_u32_e32 v16, v16, v0
	v_cmp_gt_i32_e32 vcc, 1, v16
	s_or_b64 s[64:65], vcc, s[64:65]
	v_add_co_u32_e32 v12, vcc, v12, v55
	v_addc_co_u32_e32 v13, vcc, v13, v41, vcc
	s_andn2_b64 exec, exec, s[64:65]
	s_cbranch_execz .LBB6_3857
.LBB6_3409:                             ;   Parent Loop BB6_47 Depth=1
                                        ;     Parent Loop BB6_2119 Depth=2
                                        ; =>    This Inner Loop Header: Depth=3
	flat_load_ubyte v50, v[4:5] glc slc
	flat_load_ubyte v18, v[4:5] offset:64 glc slc
	flat_load_ubyte v29, v[4:5] offset:128 glc slc
	;; [unrolled: 1-line block ×15, first 2 shown]
	flat_load_ubyte v15, v[8:9] glc slc
	flat_load_ubyte v1, v[8:9] offset:64 glc slc
	flat_load_ubyte v23, v[8:9] offset:128 glc slc
	;; [unrolled: 1-line block ×15, first 2 shown]
	v_mov_b32_e32 v19, 0
	v_mov_b32_e32 v26, 0
	s_waitcnt vmcnt(0) lgkmcnt(0)
	v_cmp_ne_u16_e32 vcc, 0, v50
	s_and_saveexec_b64 s[28:29], vcc
	s_cbranch_execz .LBB6_3415
; %bb.3410:                             ;   in Loop: Header=BB6_3409 Depth=3
	v_cmp_ne_u16_e32 vcc, s91, v50
	v_bfrev_b32_e32 v26, 1
	s_and_saveexec_b64 s[66:67], vcc
	s_cbranch_execz .LBB6_3414
; %bb.3411:                             ;   in Loop: Header=BB6_3409 Depth=3
	v_and_b32_e32 v14, 0xffff, v50
	v_and_b32_e32 v51, 0x7f, v14
	v_cmp_ne_u32_e32 vcc, s92, v51
	v_mov_b32_e32 v26, 0x7f800001
	s_and_saveexec_b64 s[68:69], vcc
	s_cbranch_execz .LBB6_3413
; %bb.3412:                             ;   in Loop: Header=BB6_3409 Depth=3
	v_and_b32_e32 v20, 7, v14
	v_ffbh_u32_e32 v6, v20
	v_min_u32_e32 v26, 32, v6
	v_subrev_u32_e32 v6, 28, v26
	v_lshlrev_b64 v[6:7], v6, v[14:15]
	v_lshrrev_b32_e32 v21, 3, v51
	v_sub_u32_e32 v7, 29, v26
	v_and_b32_e32 v6, 7, v6
	v_cmp_gt_u32_e32 vcc, 8, v51
	v_cndmask_b32_e32 v7, v21, v7, vcc
	v_cndmask_b32_e32 v6, v20, v6, vcc
	v_lshlrev_b32_e32 v14, 24, v50
	v_lshlrev_b32_e32 v6, 20, v6
	v_and_b32_e32 v14, 0x80000000, v14
	v_lshl_add_u32 v7, v7, 23, v31
	v_or3_b32 v26, v14, v7, v6
.LBB6_3413:                             ;   in Loop: Header=BB6_3409 Depth=3
	s_or_b64 exec, exec, s[68:69]
.LBB6_3414:                             ;   in Loop: Header=BB6_3409 Depth=3
	s_or_b64 exec, exec, s[66:67]
.LBB6_3415:                             ;   in Loop: Header=BB6_3409 Depth=3
	s_or_b64 exec, exec, s[28:29]
	v_and_b32_e32 v14, 0xff, v15
	v_cmp_ne_u16_e32 vcc, 0, v14
	s_and_saveexec_b64 s[28:29], vcc
	s_cbranch_execz .LBB6_3421
; %bb.3416:                             ;   in Loop: Header=BB6_3409 Depth=3
	v_cmp_ne_u16_e32 vcc, s91, v14
	v_bfrev_b32_e32 v19, 1
	s_and_saveexec_b64 s[66:67], vcc
	s_cbranch_execz .LBB6_3420
; %bb.3417:                             ;   in Loop: Header=BB6_3409 Depth=3
	v_and_b32_e32 v50, 0x7f, v15
	v_cmp_ne_u32_e32 vcc, s92, v50
	v_mov_b32_e32 v19, 0x7f800001
	s_and_saveexec_b64 s[68:69], vcc
	s_cbranch_execz .LBB6_3419
; %bb.3418:                             ;   in Loop: Header=BB6_3409 Depth=3
	v_and_b32_e32 v19, 7, v14
	v_ffbh_u32_e32 v6, v19
	v_min_u32_e32 v21, 32, v6
	v_subrev_u32_e32 v6, 28, v21
	v_lshlrev_b64 v[6:7], v6, v[14:15]
	v_lshrrev_b32_e32 v20, 3, v50
	v_sub_u32_e32 v7, 29, v21
	v_and_b32_e32 v6, 7, v6
	v_cmp_gt_u32_e32 vcc, 8, v50
	v_cndmask_b32_e32 v7, v20, v7, vcc
	v_cndmask_b32_e32 v6, v19, v6, vcc
	v_lshlrev_b32_e32 v14, 24, v15
	v_lshlrev_b32_e32 v6, 20, v6
	v_and_b32_e32 v14, 0x80000000, v14
	v_lshl_add_u32 v7, v7, 23, v31
	v_or3_b32 v19, v14, v7, v6
.LBB6_3419:                             ;   in Loop: Header=BB6_3409 Depth=3
	s_or_b64 exec, exec, s[68:69]
.LBB6_3420:                             ;   in Loop: Header=BB6_3409 Depth=3
	s_or_b64 exec, exec, s[66:67]
.LBB6_3421:                             ;   in Loop: Header=BB6_3409 Depth=3
	s_or_b64 exec, exec, s[28:29]
	v_add_f32_e32 v14, v26, v19
	v_and_b32_sdwa v45, v14, s91 dst_sel:DWORD dst_unused:UNUSED_PAD src0_sel:BYTE_3 src1_sel:DWORD
	v_and_b32_e32 v6, 0x7f800000, v14
	v_mov_b32_e32 v7, v27
	v_and_b32_e32 v26, 0x7fffff, v14
	v_or_b32_e32 v19, 0x7e, v45
	v_cmp_ne_u64_e32 vcc, s[52:53], v[6:7]
	s_and_saveexec_b64 s[28:29], vcc
	s_xor_b64 s[66:67], exec, s[28:29]
	s_cbranch_execz .LBB6_3435
; %bb.3422:                             ;   in Loop: Header=BB6_3409 Depth=3
	v_and_b32_e32 v6, 0x7fffffff, v14
	v_mov_b32_e32 v7, v27
	v_cmp_gt_u64_e32 vcc, s[54:55], v[6:7]
	s_and_saveexec_b64 s[28:29], vcc
	s_xor_b64 s[68:69], exec, s[28:29]
	s_cbranch_execz .LBB6_3434
; %bb.3423:                             ;   in Loop: Header=BB6_3409 Depth=3
	v_cmp_ne_u32_e32 vcc, 0, v14
	v_mov_b32_e32 v19, 0
	s_and_saveexec_b64 s[70:71], vcc
	s_cbranch_execz .LBB6_3433
; %bb.3424:                             ;   in Loop: Header=BB6_3409 Depth=3
	v_bfe_u32 v6, v14, 23, 8
	v_sub_u32_e32 v14, 0x79, v6
	v_cmp_gt_u32_e32 vcc, s93, v6
	v_add_u32_e32 v7, 0xffffff81, v6
	v_cndmask_b32_e32 v14, 0, v14, vcc
	v_cmp_eq_u32_e32 vcc, 0, v6
	v_mov_b32_e32 v0, 0xffffff82
	v_cndmask_b32_e32 v19, v7, v0, vcc
	v_mov_b32_e32 v0, 0x78
	v_cndmask_b32_e32 v32, v14, v0, vcc
	v_or_b32_e32 v15, 0x800000, v26
	v_add_u32_e32 v6, 20, v32
	v_cndmask_b32_e32 v26, v15, v26, vcc
	v_lshlrev_b64 v[6:7], v6, -1
	v_not_b32_e32 v6, v6
	v_lshrrev_b64 v[20:21], v32, v[26:27]
	v_not_b32_e32 v7, v7
	v_and_b32_e32 v6, v26, v6
	v_add_u32_e32 v14, 19, v32
	v_lshrrev_b32_e32 v26, 23, v20
	v_and_b32_e32 v7, 0, v7
	v_lshlrev_b64 v[14:15], v14, 1
	v_add3_u32 v50, v32, v19, v26
	v_bfe_u32 v26, v20, 20, 1
	v_add_u32_e32 v26, -1, v26
	v_cmp_eq_u64_e32 vcc, v[6:7], v[14:15]
	v_cndmask_b32_e32 v6, 0, v26, vcc
	v_add_u32_e32 v6, v6, v20
	v_and_b32_e32 v6, 0xfffff, v6
	v_add_co_u32_e32 v14, vcc, v6, v20
	v_add_u32_e32 v19, 6, v50
	v_addc_co_u32_e32 v15, vcc, 0, v21, vcc
	v_cmp_ne_u32_e32 vcc, 0, v19
                                        ; implicit-def: $vgpr26
	s_and_saveexec_b64 s[28:29], vcc
	s_xor_b64 s[28:29], exec, s[28:29]
; %bb.3425:                             ;   in Loop: Header=BB6_3409 Depth=3
	v_add_u32_e32 v6, 7, v50
	v_cmp_lt_u64_e32 vcc, s[56:57], v[14:15]
	v_cndmask_b32_e32 v26, v19, v6, vcc
	v_cndmask_b32_e64 v6, 0, 1, vcc
	v_lshrrev_b64 v[14:15], v6, v[14:15]
; %bb.3426:                             ;   in Loop: Header=BB6_3409 Depth=3
	s_andn2_saveexec_b64 s[28:29], s[28:29]
; %bb.3427:                             ;   in Loop: Header=BB6_3409 Depth=3
	v_bfe_u32 v26, v14, 23, 1
; %bb.3428:                             ;   in Loop: Header=BB6_3409 Depth=3
	s_or_b64 exec, exec, s[28:29]
	v_lshrrev_b64 v[6:7], 20, v[14:15]
	v_cmp_gt_i32_e32 vcc, 16, v26
	v_cndmask_b32_e32 v15, 0, v7, vcc
	v_cndmask_b32_e32 v14, 7, v6, vcc
	v_cmp_ne_u32_e32 vcc, 0, v26
	v_cmp_ne_u64_e64 s[28:29], 0, v[14:15]
	s_or_b64 s[28:29], vcc, s[28:29]
                                        ; implicit-def: $vgpr19
	s_and_saveexec_b64 vcc, s[28:29]
	s_xor_b64 s[28:29], exec, vcc
; %bb.3429:                             ;   in Loop: Header=BB6_3409 Depth=3
	v_min_i32_e32 v6, 15, v26
	v_lshl_or_b32 v6, v6, 3, v45
	v_and_or_b32 v19, v14, 7, v6
                                        ; implicit-def: $vgpr45
; %bb.3430:                             ;   in Loop: Header=BB6_3409 Depth=3
	s_andn2_saveexec_b64 s[28:29], s[28:29]
; %bb.3431:                             ;   in Loop: Header=BB6_3409 Depth=3
	v_mov_b32_e32 v19, v45
; %bb.3432:                             ;   in Loop: Header=BB6_3409 Depth=3
	s_or_b64 exec, exec, s[28:29]
.LBB6_3433:                             ;   in Loop: Header=BB6_3409 Depth=3
	s_or_b64 exec, exec, s[70:71]
.LBB6_3434:                             ;   in Loop: Header=BB6_3409 Depth=3
	s_andn2_saveexec_b64 s[28:29], s[68:69]
	s_or_b64 exec, exec, s[28:29]
                                        ; implicit-def: $vgpr14
.LBB6_3435:                             ;   in Loop: Header=BB6_3409 Depth=3
	s_andn2_saveexec_b64 s[28:29], s[66:67]
; %bb.3436:                             ;   in Loop: Header=BB6_3409 Depth=3
	v_or_b32_sdwa v6, v14, s92 dst_sel:DWORD dst_unused:UNUSED_PAD src0_sel:BYTE_3 src1_sel:DWORD
	v_cmp_eq_u64_e32 vcc, 0, v[26:27]
	v_cndmask_b32_e32 v19, v6, v19, vcc
; %bb.3437:                             ;   in Loop: Header=BB6_3409 Depth=3
	s_or_b64 exec, exec, s[28:29]
	v_and_b32_e32 v14, 0xff, v18
	v_cmp_ne_u16_e32 vcc, 0, v14
	v_mov_b32_e32 v15, 0
	v_mov_b32_e32 v26, 0
	s_and_saveexec_b64 s[28:29], vcc
	s_cbranch_execz .LBB6_3443
; %bb.3438:                             ;   in Loop: Header=BB6_3409 Depth=3
	v_cmp_ne_u16_e32 vcc, s91, v14
	v_bfrev_b32_e32 v26, 1
	s_and_saveexec_b64 s[66:67], vcc
	s_cbranch_execz .LBB6_3442
; %bb.3439:                             ;   in Loop: Header=BB6_3409 Depth=3
	v_and_b32_e32 v50, 0x7f, v18
	v_cmp_ne_u32_e32 vcc, s92, v50
	v_mov_b32_e32 v26, 0x7f800001
	s_and_saveexec_b64 s[68:69], vcc
	s_cbranch_execz .LBB6_3441
; %bb.3440:                             ;   in Loop: Header=BB6_3409 Depth=3
	v_and_b32_e32 v20, 7, v14
	v_ffbh_u32_e32 v6, v20
	v_min_u32_e32 v26, 32, v6
	v_subrev_u32_e32 v6, 28, v26
	v_lshlrev_b64 v[6:7], v6, v[14:15]
	v_lshrrev_b32_e32 v21, 3, v50
	v_sub_u32_e32 v7, 29, v26
	v_and_b32_e32 v6, 7, v6
	v_cmp_gt_u32_e32 vcc, 8, v50
	v_cndmask_b32_e32 v7, v21, v7, vcc
	v_cndmask_b32_e32 v6, v20, v6, vcc
	v_lshlrev_b32_e32 v14, 24, v18
	v_lshlrev_b32_e32 v6, 20, v6
	v_and_b32_e32 v14, 0x80000000, v14
	v_lshl_add_u32 v7, v7, 23, v31
	v_or3_b32 v26, v14, v7, v6
.LBB6_3441:                             ;   in Loop: Header=BB6_3409 Depth=3
	s_or_b64 exec, exec, s[68:69]
.LBB6_3442:                             ;   in Loop: Header=BB6_3409 Depth=3
	s_or_b64 exec, exec, s[66:67]
.LBB6_3443:                             ;   in Loop: Header=BB6_3409 Depth=3
	s_or_b64 exec, exec, s[28:29]
	v_and_b32_e32 v14, 0xff, v1
	v_cmp_ne_u16_e32 vcc, 0, v14
	s_and_saveexec_b64 s[28:29], vcc
	s_cbranch_execz .LBB6_3449
; %bb.3444:                             ;   in Loop: Header=BB6_3409 Depth=3
	v_cmp_ne_u16_e32 vcc, s91, v14
	v_bfrev_b32_e32 v15, 1
	s_and_saveexec_b64 s[66:67], vcc
	s_cbranch_execz .LBB6_3448
; %bb.3445:                             ;   in Loop: Header=BB6_3409 Depth=3
	v_and_b32_e32 v18, 0x7f, v1
	v_cmp_ne_u32_e32 vcc, s92, v18
	v_mov_b32_e32 v15, 0x7f800001
	s_and_saveexec_b64 s[68:69], vcc
	s_cbranch_execz .LBB6_3447
; %bb.3446:                             ;   in Loop: Header=BB6_3409 Depth=3
	v_and_b32_e32 v15, 7, v14
	v_ffbh_u32_e32 v6, v15
	v_min_u32_e32 v21, 32, v6
	v_subrev_u32_e32 v6, 28, v21
	v_lshlrev_b64 v[6:7], v6, v[14:15]
	v_lshrrev_b32_e32 v20, 3, v18
	v_sub_u32_e32 v7, 29, v21
	v_and_b32_e32 v6, 7, v6
	v_cmp_gt_u32_e32 vcc, 8, v18
	v_cndmask_b32_e32 v7, v20, v7, vcc
	v_cndmask_b32_e32 v6, v15, v6, vcc
	v_lshlrev_b32_e32 v1, 24, v1
	v_lshlrev_b32_e32 v6, 20, v6
	v_and_b32_e32 v1, 0x80000000, v1
	v_lshl_add_u32 v7, v7, 23, v31
	v_or3_b32 v15, v1, v7, v6
.LBB6_3447:                             ;   in Loop: Header=BB6_3409 Depth=3
	s_or_b64 exec, exec, s[68:69]
.LBB6_3448:                             ;   in Loop: Header=BB6_3409 Depth=3
	s_or_b64 exec, exec, s[66:67]
.LBB6_3449:                             ;   in Loop: Header=BB6_3409 Depth=3
	s_or_b64 exec, exec, s[28:29]
	v_add_f32_e32 v14, v26, v15
	v_and_b32_sdwa v18, v14, s91 dst_sel:DWORD dst_unused:UNUSED_PAD src0_sel:BYTE_3 src1_sel:DWORD
	v_and_b32_e32 v6, 0x7f800000, v14
	v_mov_b32_e32 v7, v27
	v_and_b32_e32 v26, 0x7fffff, v14
	v_or_b32_e32 v1, 0x7e, v18
	v_cmp_ne_u64_e32 vcc, s[52:53], v[6:7]
	s_and_saveexec_b64 s[28:29], vcc
	s_xor_b64 s[66:67], exec, s[28:29]
	s_cbranch_execz .LBB6_3463
; %bb.3450:                             ;   in Loop: Header=BB6_3409 Depth=3
	v_and_b32_e32 v6, 0x7fffffff, v14
	v_mov_b32_e32 v7, v27
	v_cmp_gt_u64_e32 vcc, s[54:55], v[6:7]
	s_and_saveexec_b64 s[28:29], vcc
	s_xor_b64 s[68:69], exec, s[28:29]
	s_cbranch_execz .LBB6_3462
; %bb.3451:                             ;   in Loop: Header=BB6_3409 Depth=3
	v_cmp_ne_u32_e32 vcc, 0, v14
	v_mov_b32_e32 v1, 0
	s_and_saveexec_b64 s[70:71], vcc
	s_cbranch_execz .LBB6_3461
; %bb.3452:                             ;   in Loop: Header=BB6_3409 Depth=3
	v_bfe_u32 v1, v14, 23, 8
	v_sub_u32_e32 v7, 0x79, v1
	v_cmp_gt_u32_e32 vcc, s93, v1
	v_add_u32_e32 v6, 0xffffff81, v1
	v_cndmask_b32_e32 v7, 0, v7, vcc
	v_cmp_eq_u32_e32 vcc, 0, v1
	v_mov_b32_e32 v0, 0xffffff82
	v_cndmask_b32_e32 v1, v6, v0, vcc
	v_mov_b32_e32 v0, 0x78
	v_cndmask_b32_e32 v32, v7, v0, vcc
	v_or_b32_e32 v14, 0x800000, v26
	v_add_u32_e32 v6, 20, v32
	v_cndmask_b32_e32 v26, v14, v26, vcc
	v_lshlrev_b64 v[6:7], v6, -1
	v_not_b32_e32 v6, v6
	v_lshrrev_b64 v[20:21], v32, v[26:27]
	v_not_b32_e32 v7, v7
	v_and_b32_e32 v6, v26, v6
	v_add_u32_e32 v14, 19, v32
	v_lshrrev_b32_e32 v26, 23, v20
	v_and_b32_e32 v7, 0, v7
	v_lshlrev_b64 v[14:15], v14, 1
	v_add3_u32 v50, v32, v1, v26
	v_bfe_u32 v26, v20, 20, 1
	v_add_u32_e32 v26, -1, v26
	v_cmp_eq_u64_e32 vcc, v[6:7], v[14:15]
	v_cndmask_b32_e32 v6, 0, v26, vcc
	v_add_u32_e32 v6, v6, v20
	v_and_b32_e32 v6, 0xfffff, v6
	v_add_co_u32_e32 v14, vcc, v6, v20
	v_add_u32_e32 v1, 6, v50
	v_addc_co_u32_e32 v15, vcc, 0, v21, vcc
	v_cmp_ne_u32_e32 vcc, 0, v1
                                        ; implicit-def: $vgpr26
	s_and_saveexec_b64 s[28:29], vcc
	s_xor_b64 s[28:29], exec, s[28:29]
; %bb.3453:                             ;   in Loop: Header=BB6_3409 Depth=3
	v_add_u32_e32 v6, 7, v50
	v_cmp_lt_u64_e32 vcc, s[56:57], v[14:15]
	v_cndmask_b32_e32 v26, v1, v6, vcc
	v_cndmask_b32_e64 v1, 0, 1, vcc
	v_lshrrev_b64 v[14:15], v1, v[14:15]
; %bb.3454:                             ;   in Loop: Header=BB6_3409 Depth=3
	s_andn2_saveexec_b64 s[28:29], s[28:29]
; %bb.3455:                             ;   in Loop: Header=BB6_3409 Depth=3
	v_bfe_u32 v26, v14, 23, 1
; %bb.3456:                             ;   in Loop: Header=BB6_3409 Depth=3
	s_or_b64 exec, exec, s[28:29]
	v_lshrrev_b64 v[6:7], 20, v[14:15]
	v_cmp_gt_i32_e32 vcc, 16, v26
	v_cndmask_b32_e32 v15, 0, v7, vcc
	v_cndmask_b32_e32 v14, 7, v6, vcc
	v_cmp_ne_u32_e32 vcc, 0, v26
	v_cmp_ne_u64_e64 s[28:29], 0, v[14:15]
	s_or_b64 s[28:29], vcc, s[28:29]
                                        ; implicit-def: $vgpr1
	s_and_saveexec_b64 vcc, s[28:29]
	s_xor_b64 s[28:29], exec, vcc
; %bb.3457:                             ;   in Loop: Header=BB6_3409 Depth=3
	v_min_i32_e32 v1, 15, v26
	v_lshl_or_b32 v1, v1, 3, v18
	v_and_or_b32 v1, v14, 7, v1
                                        ; implicit-def: $vgpr18
; %bb.3458:                             ;   in Loop: Header=BB6_3409 Depth=3
	s_andn2_saveexec_b64 s[28:29], s[28:29]
; %bb.3459:                             ;   in Loop: Header=BB6_3409 Depth=3
	v_mov_b32_e32 v1, v18
; %bb.3460:                             ;   in Loop: Header=BB6_3409 Depth=3
	s_or_b64 exec, exec, s[28:29]
.LBB6_3461:                             ;   in Loop: Header=BB6_3409 Depth=3
	s_or_b64 exec, exec, s[70:71]
.LBB6_3462:                             ;   in Loop: Header=BB6_3409 Depth=3
	s_andn2_saveexec_b64 s[28:29], s[68:69]
	s_or_b64 exec, exec, s[28:29]
                                        ; implicit-def: $vgpr14
.LBB6_3463:                             ;   in Loop: Header=BB6_3409 Depth=3
	s_andn2_saveexec_b64 s[28:29], s[66:67]
; %bb.3464:                             ;   in Loop: Header=BB6_3409 Depth=3
	v_or_b32_sdwa v6, v14, s92 dst_sel:DWORD dst_unused:UNUSED_PAD src0_sel:BYTE_3 src1_sel:DWORD
	v_cmp_eq_u64_e32 vcc, 0, v[26:27]
	v_cndmask_b32_e32 v1, v6, v1, vcc
; %bb.3465:                             ;   in Loop: Header=BB6_3409 Depth=3
	s_or_b64 exec, exec, s[28:29]
	v_and_b32_e32 v14, 0xff, v29
	v_cmp_ne_u16_e32 vcc, 0, v14
	v_mov_b32_e32 v15, 0
	v_mov_b32_e32 v18, 0
	s_and_saveexec_b64 s[28:29], vcc
	s_cbranch_execz .LBB6_3471
; %bb.3466:                             ;   in Loop: Header=BB6_3409 Depth=3
	v_cmp_ne_u16_e32 vcc, s91, v14
	v_bfrev_b32_e32 v18, 1
	s_and_saveexec_b64 s[66:67], vcc
	s_cbranch_execz .LBB6_3470
; %bb.3467:                             ;   in Loop: Header=BB6_3409 Depth=3
	v_and_b32_e32 v26, 0x7f, v29
	v_cmp_ne_u32_e32 vcc, s92, v26
	v_mov_b32_e32 v18, 0x7f800001
	s_and_saveexec_b64 s[68:69], vcc
	s_cbranch_execz .LBB6_3469
; %bb.3468:                             ;   in Loop: Header=BB6_3409 Depth=3
	v_and_b32_e32 v18, 7, v14
	v_ffbh_u32_e32 v6, v18
	v_min_u32_e32 v21, 32, v6
	v_subrev_u32_e32 v6, 28, v21
	v_lshlrev_b64 v[6:7], v6, v[14:15]
	v_lshrrev_b32_e32 v20, 3, v26
	v_sub_u32_e32 v7, 29, v21
	v_and_b32_e32 v6, 7, v6
	v_cmp_gt_u32_e32 vcc, 8, v26
	v_cndmask_b32_e32 v7, v20, v7, vcc
	v_cndmask_b32_e32 v6, v18, v6, vcc
	v_lshlrev_b32_e32 v14, 24, v29
	v_lshlrev_b32_e32 v6, 20, v6
	v_and_b32_e32 v14, 0x80000000, v14
	v_lshl_add_u32 v7, v7, 23, v31
	v_or3_b32 v18, v14, v7, v6
.LBB6_3469:                             ;   in Loop: Header=BB6_3409 Depth=3
	s_or_b64 exec, exec, s[68:69]
.LBB6_3470:                             ;   in Loop: Header=BB6_3409 Depth=3
	s_or_b64 exec, exec, s[66:67]
.LBB6_3471:                             ;   in Loop: Header=BB6_3409 Depth=3
	s_or_b64 exec, exec, s[28:29]
	v_and_b32_e32 v14, 0xff, v23
	v_cmp_ne_u16_e32 vcc, 0, v14
	s_and_saveexec_b64 s[28:29], vcc
	s_cbranch_execz .LBB6_3477
; %bb.3472:                             ;   in Loop: Header=BB6_3409 Depth=3
	v_cmp_ne_u16_e32 vcc, s91, v14
	v_bfrev_b32_e32 v15, 1
	s_and_saveexec_b64 s[66:67], vcc
	s_cbranch_execz .LBB6_3476
; %bb.3473:                             ;   in Loop: Header=BB6_3409 Depth=3
	v_and_b32_e32 v26, 0x7f, v23
	v_cmp_ne_u32_e32 vcc, s92, v26
	v_mov_b32_e32 v15, 0x7f800001
	s_and_saveexec_b64 s[68:69], vcc
	s_cbranch_execz .LBB6_3475
; %bb.3474:                             ;   in Loop: Header=BB6_3409 Depth=3
	v_and_b32_e32 v15, 7, v14
	v_ffbh_u32_e32 v6, v15
	v_min_u32_e32 v21, 32, v6
	v_subrev_u32_e32 v6, 28, v21
	v_lshlrev_b64 v[6:7], v6, v[14:15]
	v_lshrrev_b32_e32 v20, 3, v26
	v_sub_u32_e32 v7, 29, v21
	v_and_b32_e32 v6, 7, v6
	v_cmp_gt_u32_e32 vcc, 8, v26
	v_cndmask_b32_e32 v7, v20, v7, vcc
	v_cndmask_b32_e32 v6, v15, v6, vcc
	v_lshlrev_b32_e32 v14, 24, v23
	v_lshlrev_b32_e32 v6, 20, v6
	v_and_b32_e32 v14, 0x80000000, v14
	v_lshl_add_u32 v7, v7, 23, v31
	v_or3_b32 v15, v14, v7, v6
.LBB6_3475:                             ;   in Loop: Header=BB6_3409 Depth=3
	s_or_b64 exec, exec, s[68:69]
.LBB6_3476:                             ;   in Loop: Header=BB6_3409 Depth=3
	s_or_b64 exec, exec, s[66:67]
.LBB6_3477:                             ;   in Loop: Header=BB6_3409 Depth=3
	s_or_b64 exec, exec, s[28:29]
	v_add_f32_e32 v14, v18, v15
	v_and_b32_sdwa v18, v14, s91 dst_sel:DWORD dst_unused:UNUSED_PAD src0_sel:BYTE_3 src1_sel:DWORD
	v_and_b32_e32 v6, 0x7f800000, v14
	v_mov_b32_e32 v7, v27
	v_and_b32_e32 v26, 0x7fffff, v14
	v_or_b32_e32 v23, 0x7e, v18
	v_cmp_ne_u64_e32 vcc, s[52:53], v[6:7]
	s_and_saveexec_b64 s[28:29], vcc
	s_xor_b64 s[66:67], exec, s[28:29]
	s_cbranch_execz .LBB6_3491
; %bb.3478:                             ;   in Loop: Header=BB6_3409 Depth=3
	v_and_b32_e32 v6, 0x7fffffff, v14
	v_mov_b32_e32 v7, v27
	v_cmp_gt_u64_e32 vcc, s[54:55], v[6:7]
	s_and_saveexec_b64 s[28:29], vcc
	s_xor_b64 s[68:69], exec, s[28:29]
	s_cbranch_execz .LBB6_3490
; %bb.3479:                             ;   in Loop: Header=BB6_3409 Depth=3
	v_cmp_ne_u32_e32 vcc, 0, v14
	v_mov_b32_e32 v23, 0
	s_and_saveexec_b64 s[70:71], vcc
	s_cbranch_execz .LBB6_3489
; %bb.3480:                             ;   in Loop: Header=BB6_3409 Depth=3
	v_bfe_u32 v6, v14, 23, 8
	v_sub_u32_e32 v14, 0x79, v6
	v_cmp_gt_u32_e32 vcc, s93, v6
	v_add_u32_e32 v7, 0xffffff81, v6
	v_cndmask_b32_e32 v14, 0, v14, vcc
	v_cmp_eq_u32_e32 vcc, 0, v6
	v_mov_b32_e32 v0, 0xffffff82
	v_cndmask_b32_e32 v23, v7, v0, vcc
	v_mov_b32_e32 v0, 0x78
	v_cndmask_b32_e32 v29, v14, v0, vcc
	v_or_b32_e32 v15, 0x800000, v26
	v_add_u32_e32 v6, 20, v29
	v_cndmask_b32_e32 v26, v15, v26, vcc
	v_lshlrev_b64 v[6:7], v6, -1
	v_not_b32_e32 v6, v6
	v_lshrrev_b64 v[20:21], v29, v[26:27]
	v_not_b32_e32 v7, v7
	v_and_b32_e32 v6, v26, v6
	v_add_u32_e32 v14, 19, v29
	v_lshrrev_b32_e32 v26, 23, v20
	v_and_b32_e32 v7, 0, v7
	v_lshlrev_b64 v[14:15], v14, 1
	v_add3_u32 v29, v29, v23, v26
	v_bfe_u32 v26, v20, 20, 1
	v_add_u32_e32 v26, -1, v26
	v_cmp_eq_u64_e32 vcc, v[6:7], v[14:15]
	v_cndmask_b32_e32 v6, 0, v26, vcc
	v_add_u32_e32 v6, v6, v20
	v_and_b32_e32 v6, 0xfffff, v6
	v_add_co_u32_e32 v14, vcc, v6, v20
	v_add_u32_e32 v23, 6, v29
	v_addc_co_u32_e32 v15, vcc, 0, v21, vcc
	v_cmp_ne_u32_e32 vcc, 0, v23
                                        ; implicit-def: $vgpr26
	s_and_saveexec_b64 s[28:29], vcc
	s_xor_b64 s[28:29], exec, s[28:29]
; %bb.3481:                             ;   in Loop: Header=BB6_3409 Depth=3
	v_add_u32_e32 v6, 7, v29
	v_cmp_lt_u64_e32 vcc, s[56:57], v[14:15]
	v_cndmask_b32_e32 v26, v23, v6, vcc
	v_cndmask_b32_e64 v6, 0, 1, vcc
	v_lshrrev_b64 v[14:15], v6, v[14:15]
; %bb.3482:                             ;   in Loop: Header=BB6_3409 Depth=3
	s_andn2_saveexec_b64 s[28:29], s[28:29]
; %bb.3483:                             ;   in Loop: Header=BB6_3409 Depth=3
	v_bfe_u32 v26, v14, 23, 1
; %bb.3484:                             ;   in Loop: Header=BB6_3409 Depth=3
	s_or_b64 exec, exec, s[28:29]
	v_lshrrev_b64 v[6:7], 20, v[14:15]
	v_cmp_gt_i32_e32 vcc, 16, v26
	v_cndmask_b32_e32 v15, 0, v7, vcc
	v_cndmask_b32_e32 v14, 7, v6, vcc
	v_cmp_ne_u32_e32 vcc, 0, v26
	v_cmp_ne_u64_e64 s[28:29], 0, v[14:15]
	s_or_b64 s[28:29], vcc, s[28:29]
                                        ; implicit-def: $vgpr23
	s_and_saveexec_b64 vcc, s[28:29]
	s_xor_b64 s[28:29], exec, vcc
; %bb.3485:                             ;   in Loop: Header=BB6_3409 Depth=3
	v_min_i32_e32 v6, 15, v26
	v_lshl_or_b32 v6, v6, 3, v18
	v_and_or_b32 v23, v14, 7, v6
                                        ; implicit-def: $vgpr18
; %bb.3486:                             ;   in Loop: Header=BB6_3409 Depth=3
	s_andn2_saveexec_b64 s[28:29], s[28:29]
; %bb.3487:                             ;   in Loop: Header=BB6_3409 Depth=3
	v_mov_b32_e32 v23, v18
; %bb.3488:                             ;   in Loop: Header=BB6_3409 Depth=3
	s_or_b64 exec, exec, s[28:29]
.LBB6_3489:                             ;   in Loop: Header=BB6_3409 Depth=3
	s_or_b64 exec, exec, s[70:71]
.LBB6_3490:                             ;   in Loop: Header=BB6_3409 Depth=3
	s_andn2_saveexec_b64 s[28:29], s[68:69]
	s_or_b64 exec, exec, s[28:29]
                                        ; implicit-def: $vgpr14
.LBB6_3491:                             ;   in Loop: Header=BB6_3409 Depth=3
	s_andn2_saveexec_b64 s[28:29], s[66:67]
; %bb.3492:                             ;   in Loop: Header=BB6_3409 Depth=3
	v_or_b32_sdwa v6, v14, s92 dst_sel:DWORD dst_unused:UNUSED_PAD src0_sel:BYTE_3 src1_sel:DWORD
	v_cmp_eq_u64_e32 vcc, 0, v[26:27]
	v_cndmask_b32_e32 v23, v6, v23, vcc
; %bb.3493:                             ;   in Loop: Header=BB6_3409 Depth=3
	s_or_b64 exec, exec, s[28:29]
	v_and_b32_e32 v14, 0xff, v43
	v_cmp_ne_u16_e32 vcc, 0, v14
	v_mov_b32_e32 v15, 0
	v_mov_b32_e32 v18, 0
	s_and_saveexec_b64 s[28:29], vcc
	s_cbranch_execz .LBB6_3499
; %bb.3494:                             ;   in Loop: Header=BB6_3409 Depth=3
	v_cmp_ne_u16_e32 vcc, s91, v14
	v_bfrev_b32_e32 v18, 1
	s_and_saveexec_b64 s[66:67], vcc
	s_cbranch_execz .LBB6_3498
; %bb.3495:                             ;   in Loop: Header=BB6_3409 Depth=3
	v_and_b32_e32 v26, 0x7f, v43
	v_cmp_ne_u32_e32 vcc, s92, v26
	v_mov_b32_e32 v18, 0x7f800001
	s_and_saveexec_b64 s[68:69], vcc
	s_cbranch_execz .LBB6_3497
; %bb.3496:                             ;   in Loop: Header=BB6_3409 Depth=3
	v_and_b32_e32 v18, 7, v14
	v_ffbh_u32_e32 v6, v18
	v_min_u32_e32 v21, 32, v6
	v_subrev_u32_e32 v6, 28, v21
	v_lshlrev_b64 v[6:7], v6, v[14:15]
	v_lshrrev_b32_e32 v20, 3, v26
	v_sub_u32_e32 v7, 29, v21
	v_and_b32_e32 v6, 7, v6
	v_cmp_gt_u32_e32 vcc, 8, v26
	v_cndmask_b32_e32 v7, v20, v7, vcc
	v_cndmask_b32_e32 v6, v18, v6, vcc
	v_lshlrev_b32_e32 v14, 24, v43
	v_lshlrev_b32_e32 v6, 20, v6
	v_and_b32_e32 v14, 0x80000000, v14
	v_lshl_add_u32 v7, v7, 23, v31
	v_or3_b32 v18, v14, v7, v6
.LBB6_3497:                             ;   in Loop: Header=BB6_3409 Depth=3
	s_or_b64 exec, exec, s[68:69]
.LBB6_3498:                             ;   in Loop: Header=BB6_3409 Depth=3
	s_or_b64 exec, exec, s[66:67]
.LBB6_3499:                             ;   in Loop: Header=BB6_3409 Depth=3
	s_or_b64 exec, exec, s[28:29]
	v_and_b32_e32 v14, 0xff, v28
	v_cmp_ne_u16_e32 vcc, 0, v14
	s_and_saveexec_b64 s[28:29], vcc
	s_cbranch_execz .LBB6_3505
; %bb.3500:                             ;   in Loop: Header=BB6_3409 Depth=3
	v_cmp_ne_u16_e32 vcc, s91, v14
	v_bfrev_b32_e32 v15, 1
	s_and_saveexec_b64 s[66:67], vcc
	s_cbranch_execz .LBB6_3504
; %bb.3501:                             ;   in Loop: Header=BB6_3409 Depth=3
	v_and_b32_e32 v26, 0x7f, v28
	v_cmp_ne_u32_e32 vcc, s92, v26
	v_mov_b32_e32 v15, 0x7f800001
	s_and_saveexec_b64 s[68:69], vcc
	s_cbranch_execz .LBB6_3503
; %bb.3502:                             ;   in Loop: Header=BB6_3409 Depth=3
	v_and_b32_e32 v15, 7, v14
	v_ffbh_u32_e32 v6, v15
	v_min_u32_e32 v21, 32, v6
	v_subrev_u32_e32 v6, 28, v21
	v_lshlrev_b64 v[6:7], v6, v[14:15]
	v_lshrrev_b32_e32 v20, 3, v26
	v_sub_u32_e32 v7, 29, v21
	v_and_b32_e32 v6, 7, v6
	v_cmp_gt_u32_e32 vcc, 8, v26
	v_cndmask_b32_e32 v7, v20, v7, vcc
	v_cndmask_b32_e32 v6, v15, v6, vcc
	v_lshlrev_b32_e32 v14, 24, v28
	v_lshlrev_b32_e32 v6, 20, v6
	v_and_b32_e32 v14, 0x80000000, v14
	v_lshl_add_u32 v7, v7, 23, v31
	v_or3_b32 v15, v14, v7, v6
.LBB6_3503:                             ;   in Loop: Header=BB6_3409 Depth=3
	s_or_b64 exec, exec, s[68:69]
.LBB6_3504:                             ;   in Loop: Header=BB6_3409 Depth=3
	s_or_b64 exec, exec, s[66:67]
.LBB6_3505:                             ;   in Loop: Header=BB6_3409 Depth=3
	s_or_b64 exec, exec, s[28:29]
	v_add_f32_e32 v14, v18, v15
	v_and_b32_sdwa v18, v14, s91 dst_sel:DWORD dst_unused:UNUSED_PAD src0_sel:BYTE_3 src1_sel:DWORD
	v_and_b32_e32 v6, 0x7f800000, v14
	v_mov_b32_e32 v7, v27
	v_and_b32_e32 v26, 0x7fffff, v14
	v_or_b32_e32 v28, 0x7e, v18
	v_cmp_ne_u64_e32 vcc, s[52:53], v[6:7]
	s_and_saveexec_b64 s[28:29], vcc
	s_xor_b64 s[66:67], exec, s[28:29]
	s_cbranch_execz .LBB6_3519
; %bb.3506:                             ;   in Loop: Header=BB6_3409 Depth=3
	v_and_b32_e32 v6, 0x7fffffff, v14
	v_mov_b32_e32 v7, v27
	v_cmp_gt_u64_e32 vcc, s[54:55], v[6:7]
	s_and_saveexec_b64 s[28:29], vcc
	s_xor_b64 s[68:69], exec, s[28:29]
	s_cbranch_execz .LBB6_3518
; %bb.3507:                             ;   in Loop: Header=BB6_3409 Depth=3
	v_cmp_ne_u32_e32 vcc, 0, v14
	v_mov_b32_e32 v28, 0
	s_and_saveexec_b64 s[70:71], vcc
	s_cbranch_execz .LBB6_3517
; %bb.3508:                             ;   in Loop: Header=BB6_3409 Depth=3
	v_bfe_u32 v6, v14, 23, 8
	v_sub_u32_e32 v14, 0x79, v6
	v_cmp_gt_u32_e32 vcc, s93, v6
	v_add_u32_e32 v7, 0xffffff81, v6
	v_cndmask_b32_e32 v14, 0, v14, vcc
	v_cmp_eq_u32_e32 vcc, 0, v6
	v_mov_b32_e32 v0, 0xffffff82
	v_cndmask_b32_e32 v28, v7, v0, vcc
	v_mov_b32_e32 v0, 0x78
	v_cndmask_b32_e32 v29, v14, v0, vcc
	v_or_b32_e32 v15, 0x800000, v26
	v_add_u32_e32 v6, 20, v29
	v_cndmask_b32_e32 v26, v15, v26, vcc
	v_lshlrev_b64 v[6:7], v6, -1
	v_not_b32_e32 v6, v6
	v_lshrrev_b64 v[20:21], v29, v[26:27]
	v_not_b32_e32 v7, v7
	v_and_b32_e32 v6, v26, v6
	v_add_u32_e32 v14, 19, v29
	v_lshrrev_b32_e32 v26, 23, v20
	v_and_b32_e32 v7, 0, v7
	v_lshlrev_b64 v[14:15], v14, 1
	v_add3_u32 v29, v29, v28, v26
	v_bfe_u32 v26, v20, 20, 1
	v_add_u32_e32 v26, -1, v26
	v_cmp_eq_u64_e32 vcc, v[6:7], v[14:15]
	v_cndmask_b32_e32 v6, 0, v26, vcc
	v_add_u32_e32 v6, v6, v20
	v_and_b32_e32 v6, 0xfffff, v6
	v_add_co_u32_e32 v14, vcc, v6, v20
	v_add_u32_e32 v28, 6, v29
	v_addc_co_u32_e32 v15, vcc, 0, v21, vcc
	v_cmp_ne_u32_e32 vcc, 0, v28
                                        ; implicit-def: $vgpr26
	s_and_saveexec_b64 s[28:29], vcc
	s_xor_b64 s[28:29], exec, s[28:29]
; %bb.3509:                             ;   in Loop: Header=BB6_3409 Depth=3
	v_add_u32_e32 v6, 7, v29
	v_cmp_lt_u64_e32 vcc, s[56:57], v[14:15]
	v_cndmask_b32_e32 v26, v28, v6, vcc
	v_cndmask_b32_e64 v6, 0, 1, vcc
	v_lshrrev_b64 v[14:15], v6, v[14:15]
; %bb.3510:                             ;   in Loop: Header=BB6_3409 Depth=3
	s_andn2_saveexec_b64 s[28:29], s[28:29]
; %bb.3511:                             ;   in Loop: Header=BB6_3409 Depth=3
	v_bfe_u32 v26, v14, 23, 1
; %bb.3512:                             ;   in Loop: Header=BB6_3409 Depth=3
	s_or_b64 exec, exec, s[28:29]
	v_lshrrev_b64 v[6:7], 20, v[14:15]
	v_cmp_gt_i32_e32 vcc, 16, v26
	v_cndmask_b32_e32 v15, 0, v7, vcc
	v_cndmask_b32_e32 v14, 7, v6, vcc
	v_cmp_ne_u32_e32 vcc, 0, v26
	v_cmp_ne_u64_e64 s[28:29], 0, v[14:15]
	s_or_b64 s[28:29], vcc, s[28:29]
                                        ; implicit-def: $vgpr28
	s_and_saveexec_b64 vcc, s[28:29]
	s_xor_b64 s[28:29], exec, vcc
; %bb.3513:                             ;   in Loop: Header=BB6_3409 Depth=3
	v_min_i32_e32 v6, 15, v26
	v_lshl_or_b32 v6, v6, 3, v18
	v_and_or_b32 v28, v14, 7, v6
                                        ; implicit-def: $vgpr18
; %bb.3514:                             ;   in Loop: Header=BB6_3409 Depth=3
	s_andn2_saveexec_b64 s[28:29], s[28:29]
; %bb.3515:                             ;   in Loop: Header=BB6_3409 Depth=3
	v_mov_b32_e32 v28, v18
; %bb.3516:                             ;   in Loop: Header=BB6_3409 Depth=3
	s_or_b64 exec, exec, s[28:29]
.LBB6_3517:                             ;   in Loop: Header=BB6_3409 Depth=3
	s_or_b64 exec, exec, s[70:71]
.LBB6_3518:                             ;   in Loop: Header=BB6_3409 Depth=3
	s_andn2_saveexec_b64 s[28:29], s[68:69]
	s_or_b64 exec, exec, s[28:29]
                                        ; implicit-def: $vgpr14
.LBB6_3519:                             ;   in Loop: Header=BB6_3409 Depth=3
	s_andn2_saveexec_b64 s[28:29], s[66:67]
; %bb.3520:                             ;   in Loop: Header=BB6_3409 Depth=3
	v_or_b32_sdwa v6, v14, s92 dst_sel:DWORD dst_unused:UNUSED_PAD src0_sel:BYTE_3 src1_sel:DWORD
	v_cmp_eq_u64_e32 vcc, 0, v[26:27]
	v_cndmask_b32_e32 v28, v6, v28, vcc
; %bb.3521:                             ;   in Loop: Header=BB6_3409 Depth=3
	s_or_b64 exec, exec, s[28:29]
	v_and_b32_e32 v14, 0xff, v17
	v_cmp_ne_u16_e32 vcc, 0, v14
	v_mov_b32_e32 v15, 0
	v_mov_b32_e32 v18, 0
	s_and_saveexec_b64 s[28:29], vcc
	s_cbranch_execz .LBB6_3527
; %bb.3522:                             ;   in Loop: Header=BB6_3409 Depth=3
	v_cmp_ne_u16_e32 vcc, s91, v14
	v_bfrev_b32_e32 v18, 1
	s_and_saveexec_b64 s[66:67], vcc
	s_cbranch_execz .LBB6_3526
; %bb.3523:                             ;   in Loop: Header=BB6_3409 Depth=3
	v_and_b32_e32 v26, 0x7f, v17
	v_cmp_ne_u32_e32 vcc, s92, v26
	v_mov_b32_e32 v18, 0x7f800001
	s_and_saveexec_b64 s[68:69], vcc
	s_cbranch_execz .LBB6_3525
; %bb.3524:                             ;   in Loop: Header=BB6_3409 Depth=3
	v_and_b32_e32 v18, 7, v14
	v_ffbh_u32_e32 v6, v18
	v_min_u32_e32 v21, 32, v6
	v_subrev_u32_e32 v6, 28, v21
	v_lshlrev_b64 v[6:7], v6, v[14:15]
	v_lshrrev_b32_e32 v20, 3, v26
	v_sub_u32_e32 v7, 29, v21
	v_and_b32_e32 v6, 7, v6
	v_cmp_gt_u32_e32 vcc, 8, v26
	v_cndmask_b32_e32 v7, v20, v7, vcc
	v_cndmask_b32_e32 v6, v18, v6, vcc
	v_lshlrev_b32_e32 v14, 24, v17
	v_lshlrev_b32_e32 v6, 20, v6
	v_and_b32_e32 v14, 0x80000000, v14
	v_lshl_add_u32 v7, v7, 23, v31
	v_or3_b32 v18, v14, v7, v6
.LBB6_3525:                             ;   in Loop: Header=BB6_3409 Depth=3
	s_or_b64 exec, exec, s[68:69]
.LBB6_3526:                             ;   in Loop: Header=BB6_3409 Depth=3
	s_or_b64 exec, exec, s[66:67]
.LBB6_3527:                             ;   in Loop: Header=BB6_3409 Depth=3
	s_or_b64 exec, exec, s[28:29]
	v_and_b32_e32 v14, 0xff, v37
	v_cmp_ne_u16_e32 vcc, 0, v14
	s_and_saveexec_b64 s[28:29], vcc
	s_cbranch_execz .LBB6_3533
; %bb.3528:                             ;   in Loop: Header=BB6_3409 Depth=3
	v_cmp_ne_u16_e32 vcc, s91, v14
	v_bfrev_b32_e32 v15, 1
	s_and_saveexec_b64 s[66:67], vcc
	s_cbranch_execz .LBB6_3532
; %bb.3529:                             ;   in Loop: Header=BB6_3409 Depth=3
	v_and_b32_e32 v17, 0x7f, v37
	v_cmp_ne_u32_e32 vcc, s92, v17
	v_mov_b32_e32 v15, 0x7f800001
	s_and_saveexec_b64 s[68:69], vcc
	s_cbranch_execz .LBB6_3531
; %bb.3530:                             ;   in Loop: Header=BB6_3409 Depth=3
	v_and_b32_e32 v15, 7, v14
	v_ffbh_u32_e32 v6, v15
	v_min_u32_e32 v21, 32, v6
	v_subrev_u32_e32 v6, 28, v21
	v_lshlrev_b64 v[6:7], v6, v[14:15]
	v_lshrrev_b32_e32 v20, 3, v17
	v_sub_u32_e32 v7, 29, v21
	v_and_b32_e32 v6, 7, v6
	v_cmp_gt_u32_e32 vcc, 8, v17
	v_cndmask_b32_e32 v7, v20, v7, vcc
	v_cndmask_b32_e32 v6, v15, v6, vcc
	v_lshlrev_b32_e32 v14, 24, v37
	v_lshlrev_b32_e32 v6, 20, v6
	v_and_b32_e32 v14, 0x80000000, v14
	v_lshl_add_u32 v7, v7, 23, v31
	v_or3_b32 v15, v14, v7, v6
.LBB6_3531:                             ;   in Loop: Header=BB6_3409 Depth=3
	s_or_b64 exec, exec, s[68:69]
.LBB6_3532:                             ;   in Loop: Header=BB6_3409 Depth=3
	s_or_b64 exec, exec, s[66:67]
.LBB6_3533:                             ;   in Loop: Header=BB6_3409 Depth=3
	s_or_b64 exec, exec, s[28:29]
	v_add_f32_e32 v14, v18, v15
	v_and_b32_sdwa v17, v14, s91 dst_sel:DWORD dst_unused:UNUSED_PAD src0_sel:BYTE_3 src1_sel:DWORD
	v_and_b32_e32 v6, 0x7f800000, v14
	v_mov_b32_e32 v7, v27
	v_and_b32_e32 v26, 0x7fffff, v14
	v_or_b32_e32 v37, 0x7e, v17
	v_cmp_ne_u64_e32 vcc, s[52:53], v[6:7]
	s_and_saveexec_b64 s[28:29], vcc
	s_xor_b64 s[66:67], exec, s[28:29]
	s_cbranch_execz .LBB6_3547
; %bb.3534:                             ;   in Loop: Header=BB6_3409 Depth=3
	v_and_b32_e32 v6, 0x7fffffff, v14
	v_mov_b32_e32 v7, v27
	v_cmp_gt_u64_e32 vcc, s[54:55], v[6:7]
	s_and_saveexec_b64 s[28:29], vcc
	s_xor_b64 s[68:69], exec, s[28:29]
	s_cbranch_execz .LBB6_3546
; %bb.3535:                             ;   in Loop: Header=BB6_3409 Depth=3
	v_cmp_ne_u32_e32 vcc, 0, v14
	v_mov_b32_e32 v37, 0
	s_and_saveexec_b64 s[70:71], vcc
	s_cbranch_execz .LBB6_3545
; %bb.3536:                             ;   in Loop: Header=BB6_3409 Depth=3
	v_bfe_u32 v6, v14, 23, 8
	v_sub_u32_e32 v14, 0x79, v6
	v_cmp_gt_u32_e32 vcc, s93, v6
	v_add_u32_e32 v7, 0xffffff81, v6
	v_cndmask_b32_e32 v14, 0, v14, vcc
	v_cmp_eq_u32_e32 vcc, 0, v6
	v_mov_b32_e32 v0, 0xffffff82
	v_cndmask_b32_e32 v18, v7, v0, vcc
	v_mov_b32_e32 v0, 0x78
	v_cndmask_b32_e32 v29, v14, v0, vcc
	v_or_b32_e32 v15, 0x800000, v26
	v_add_u32_e32 v6, 20, v29
	v_cndmask_b32_e32 v26, v15, v26, vcc
	v_lshlrev_b64 v[6:7], v6, -1
	v_not_b32_e32 v6, v6
	v_lshrrev_b64 v[20:21], v29, v[26:27]
	v_not_b32_e32 v7, v7
	v_and_b32_e32 v6, v26, v6
	v_add_u32_e32 v14, 19, v29
	v_lshrrev_b32_e32 v26, 23, v20
	v_and_b32_e32 v7, 0, v7
	v_lshlrev_b64 v[14:15], v14, 1
	v_add3_u32 v29, v29, v18, v26
	v_bfe_u32 v18, v20, 20, 1
	v_add_u32_e32 v18, -1, v18
	v_cmp_eq_u64_e32 vcc, v[6:7], v[14:15]
	v_cndmask_b32_e32 v6, 0, v18, vcc
	v_add_u32_e32 v6, v6, v20
	v_and_b32_e32 v6, 0xfffff, v6
	v_add_co_u32_e32 v14, vcc, v6, v20
	v_add_u32_e32 v26, 6, v29
	v_addc_co_u32_e32 v15, vcc, 0, v21, vcc
	v_cmp_ne_u32_e32 vcc, 0, v26
                                        ; implicit-def: $vgpr18
	s_and_saveexec_b64 s[28:29], vcc
	s_xor_b64 s[28:29], exec, s[28:29]
; %bb.3537:                             ;   in Loop: Header=BB6_3409 Depth=3
	v_add_u32_e32 v6, 7, v29
	v_cmp_lt_u64_e32 vcc, s[56:57], v[14:15]
	v_cndmask_b32_e32 v18, v26, v6, vcc
	v_cndmask_b32_e64 v6, 0, 1, vcc
	v_lshrrev_b64 v[14:15], v6, v[14:15]
; %bb.3538:                             ;   in Loop: Header=BB6_3409 Depth=3
	s_andn2_saveexec_b64 s[28:29], s[28:29]
; %bb.3539:                             ;   in Loop: Header=BB6_3409 Depth=3
	v_bfe_u32 v18, v14, 23, 1
; %bb.3540:                             ;   in Loop: Header=BB6_3409 Depth=3
	s_or_b64 exec, exec, s[28:29]
	v_lshrrev_b64 v[6:7], 20, v[14:15]
	v_cmp_gt_i32_e32 vcc, 16, v18
	v_cndmask_b32_e32 v15, 0, v7, vcc
	v_cndmask_b32_e32 v14, 7, v6, vcc
	v_cmp_ne_u32_e32 vcc, 0, v18
	v_cmp_ne_u64_e64 s[28:29], 0, v[14:15]
	s_or_b64 s[28:29], vcc, s[28:29]
                                        ; implicit-def: $vgpr37
	s_and_saveexec_b64 vcc, s[28:29]
	s_xor_b64 s[28:29], exec, vcc
; %bb.3541:                             ;   in Loop: Header=BB6_3409 Depth=3
	v_min_i32_e32 v6, 15, v18
	v_lshl_or_b32 v6, v6, 3, v17
	v_and_or_b32 v37, v14, 7, v6
                                        ; implicit-def: $vgpr17
; %bb.3542:                             ;   in Loop: Header=BB6_3409 Depth=3
	s_andn2_saveexec_b64 s[28:29], s[28:29]
; %bb.3543:                             ;   in Loop: Header=BB6_3409 Depth=3
	v_mov_b32_e32 v37, v17
; %bb.3544:                             ;   in Loop: Header=BB6_3409 Depth=3
	s_or_b64 exec, exec, s[28:29]
.LBB6_3545:                             ;   in Loop: Header=BB6_3409 Depth=3
	s_or_b64 exec, exec, s[70:71]
.LBB6_3546:                             ;   in Loop: Header=BB6_3409 Depth=3
	s_andn2_saveexec_b64 s[28:29], s[68:69]
	s_or_b64 exec, exec, s[28:29]
                                        ; implicit-def: $vgpr14
.LBB6_3547:                             ;   in Loop: Header=BB6_3409 Depth=3
	s_andn2_saveexec_b64 s[28:29], s[66:67]
; %bb.3548:                             ;   in Loop: Header=BB6_3409 Depth=3
	v_or_b32_sdwa v6, v14, s92 dst_sel:DWORD dst_unused:UNUSED_PAD src0_sel:BYTE_3 src1_sel:DWORD
	v_cmp_eq_u64_e32 vcc, 0, v[26:27]
	v_cndmask_b32_e32 v37, v6, v37, vcc
; %bb.3549:                             ;   in Loop: Header=BB6_3409 Depth=3
	s_or_b64 exec, exec, s[28:29]
	v_and_b32_e32 v14, 0xff, v54
	v_cmp_ne_u16_e32 vcc, 0, v14
	v_mov_b32_e32 v15, 0
	v_mov_b32_e32 v17, 0
	s_and_saveexec_b64 s[28:29], vcc
	s_cbranch_execz .LBB6_3555
; %bb.3550:                             ;   in Loop: Header=BB6_3409 Depth=3
	v_cmp_ne_u16_e32 vcc, s91, v14
	v_bfrev_b32_e32 v17, 1
	s_and_saveexec_b64 s[66:67], vcc
	s_cbranch_execz .LBB6_3554
; %bb.3551:                             ;   in Loop: Header=BB6_3409 Depth=3
	v_and_b32_e32 v18, 0x7f, v54
	v_cmp_ne_u32_e32 vcc, s92, v18
	v_mov_b32_e32 v17, 0x7f800001
	s_and_saveexec_b64 s[68:69], vcc
	s_cbranch_execz .LBB6_3553
; %bb.3552:                             ;   in Loop: Header=BB6_3409 Depth=3
	v_and_b32_e32 v17, 7, v14
	v_ffbh_u32_e32 v6, v17
	v_min_u32_e32 v21, 32, v6
	v_subrev_u32_e32 v6, 28, v21
	v_lshlrev_b64 v[6:7], v6, v[14:15]
	v_lshrrev_b32_e32 v20, 3, v18
	v_sub_u32_e32 v7, 29, v21
	v_and_b32_e32 v6, 7, v6
	v_cmp_gt_u32_e32 vcc, 8, v18
	v_cndmask_b32_e32 v7, v20, v7, vcc
	v_cndmask_b32_e32 v6, v17, v6, vcc
	v_lshlrev_b32_e32 v14, 24, v54
	v_lshlrev_b32_e32 v6, 20, v6
	v_and_b32_e32 v14, 0x80000000, v14
	v_lshl_add_u32 v7, v7, 23, v31
	v_or3_b32 v17, v14, v7, v6
.LBB6_3553:                             ;   in Loop: Header=BB6_3409 Depth=3
	s_or_b64 exec, exec, s[68:69]
.LBB6_3554:                             ;   in Loop: Header=BB6_3409 Depth=3
	s_or_b64 exec, exec, s[66:67]
.LBB6_3555:                             ;   in Loop: Header=BB6_3409 Depth=3
	s_or_b64 exec, exec, s[28:29]
	v_and_b32_e32 v14, 0xff, v52
	v_cmp_ne_u16_e32 vcc, 0, v14
	s_and_saveexec_b64 s[28:29], vcc
	s_cbranch_execz .LBB6_3561
; %bb.3556:                             ;   in Loop: Header=BB6_3409 Depth=3
	v_cmp_ne_u16_e32 vcc, s91, v14
	v_bfrev_b32_e32 v15, 1
	s_and_saveexec_b64 s[66:67], vcc
	s_cbranch_execz .LBB6_3560
; %bb.3557:                             ;   in Loop: Header=BB6_3409 Depth=3
	v_and_b32_e32 v18, 0x7f, v52
	v_cmp_ne_u32_e32 vcc, s92, v18
	v_mov_b32_e32 v15, 0x7f800001
	s_and_saveexec_b64 s[68:69], vcc
	s_cbranch_execz .LBB6_3559
; %bb.3558:                             ;   in Loop: Header=BB6_3409 Depth=3
	v_and_b32_e32 v15, 7, v14
	v_ffbh_u32_e32 v6, v15
	v_min_u32_e32 v21, 32, v6
	v_subrev_u32_e32 v6, 28, v21
	v_lshlrev_b64 v[6:7], v6, v[14:15]
	v_lshrrev_b32_e32 v20, 3, v18
	v_sub_u32_e32 v7, 29, v21
	v_and_b32_e32 v6, 7, v6
	v_cmp_gt_u32_e32 vcc, 8, v18
	v_cndmask_b32_e32 v7, v20, v7, vcc
	v_cndmask_b32_e32 v6, v15, v6, vcc
	v_lshlrev_b32_e32 v14, 24, v52
	v_lshlrev_b32_e32 v6, 20, v6
	v_and_b32_e32 v14, 0x80000000, v14
	v_lshl_add_u32 v7, v7, 23, v31
	v_or3_b32 v15, v14, v7, v6
.LBB6_3559:                             ;   in Loop: Header=BB6_3409 Depth=3
	s_or_b64 exec, exec, s[68:69]
.LBB6_3560:                             ;   in Loop: Header=BB6_3409 Depth=3
	s_or_b64 exec, exec, s[66:67]
.LBB6_3561:                             ;   in Loop: Header=BB6_3409 Depth=3
	s_or_b64 exec, exec, s[28:29]
	v_add_f32_e32 v14, v17, v15
	v_and_b32_sdwa v17, v14, s91 dst_sel:DWORD dst_unused:UNUSED_PAD src0_sel:BYTE_3 src1_sel:DWORD
	v_and_b32_e32 v6, 0x7f800000, v14
	v_mov_b32_e32 v7, v27
	v_and_b32_e32 v26, 0x7fffff, v14
	v_or_b32_e32 v52, 0x7e, v17
	v_cmp_ne_u64_e32 vcc, s[52:53], v[6:7]
	s_and_saveexec_b64 s[28:29], vcc
	s_xor_b64 s[66:67], exec, s[28:29]
	s_cbranch_execz .LBB6_3575
; %bb.3562:                             ;   in Loop: Header=BB6_3409 Depth=3
	v_and_b32_e32 v6, 0x7fffffff, v14
	v_mov_b32_e32 v7, v27
	v_cmp_gt_u64_e32 vcc, s[54:55], v[6:7]
	s_and_saveexec_b64 s[28:29], vcc
	s_xor_b64 s[68:69], exec, s[28:29]
	s_cbranch_execz .LBB6_3574
; %bb.3563:                             ;   in Loop: Header=BB6_3409 Depth=3
	v_cmp_ne_u32_e32 vcc, 0, v14
	v_mov_b32_e32 v52, 0
	s_and_saveexec_b64 s[70:71], vcc
	s_cbranch_execz .LBB6_3573
; %bb.3564:                             ;   in Loop: Header=BB6_3409 Depth=3
	v_bfe_u32 v6, v14, 23, 8
	v_sub_u32_e32 v14, 0x79, v6
	v_cmp_gt_u32_e32 vcc, s93, v6
	v_add_u32_e32 v7, 0xffffff81, v6
	v_cndmask_b32_e32 v14, 0, v14, vcc
	v_cmp_eq_u32_e32 vcc, 0, v6
	v_mov_b32_e32 v0, 0xffffff82
	v_cndmask_b32_e32 v18, v7, v0, vcc
	v_mov_b32_e32 v0, 0x78
	v_cndmask_b32_e32 v29, v14, v0, vcc
	v_or_b32_e32 v15, 0x800000, v26
	v_add_u32_e32 v6, 20, v29
	v_cndmask_b32_e32 v26, v15, v26, vcc
	v_lshlrev_b64 v[6:7], v6, -1
	v_not_b32_e32 v6, v6
	v_lshrrev_b64 v[20:21], v29, v[26:27]
	v_not_b32_e32 v7, v7
	v_and_b32_e32 v6, v26, v6
	v_add_u32_e32 v14, 19, v29
	v_lshrrev_b32_e32 v26, 23, v20
	v_and_b32_e32 v7, 0, v7
	v_lshlrev_b64 v[14:15], v14, 1
	v_add3_u32 v29, v29, v18, v26
	v_bfe_u32 v18, v20, 20, 1
	v_add_u32_e32 v18, -1, v18
	v_cmp_eq_u64_e32 vcc, v[6:7], v[14:15]
	v_cndmask_b32_e32 v6, 0, v18, vcc
	v_add_u32_e32 v6, v6, v20
	v_and_b32_e32 v6, 0xfffff, v6
	v_add_co_u32_e32 v14, vcc, v6, v20
	v_add_u32_e32 v26, 6, v29
	v_addc_co_u32_e32 v15, vcc, 0, v21, vcc
	v_cmp_ne_u32_e32 vcc, 0, v26
                                        ; implicit-def: $vgpr18
	s_and_saveexec_b64 s[28:29], vcc
	s_xor_b64 s[28:29], exec, s[28:29]
; %bb.3565:                             ;   in Loop: Header=BB6_3409 Depth=3
	v_add_u32_e32 v6, 7, v29
	v_cmp_lt_u64_e32 vcc, s[56:57], v[14:15]
	v_cndmask_b32_e32 v18, v26, v6, vcc
	v_cndmask_b32_e64 v6, 0, 1, vcc
	v_lshrrev_b64 v[14:15], v6, v[14:15]
; %bb.3566:                             ;   in Loop: Header=BB6_3409 Depth=3
	s_andn2_saveexec_b64 s[28:29], s[28:29]
; %bb.3567:                             ;   in Loop: Header=BB6_3409 Depth=3
	v_bfe_u32 v18, v14, 23, 1
; %bb.3568:                             ;   in Loop: Header=BB6_3409 Depth=3
	s_or_b64 exec, exec, s[28:29]
	v_lshrrev_b64 v[6:7], 20, v[14:15]
	v_cmp_gt_i32_e32 vcc, 16, v18
	v_cndmask_b32_e32 v15, 0, v7, vcc
	v_cndmask_b32_e32 v14, 7, v6, vcc
	v_cmp_ne_u32_e32 vcc, 0, v18
	v_cmp_ne_u64_e64 s[28:29], 0, v[14:15]
	s_or_b64 s[28:29], vcc, s[28:29]
                                        ; implicit-def: $vgpr52
	s_and_saveexec_b64 vcc, s[28:29]
	s_xor_b64 s[28:29], exec, vcc
; %bb.3569:                             ;   in Loop: Header=BB6_3409 Depth=3
	v_min_i32_e32 v6, 15, v18
	v_lshl_or_b32 v6, v6, 3, v17
	v_and_or_b32 v52, v14, 7, v6
                                        ; implicit-def: $vgpr17
; %bb.3570:                             ;   in Loop: Header=BB6_3409 Depth=3
	s_andn2_saveexec_b64 s[28:29], s[28:29]
; %bb.3571:                             ;   in Loop: Header=BB6_3409 Depth=3
	v_mov_b32_e32 v52, v17
; %bb.3572:                             ;   in Loop: Header=BB6_3409 Depth=3
	s_or_b64 exec, exec, s[28:29]
.LBB6_3573:                             ;   in Loop: Header=BB6_3409 Depth=3
	s_or_b64 exec, exec, s[70:71]
.LBB6_3574:                             ;   in Loop: Header=BB6_3409 Depth=3
	s_andn2_saveexec_b64 s[28:29], s[68:69]
	s_or_b64 exec, exec, s[28:29]
                                        ; implicit-def: $vgpr14
.LBB6_3575:                             ;   in Loop: Header=BB6_3409 Depth=3
	s_andn2_saveexec_b64 s[28:29], s[66:67]
; %bb.3576:                             ;   in Loop: Header=BB6_3409 Depth=3
	v_or_b32_sdwa v6, v14, s92 dst_sel:DWORD dst_unused:UNUSED_PAD src0_sel:BYTE_3 src1_sel:DWORD
	v_cmp_eq_u64_e32 vcc, 0, v[26:27]
	v_cndmask_b32_e32 v52, v6, v52, vcc
; %bb.3577:                             ;   in Loop: Header=BB6_3409 Depth=3
	s_or_b64 exec, exec, s[28:29]
	v_and_b32_e32 v14, 0xff, v59
	v_cmp_ne_u16_e32 vcc, 0, v14
	v_mov_b32_e32 v15, 0
	v_mov_b32_e32 v17, 0
	s_and_saveexec_b64 s[28:29], vcc
	s_cbranch_execz .LBB6_3583
; %bb.3578:                             ;   in Loop: Header=BB6_3409 Depth=3
	v_cmp_ne_u16_e32 vcc, s91, v14
	v_bfrev_b32_e32 v17, 1
	s_and_saveexec_b64 s[66:67], vcc
	s_cbranch_execz .LBB6_3582
; %bb.3579:                             ;   in Loop: Header=BB6_3409 Depth=3
	v_and_b32_e32 v18, 0x7f, v59
	v_cmp_ne_u32_e32 vcc, s92, v18
	v_mov_b32_e32 v17, 0x7f800001
	s_and_saveexec_b64 s[68:69], vcc
	s_cbranch_execz .LBB6_3581
; %bb.3580:                             ;   in Loop: Header=BB6_3409 Depth=3
	v_and_b32_e32 v17, 7, v14
	v_ffbh_u32_e32 v6, v17
	v_min_u32_e32 v21, 32, v6
	v_subrev_u32_e32 v6, 28, v21
	v_lshlrev_b64 v[6:7], v6, v[14:15]
	v_lshrrev_b32_e32 v20, 3, v18
	v_sub_u32_e32 v7, 29, v21
	v_and_b32_e32 v6, 7, v6
	v_cmp_gt_u32_e32 vcc, 8, v18
	v_cndmask_b32_e32 v7, v20, v7, vcc
	v_cndmask_b32_e32 v6, v17, v6, vcc
	v_lshlrev_b32_e32 v14, 24, v59
	v_lshlrev_b32_e32 v6, 20, v6
	v_and_b32_e32 v14, 0x80000000, v14
	v_lshl_add_u32 v7, v7, 23, v31
	v_or3_b32 v17, v14, v7, v6
.LBB6_3581:                             ;   in Loop: Header=BB6_3409 Depth=3
	s_or_b64 exec, exec, s[68:69]
.LBB6_3582:                             ;   in Loop: Header=BB6_3409 Depth=3
	s_or_b64 exec, exec, s[66:67]
.LBB6_3583:                             ;   in Loop: Header=BB6_3409 Depth=3
	s_or_b64 exec, exec, s[28:29]
	v_and_b32_e32 v14, 0xff, v41
	v_cmp_ne_u16_e32 vcc, 0, v14
	s_and_saveexec_b64 s[28:29], vcc
	s_cbranch_execz .LBB6_3589
; %bb.3584:                             ;   in Loop: Header=BB6_3409 Depth=3
	v_cmp_ne_u16_e32 vcc, s91, v14
	v_bfrev_b32_e32 v15, 1
	s_and_saveexec_b64 s[66:67], vcc
	s_cbranch_execz .LBB6_3588
; %bb.3585:                             ;   in Loop: Header=BB6_3409 Depth=3
	v_and_b32_e32 v18, 0x7f, v41
	v_cmp_ne_u32_e32 vcc, s92, v18
	v_mov_b32_e32 v15, 0x7f800001
	s_and_saveexec_b64 s[68:69], vcc
	s_cbranch_execz .LBB6_3587
; %bb.3586:                             ;   in Loop: Header=BB6_3409 Depth=3
	v_and_b32_e32 v15, 7, v14
	v_ffbh_u32_e32 v6, v15
	v_min_u32_e32 v21, 32, v6
	v_subrev_u32_e32 v6, 28, v21
	v_lshlrev_b64 v[6:7], v6, v[14:15]
	v_lshrrev_b32_e32 v20, 3, v18
	v_sub_u32_e32 v7, 29, v21
	v_and_b32_e32 v6, 7, v6
	v_cmp_gt_u32_e32 vcc, 8, v18
	v_cndmask_b32_e32 v7, v20, v7, vcc
	v_cndmask_b32_e32 v6, v15, v6, vcc
	v_lshlrev_b32_e32 v14, 24, v41
	v_lshlrev_b32_e32 v6, 20, v6
	v_and_b32_e32 v14, 0x80000000, v14
	v_lshl_add_u32 v7, v7, 23, v31
	v_or3_b32 v15, v14, v7, v6
.LBB6_3587:                             ;   in Loop: Header=BB6_3409 Depth=3
	s_or_b64 exec, exec, s[68:69]
.LBB6_3588:                             ;   in Loop: Header=BB6_3409 Depth=3
	s_or_b64 exec, exec, s[66:67]
.LBB6_3589:                             ;   in Loop: Header=BB6_3409 Depth=3
	s_or_b64 exec, exec, s[28:29]
	v_add_f32_e32 v14, v17, v15
	v_and_b32_sdwa v17, v14, s91 dst_sel:DWORD dst_unused:UNUSED_PAD src0_sel:BYTE_3 src1_sel:DWORD
	v_and_b32_e32 v6, 0x7f800000, v14
	v_mov_b32_e32 v7, v27
	v_and_b32_e32 v26, 0x7fffff, v14
	v_or_b32_e32 v41, 0x7e, v17
	v_cmp_ne_u64_e32 vcc, s[52:53], v[6:7]
	s_and_saveexec_b64 s[28:29], vcc
	s_xor_b64 s[66:67], exec, s[28:29]
	s_cbranch_execz .LBB6_3603
; %bb.3590:                             ;   in Loop: Header=BB6_3409 Depth=3
	v_and_b32_e32 v6, 0x7fffffff, v14
	v_mov_b32_e32 v7, v27
	v_cmp_gt_u64_e32 vcc, s[54:55], v[6:7]
	s_and_saveexec_b64 s[28:29], vcc
	s_xor_b64 s[68:69], exec, s[28:29]
	s_cbranch_execz .LBB6_3602
; %bb.3591:                             ;   in Loop: Header=BB6_3409 Depth=3
	v_cmp_ne_u32_e32 vcc, 0, v14
	v_mov_b32_e32 v41, 0
	s_and_saveexec_b64 s[70:71], vcc
	s_cbranch_execz .LBB6_3601
; %bb.3592:                             ;   in Loop: Header=BB6_3409 Depth=3
	v_bfe_u32 v6, v14, 23, 8
	v_sub_u32_e32 v14, 0x79, v6
	v_cmp_gt_u32_e32 vcc, s93, v6
	v_add_u32_e32 v7, 0xffffff81, v6
	v_cndmask_b32_e32 v14, 0, v14, vcc
	v_cmp_eq_u32_e32 vcc, 0, v6
	v_mov_b32_e32 v0, 0xffffff82
	v_cndmask_b32_e32 v18, v7, v0, vcc
	v_mov_b32_e32 v0, 0x78
	v_cndmask_b32_e32 v29, v14, v0, vcc
	v_or_b32_e32 v15, 0x800000, v26
	v_add_u32_e32 v6, 20, v29
	v_cndmask_b32_e32 v26, v15, v26, vcc
	v_lshlrev_b64 v[6:7], v6, -1
	v_not_b32_e32 v6, v6
	v_lshrrev_b64 v[20:21], v29, v[26:27]
	v_not_b32_e32 v7, v7
	v_and_b32_e32 v6, v26, v6
	v_add_u32_e32 v14, 19, v29
	v_lshrrev_b32_e32 v26, 23, v20
	v_and_b32_e32 v7, 0, v7
	v_lshlrev_b64 v[14:15], v14, 1
	v_add3_u32 v29, v29, v18, v26
	v_bfe_u32 v18, v20, 20, 1
	v_add_u32_e32 v18, -1, v18
	v_cmp_eq_u64_e32 vcc, v[6:7], v[14:15]
	v_cndmask_b32_e32 v6, 0, v18, vcc
	v_add_u32_e32 v6, v6, v20
	v_and_b32_e32 v6, 0xfffff, v6
	v_add_co_u32_e32 v14, vcc, v6, v20
	v_add_u32_e32 v26, 6, v29
	v_addc_co_u32_e32 v15, vcc, 0, v21, vcc
	v_cmp_ne_u32_e32 vcc, 0, v26
                                        ; implicit-def: $vgpr18
	s_and_saveexec_b64 s[28:29], vcc
	s_xor_b64 s[28:29], exec, s[28:29]
; %bb.3593:                             ;   in Loop: Header=BB6_3409 Depth=3
	v_add_u32_e32 v6, 7, v29
	v_cmp_lt_u64_e32 vcc, s[56:57], v[14:15]
	v_cndmask_b32_e32 v18, v26, v6, vcc
	v_cndmask_b32_e64 v6, 0, 1, vcc
	v_lshrrev_b64 v[14:15], v6, v[14:15]
; %bb.3594:                             ;   in Loop: Header=BB6_3409 Depth=3
	s_andn2_saveexec_b64 s[28:29], s[28:29]
; %bb.3595:                             ;   in Loop: Header=BB6_3409 Depth=3
	v_bfe_u32 v18, v14, 23, 1
; %bb.3596:                             ;   in Loop: Header=BB6_3409 Depth=3
	s_or_b64 exec, exec, s[28:29]
	v_lshrrev_b64 v[6:7], 20, v[14:15]
	v_cmp_gt_i32_e32 vcc, 16, v18
	v_cndmask_b32_e32 v15, 0, v7, vcc
	v_cndmask_b32_e32 v14, 7, v6, vcc
	v_cmp_ne_u32_e32 vcc, 0, v18
	v_cmp_ne_u64_e64 s[28:29], 0, v[14:15]
	s_or_b64 s[28:29], vcc, s[28:29]
                                        ; implicit-def: $vgpr41
	s_and_saveexec_b64 vcc, s[28:29]
	s_xor_b64 s[28:29], exec, vcc
; %bb.3597:                             ;   in Loop: Header=BB6_3409 Depth=3
	v_min_i32_e32 v6, 15, v18
	v_lshl_or_b32 v6, v6, 3, v17
	v_and_or_b32 v41, v14, 7, v6
                                        ; implicit-def: $vgpr17
; %bb.3598:                             ;   in Loop: Header=BB6_3409 Depth=3
	s_andn2_saveexec_b64 s[28:29], s[28:29]
; %bb.3599:                             ;   in Loop: Header=BB6_3409 Depth=3
	v_mov_b32_e32 v41, v17
; %bb.3600:                             ;   in Loop: Header=BB6_3409 Depth=3
	s_or_b64 exec, exec, s[28:29]
.LBB6_3601:                             ;   in Loop: Header=BB6_3409 Depth=3
	s_or_b64 exec, exec, s[70:71]
.LBB6_3602:                             ;   in Loop: Header=BB6_3409 Depth=3
	s_andn2_saveexec_b64 s[28:29], s[68:69]
	s_or_b64 exec, exec, s[28:29]
                                        ; implicit-def: $vgpr14
.LBB6_3603:                             ;   in Loop: Header=BB6_3409 Depth=3
	s_andn2_saveexec_b64 s[28:29], s[66:67]
; %bb.3604:                             ;   in Loop: Header=BB6_3409 Depth=3
	v_or_b32_sdwa v6, v14, s92 dst_sel:DWORD dst_unused:UNUSED_PAD src0_sel:BYTE_3 src1_sel:DWORD
	v_cmp_eq_u64_e32 vcc, 0, v[26:27]
	v_cndmask_b32_e32 v41, v6, v41, vcc
; %bb.3605:                             ;   in Loop: Header=BB6_3409 Depth=3
	s_or_b64 exec, exec, s[28:29]
	v_and_b32_e32 v14, 0xff, v58
	v_cmp_ne_u16_e32 vcc, 0, v14
	v_mov_b32_e32 v15, 0
	v_mov_b32_e32 v17, 0
	s_and_saveexec_b64 s[28:29], vcc
	s_cbranch_execz .LBB6_3611
; %bb.3606:                             ;   in Loop: Header=BB6_3409 Depth=3
	v_cmp_ne_u16_e32 vcc, s91, v14
	v_bfrev_b32_e32 v17, 1
	s_and_saveexec_b64 s[66:67], vcc
	s_cbranch_execz .LBB6_3610
; %bb.3607:                             ;   in Loop: Header=BB6_3409 Depth=3
	v_and_b32_e32 v18, 0x7f, v58
	v_cmp_ne_u32_e32 vcc, s92, v18
	v_mov_b32_e32 v17, 0x7f800001
	s_and_saveexec_b64 s[68:69], vcc
	s_cbranch_execz .LBB6_3609
; %bb.3608:                             ;   in Loop: Header=BB6_3409 Depth=3
	v_and_b32_e32 v17, 7, v14
	v_ffbh_u32_e32 v6, v17
	v_min_u32_e32 v21, 32, v6
	v_subrev_u32_e32 v6, 28, v21
	v_lshlrev_b64 v[6:7], v6, v[14:15]
	v_lshrrev_b32_e32 v20, 3, v18
	v_sub_u32_e32 v7, 29, v21
	v_and_b32_e32 v6, 7, v6
	v_cmp_gt_u32_e32 vcc, 8, v18
	v_cndmask_b32_e32 v7, v20, v7, vcc
	v_cndmask_b32_e32 v6, v17, v6, vcc
	v_lshlrev_b32_e32 v14, 24, v58
	v_lshlrev_b32_e32 v6, 20, v6
	v_and_b32_e32 v14, 0x80000000, v14
	v_lshl_add_u32 v7, v7, 23, v31
	v_or3_b32 v17, v14, v7, v6
.LBB6_3609:                             ;   in Loop: Header=BB6_3409 Depth=3
	s_or_b64 exec, exec, s[68:69]
.LBB6_3610:                             ;   in Loop: Header=BB6_3409 Depth=3
	s_or_b64 exec, exec, s[66:67]
.LBB6_3611:                             ;   in Loop: Header=BB6_3409 Depth=3
	s_or_b64 exec, exec, s[28:29]
	v_and_b32_e32 v14, 0xff, v47
	v_cmp_ne_u16_e32 vcc, 0, v14
	s_and_saveexec_b64 s[28:29], vcc
	s_cbranch_execz .LBB6_3617
; %bb.3612:                             ;   in Loop: Header=BB6_3409 Depth=3
	v_cmp_ne_u16_e32 vcc, s91, v14
	v_bfrev_b32_e32 v15, 1
	s_and_saveexec_b64 s[66:67], vcc
	s_cbranch_execz .LBB6_3616
; %bb.3613:                             ;   in Loop: Header=BB6_3409 Depth=3
	v_and_b32_e32 v18, 0x7f, v47
	v_cmp_ne_u32_e32 vcc, s92, v18
	v_mov_b32_e32 v15, 0x7f800001
	s_and_saveexec_b64 s[68:69], vcc
	s_cbranch_execz .LBB6_3615
; %bb.3614:                             ;   in Loop: Header=BB6_3409 Depth=3
	v_and_b32_e32 v15, 7, v14
	v_ffbh_u32_e32 v6, v15
	v_min_u32_e32 v21, 32, v6
	v_subrev_u32_e32 v6, 28, v21
	v_lshlrev_b64 v[6:7], v6, v[14:15]
	v_lshrrev_b32_e32 v20, 3, v18
	v_sub_u32_e32 v7, 29, v21
	v_and_b32_e32 v6, 7, v6
	v_cmp_gt_u32_e32 vcc, 8, v18
	v_cndmask_b32_e32 v7, v20, v7, vcc
	v_cndmask_b32_e32 v6, v15, v6, vcc
	v_lshlrev_b32_e32 v14, 24, v47
	v_lshlrev_b32_e32 v6, 20, v6
	v_and_b32_e32 v14, 0x80000000, v14
	v_lshl_add_u32 v7, v7, 23, v31
	v_or3_b32 v15, v14, v7, v6
.LBB6_3615:                             ;   in Loop: Header=BB6_3409 Depth=3
	s_or_b64 exec, exec, s[68:69]
.LBB6_3616:                             ;   in Loop: Header=BB6_3409 Depth=3
	s_or_b64 exec, exec, s[66:67]
.LBB6_3617:                             ;   in Loop: Header=BB6_3409 Depth=3
	s_or_b64 exec, exec, s[28:29]
	v_add_f32_e32 v14, v17, v15
	v_and_b32_sdwa v17, v14, s91 dst_sel:DWORD dst_unused:UNUSED_PAD src0_sel:BYTE_3 src1_sel:DWORD
	v_and_b32_e32 v6, 0x7f800000, v14
	v_mov_b32_e32 v7, v27
	v_and_b32_e32 v26, 0x7fffff, v14
	v_or_b32_e32 v47, 0x7e, v17
	v_cmp_ne_u64_e32 vcc, s[52:53], v[6:7]
	s_and_saveexec_b64 s[28:29], vcc
	s_xor_b64 s[66:67], exec, s[28:29]
	s_cbranch_execz .LBB6_3631
; %bb.3618:                             ;   in Loop: Header=BB6_3409 Depth=3
	v_and_b32_e32 v6, 0x7fffffff, v14
	v_mov_b32_e32 v7, v27
	v_cmp_gt_u64_e32 vcc, s[54:55], v[6:7]
	s_and_saveexec_b64 s[28:29], vcc
	s_xor_b64 s[68:69], exec, s[28:29]
	s_cbranch_execz .LBB6_3630
; %bb.3619:                             ;   in Loop: Header=BB6_3409 Depth=3
	v_cmp_ne_u32_e32 vcc, 0, v14
	v_mov_b32_e32 v47, 0
	s_and_saveexec_b64 s[70:71], vcc
	s_cbranch_execz .LBB6_3629
; %bb.3620:                             ;   in Loop: Header=BB6_3409 Depth=3
	v_bfe_u32 v6, v14, 23, 8
	v_sub_u32_e32 v14, 0x79, v6
	v_cmp_gt_u32_e32 vcc, s93, v6
	v_add_u32_e32 v7, 0xffffff81, v6
	v_cndmask_b32_e32 v14, 0, v14, vcc
	v_cmp_eq_u32_e32 vcc, 0, v6
	v_mov_b32_e32 v0, 0xffffff82
	v_cndmask_b32_e32 v18, v7, v0, vcc
	v_mov_b32_e32 v0, 0x78
	v_cndmask_b32_e32 v29, v14, v0, vcc
	v_or_b32_e32 v15, 0x800000, v26
	v_add_u32_e32 v6, 20, v29
	v_cndmask_b32_e32 v26, v15, v26, vcc
	v_lshlrev_b64 v[6:7], v6, -1
	v_not_b32_e32 v6, v6
	v_lshrrev_b64 v[20:21], v29, v[26:27]
	v_not_b32_e32 v7, v7
	v_and_b32_e32 v6, v26, v6
	v_add_u32_e32 v14, 19, v29
	v_lshrrev_b32_e32 v26, 23, v20
	v_and_b32_e32 v7, 0, v7
	v_lshlrev_b64 v[14:15], v14, 1
	v_add3_u32 v29, v29, v18, v26
	v_bfe_u32 v18, v20, 20, 1
	v_add_u32_e32 v18, -1, v18
	v_cmp_eq_u64_e32 vcc, v[6:7], v[14:15]
	v_cndmask_b32_e32 v6, 0, v18, vcc
	v_add_u32_e32 v6, v6, v20
	v_and_b32_e32 v6, 0xfffff, v6
	v_add_co_u32_e32 v14, vcc, v6, v20
	v_add_u32_e32 v26, 6, v29
	v_addc_co_u32_e32 v15, vcc, 0, v21, vcc
	v_cmp_ne_u32_e32 vcc, 0, v26
                                        ; implicit-def: $vgpr18
	s_and_saveexec_b64 s[28:29], vcc
	s_xor_b64 s[28:29], exec, s[28:29]
; %bb.3621:                             ;   in Loop: Header=BB6_3409 Depth=3
	v_add_u32_e32 v6, 7, v29
	v_cmp_lt_u64_e32 vcc, s[56:57], v[14:15]
	v_cndmask_b32_e32 v18, v26, v6, vcc
	v_cndmask_b32_e64 v6, 0, 1, vcc
	v_lshrrev_b64 v[14:15], v6, v[14:15]
; %bb.3622:                             ;   in Loop: Header=BB6_3409 Depth=3
	s_andn2_saveexec_b64 s[28:29], s[28:29]
; %bb.3623:                             ;   in Loop: Header=BB6_3409 Depth=3
	v_bfe_u32 v18, v14, 23, 1
; %bb.3624:                             ;   in Loop: Header=BB6_3409 Depth=3
	s_or_b64 exec, exec, s[28:29]
	v_lshrrev_b64 v[6:7], 20, v[14:15]
	v_cmp_gt_i32_e32 vcc, 16, v18
	v_cndmask_b32_e32 v15, 0, v7, vcc
	v_cndmask_b32_e32 v14, 7, v6, vcc
	v_cmp_ne_u32_e32 vcc, 0, v18
	v_cmp_ne_u64_e64 s[28:29], 0, v[14:15]
	s_or_b64 s[28:29], vcc, s[28:29]
                                        ; implicit-def: $vgpr47
	s_and_saveexec_b64 vcc, s[28:29]
	s_xor_b64 s[28:29], exec, vcc
; %bb.3625:                             ;   in Loop: Header=BB6_3409 Depth=3
	v_min_i32_e32 v6, 15, v18
	v_lshl_or_b32 v6, v6, 3, v17
	v_and_or_b32 v47, v14, 7, v6
                                        ; implicit-def: $vgpr17
; %bb.3626:                             ;   in Loop: Header=BB6_3409 Depth=3
	s_andn2_saveexec_b64 s[28:29], s[28:29]
; %bb.3627:                             ;   in Loop: Header=BB6_3409 Depth=3
	v_mov_b32_e32 v47, v17
; %bb.3628:                             ;   in Loop: Header=BB6_3409 Depth=3
	s_or_b64 exec, exec, s[28:29]
.LBB6_3629:                             ;   in Loop: Header=BB6_3409 Depth=3
	s_or_b64 exec, exec, s[70:71]
.LBB6_3630:                             ;   in Loop: Header=BB6_3409 Depth=3
	s_andn2_saveexec_b64 s[28:29], s[68:69]
	s_or_b64 exec, exec, s[28:29]
                                        ; implicit-def: $vgpr14
.LBB6_3631:                             ;   in Loop: Header=BB6_3409 Depth=3
	s_andn2_saveexec_b64 s[28:29], s[66:67]
; %bb.3632:                             ;   in Loop: Header=BB6_3409 Depth=3
	v_or_b32_sdwa v6, v14, s92 dst_sel:DWORD dst_unused:UNUSED_PAD src0_sel:BYTE_3 src1_sel:DWORD
	v_cmp_eq_u64_e32 vcc, 0, v[26:27]
	v_cndmask_b32_e32 v47, v6, v47, vcc
; %bb.3633:                             ;   in Loop: Header=BB6_3409 Depth=3
	s_or_b64 exec, exec, s[28:29]
	v_and_b32_e32 v14, 0xff, v57
	v_cmp_ne_u16_e32 vcc, 0, v14
	v_mov_b32_e32 v15, 0
	v_mov_b32_e32 v17, 0
	s_and_saveexec_b64 s[28:29], vcc
	s_cbranch_execz .LBB6_3639
; %bb.3634:                             ;   in Loop: Header=BB6_3409 Depth=3
	v_cmp_ne_u16_e32 vcc, s91, v14
	v_bfrev_b32_e32 v17, 1
	s_and_saveexec_b64 s[66:67], vcc
	s_cbranch_execz .LBB6_3638
; %bb.3635:                             ;   in Loop: Header=BB6_3409 Depth=3
	v_and_b32_e32 v18, 0x7f, v57
	v_cmp_ne_u32_e32 vcc, s92, v18
	v_mov_b32_e32 v17, 0x7f800001
	s_and_saveexec_b64 s[68:69], vcc
	s_cbranch_execz .LBB6_3637
; %bb.3636:                             ;   in Loop: Header=BB6_3409 Depth=3
	v_and_b32_e32 v17, 7, v14
	v_ffbh_u32_e32 v6, v17
	v_min_u32_e32 v21, 32, v6
	v_subrev_u32_e32 v6, 28, v21
	v_lshlrev_b64 v[6:7], v6, v[14:15]
	v_lshrrev_b32_e32 v20, 3, v18
	v_sub_u32_e32 v7, 29, v21
	v_and_b32_e32 v6, 7, v6
	v_cmp_gt_u32_e32 vcc, 8, v18
	v_cndmask_b32_e32 v7, v20, v7, vcc
	v_cndmask_b32_e32 v6, v17, v6, vcc
	v_lshlrev_b32_e32 v14, 24, v57
	v_lshlrev_b32_e32 v6, 20, v6
	v_and_b32_e32 v14, 0x80000000, v14
	v_lshl_add_u32 v7, v7, 23, v31
	v_or3_b32 v17, v14, v7, v6
.LBB6_3637:                             ;   in Loop: Header=BB6_3409 Depth=3
	s_or_b64 exec, exec, s[68:69]
.LBB6_3638:                             ;   in Loop: Header=BB6_3409 Depth=3
	s_or_b64 exec, exec, s[66:67]
.LBB6_3639:                             ;   in Loop: Header=BB6_3409 Depth=3
	s_or_b64 exec, exec, s[28:29]
	v_and_b32_e32 v14, 0xff, v56
	v_cmp_ne_u16_e32 vcc, 0, v14
	s_and_saveexec_b64 s[28:29], vcc
	s_cbranch_execz .LBB6_3645
; %bb.3640:                             ;   in Loop: Header=BB6_3409 Depth=3
	v_cmp_ne_u16_e32 vcc, s91, v14
	v_bfrev_b32_e32 v15, 1
	s_and_saveexec_b64 s[66:67], vcc
	s_cbranch_execz .LBB6_3644
; %bb.3641:                             ;   in Loop: Header=BB6_3409 Depth=3
	v_and_b32_e32 v18, 0x7f, v56
	v_cmp_ne_u32_e32 vcc, s92, v18
	v_mov_b32_e32 v15, 0x7f800001
	s_and_saveexec_b64 s[68:69], vcc
	s_cbranch_execz .LBB6_3643
; %bb.3642:                             ;   in Loop: Header=BB6_3409 Depth=3
	v_and_b32_e32 v15, 7, v14
	v_ffbh_u32_e32 v6, v15
	v_min_u32_e32 v21, 32, v6
	v_subrev_u32_e32 v6, 28, v21
	v_lshlrev_b64 v[6:7], v6, v[14:15]
	v_lshrrev_b32_e32 v20, 3, v18
	v_sub_u32_e32 v7, 29, v21
	v_and_b32_e32 v6, 7, v6
	v_cmp_gt_u32_e32 vcc, 8, v18
	v_cndmask_b32_e32 v7, v20, v7, vcc
	v_cndmask_b32_e32 v6, v15, v6, vcc
	v_lshlrev_b32_e32 v14, 24, v56
	v_lshlrev_b32_e32 v6, 20, v6
	v_and_b32_e32 v14, 0x80000000, v14
	v_lshl_add_u32 v7, v7, 23, v31
	v_or3_b32 v15, v14, v7, v6
.LBB6_3643:                             ;   in Loop: Header=BB6_3409 Depth=3
	s_or_b64 exec, exec, s[68:69]
.LBB6_3644:                             ;   in Loop: Header=BB6_3409 Depth=3
	s_or_b64 exec, exec, s[66:67]
.LBB6_3645:                             ;   in Loop: Header=BB6_3409 Depth=3
	s_or_b64 exec, exec, s[28:29]
	v_add_f32_e32 v14, v17, v15
	v_and_b32_sdwa v17, v14, s91 dst_sel:DWORD dst_unused:UNUSED_PAD src0_sel:BYTE_3 src1_sel:DWORD
	v_and_b32_e32 v6, 0x7f800000, v14
	v_mov_b32_e32 v7, v27
	v_and_b32_e32 v26, 0x7fffff, v14
	v_or_b32_e32 v56, 0x7e, v17
	v_cmp_ne_u64_e32 vcc, s[52:53], v[6:7]
	s_and_saveexec_b64 s[28:29], vcc
	s_xor_b64 s[66:67], exec, s[28:29]
	s_cbranch_execz .LBB6_3659
; %bb.3646:                             ;   in Loop: Header=BB6_3409 Depth=3
	v_and_b32_e32 v6, 0x7fffffff, v14
	v_mov_b32_e32 v7, v27
	v_cmp_gt_u64_e32 vcc, s[54:55], v[6:7]
	s_and_saveexec_b64 s[28:29], vcc
	s_xor_b64 s[68:69], exec, s[28:29]
	s_cbranch_execz .LBB6_3658
; %bb.3647:                             ;   in Loop: Header=BB6_3409 Depth=3
	v_cmp_ne_u32_e32 vcc, 0, v14
	v_mov_b32_e32 v56, 0
	s_and_saveexec_b64 s[70:71], vcc
	s_cbranch_execz .LBB6_3657
; %bb.3648:                             ;   in Loop: Header=BB6_3409 Depth=3
	v_bfe_u32 v6, v14, 23, 8
	v_sub_u32_e32 v14, 0x79, v6
	v_cmp_gt_u32_e32 vcc, s93, v6
	v_add_u32_e32 v7, 0xffffff81, v6
	v_cndmask_b32_e32 v14, 0, v14, vcc
	v_cmp_eq_u32_e32 vcc, 0, v6
	v_mov_b32_e32 v0, 0xffffff82
	v_cndmask_b32_e32 v18, v7, v0, vcc
	v_mov_b32_e32 v0, 0x78
	v_cndmask_b32_e32 v29, v14, v0, vcc
	v_or_b32_e32 v15, 0x800000, v26
	v_add_u32_e32 v6, 20, v29
	v_cndmask_b32_e32 v26, v15, v26, vcc
	v_lshlrev_b64 v[6:7], v6, -1
	v_not_b32_e32 v6, v6
	v_lshrrev_b64 v[20:21], v29, v[26:27]
	v_not_b32_e32 v7, v7
	v_and_b32_e32 v6, v26, v6
	v_add_u32_e32 v14, 19, v29
	v_lshrrev_b32_e32 v26, 23, v20
	v_and_b32_e32 v7, 0, v7
	v_lshlrev_b64 v[14:15], v14, 1
	v_add3_u32 v29, v29, v18, v26
	v_bfe_u32 v18, v20, 20, 1
	v_add_u32_e32 v18, -1, v18
	v_cmp_eq_u64_e32 vcc, v[6:7], v[14:15]
	v_cndmask_b32_e32 v6, 0, v18, vcc
	v_add_u32_e32 v6, v6, v20
	v_and_b32_e32 v6, 0xfffff, v6
	v_add_co_u32_e32 v14, vcc, v6, v20
	v_add_u32_e32 v26, 6, v29
	v_addc_co_u32_e32 v15, vcc, 0, v21, vcc
	v_cmp_ne_u32_e32 vcc, 0, v26
                                        ; implicit-def: $vgpr18
	s_and_saveexec_b64 s[28:29], vcc
	s_xor_b64 s[28:29], exec, s[28:29]
; %bb.3649:                             ;   in Loop: Header=BB6_3409 Depth=3
	v_add_u32_e32 v6, 7, v29
	v_cmp_lt_u64_e32 vcc, s[56:57], v[14:15]
	v_cndmask_b32_e32 v18, v26, v6, vcc
	v_cndmask_b32_e64 v6, 0, 1, vcc
	v_lshrrev_b64 v[14:15], v6, v[14:15]
; %bb.3650:                             ;   in Loop: Header=BB6_3409 Depth=3
	s_andn2_saveexec_b64 s[28:29], s[28:29]
; %bb.3651:                             ;   in Loop: Header=BB6_3409 Depth=3
	v_bfe_u32 v18, v14, 23, 1
; %bb.3652:                             ;   in Loop: Header=BB6_3409 Depth=3
	s_or_b64 exec, exec, s[28:29]
	v_lshrrev_b64 v[6:7], 20, v[14:15]
	v_cmp_gt_i32_e32 vcc, 16, v18
	v_cndmask_b32_e32 v15, 0, v7, vcc
	v_cndmask_b32_e32 v14, 7, v6, vcc
	v_cmp_ne_u32_e32 vcc, 0, v18
	v_cmp_ne_u64_e64 s[28:29], 0, v[14:15]
	s_or_b64 s[28:29], vcc, s[28:29]
                                        ; implicit-def: $vgpr56
	s_and_saveexec_b64 vcc, s[28:29]
	s_xor_b64 s[28:29], exec, vcc
; %bb.3653:                             ;   in Loop: Header=BB6_3409 Depth=3
	v_min_i32_e32 v6, 15, v18
	v_lshl_or_b32 v6, v6, 3, v17
	v_and_or_b32 v56, v14, 7, v6
                                        ; implicit-def: $vgpr17
; %bb.3654:                             ;   in Loop: Header=BB6_3409 Depth=3
	s_andn2_saveexec_b64 s[28:29], s[28:29]
; %bb.3655:                             ;   in Loop: Header=BB6_3409 Depth=3
	v_mov_b32_e32 v56, v17
; %bb.3656:                             ;   in Loop: Header=BB6_3409 Depth=3
	s_or_b64 exec, exec, s[28:29]
.LBB6_3657:                             ;   in Loop: Header=BB6_3409 Depth=3
	s_or_b64 exec, exec, s[70:71]
.LBB6_3658:                             ;   in Loop: Header=BB6_3409 Depth=3
	s_andn2_saveexec_b64 s[28:29], s[68:69]
	s_or_b64 exec, exec, s[28:29]
                                        ; implicit-def: $vgpr14
.LBB6_3659:                             ;   in Loop: Header=BB6_3409 Depth=3
	s_andn2_saveexec_b64 s[28:29], s[66:67]
; %bb.3660:                             ;   in Loop: Header=BB6_3409 Depth=3
	v_or_b32_sdwa v6, v14, s92 dst_sel:DWORD dst_unused:UNUSED_PAD src0_sel:BYTE_3 src1_sel:DWORD
	v_cmp_eq_u64_e32 vcc, 0, v[26:27]
	v_cndmask_b32_e32 v56, v6, v56, vcc
; %bb.3661:                             ;   in Loop: Header=BB6_3409 Depth=3
	s_or_b64 exec, exec, s[28:29]
	v_and_b32_e32 v14, 0xff, v46
	v_cmp_ne_u16_e32 vcc, 0, v14
	v_mov_b32_e32 v15, 0
	v_mov_b32_e32 v17, 0
	s_and_saveexec_b64 s[28:29], vcc
	s_cbranch_execz .LBB6_3667
; %bb.3662:                             ;   in Loop: Header=BB6_3409 Depth=3
	v_cmp_ne_u16_e32 vcc, s91, v14
	v_bfrev_b32_e32 v17, 1
	s_and_saveexec_b64 s[66:67], vcc
	s_cbranch_execz .LBB6_3666
; %bb.3663:                             ;   in Loop: Header=BB6_3409 Depth=3
	v_and_b32_e32 v18, 0x7f, v46
	v_cmp_ne_u32_e32 vcc, s92, v18
	v_mov_b32_e32 v17, 0x7f800001
	s_and_saveexec_b64 s[68:69], vcc
	s_cbranch_execz .LBB6_3665
; %bb.3664:                             ;   in Loop: Header=BB6_3409 Depth=3
	v_and_b32_e32 v17, 7, v14
	v_ffbh_u32_e32 v6, v17
	v_min_u32_e32 v21, 32, v6
	v_subrev_u32_e32 v6, 28, v21
	v_lshlrev_b64 v[6:7], v6, v[14:15]
	v_lshrrev_b32_e32 v20, 3, v18
	v_sub_u32_e32 v7, 29, v21
	v_and_b32_e32 v6, 7, v6
	v_cmp_gt_u32_e32 vcc, 8, v18
	v_cndmask_b32_e32 v7, v20, v7, vcc
	v_cndmask_b32_e32 v6, v17, v6, vcc
	v_lshlrev_b32_e32 v14, 24, v46
	v_lshlrev_b32_e32 v6, 20, v6
	v_and_b32_e32 v14, 0x80000000, v14
	v_lshl_add_u32 v7, v7, 23, v31
	v_or3_b32 v17, v14, v7, v6
.LBB6_3665:                             ;   in Loop: Header=BB6_3409 Depth=3
	s_or_b64 exec, exec, s[68:69]
.LBB6_3666:                             ;   in Loop: Header=BB6_3409 Depth=3
	s_or_b64 exec, exec, s[66:67]
.LBB6_3667:                             ;   in Loop: Header=BB6_3409 Depth=3
	s_or_b64 exec, exec, s[28:29]
	v_and_b32_e32 v14, 0xff, v44
	v_cmp_ne_u16_e32 vcc, 0, v14
	s_and_saveexec_b64 s[28:29], vcc
	s_cbranch_execz .LBB6_3673
; %bb.3668:                             ;   in Loop: Header=BB6_3409 Depth=3
	v_cmp_ne_u16_e32 vcc, s91, v14
	v_bfrev_b32_e32 v15, 1
	s_and_saveexec_b64 s[66:67], vcc
	s_cbranch_execz .LBB6_3672
; %bb.3669:                             ;   in Loop: Header=BB6_3409 Depth=3
	v_and_b32_e32 v18, 0x7f, v44
	v_cmp_ne_u32_e32 vcc, s92, v18
	v_mov_b32_e32 v15, 0x7f800001
	s_and_saveexec_b64 s[68:69], vcc
	s_cbranch_execz .LBB6_3671
; %bb.3670:                             ;   in Loop: Header=BB6_3409 Depth=3
	v_and_b32_e32 v15, 7, v14
	v_ffbh_u32_e32 v6, v15
	v_min_u32_e32 v21, 32, v6
	v_subrev_u32_e32 v6, 28, v21
	v_lshlrev_b64 v[6:7], v6, v[14:15]
	v_lshrrev_b32_e32 v20, 3, v18
	v_sub_u32_e32 v7, 29, v21
	v_and_b32_e32 v6, 7, v6
	v_cmp_gt_u32_e32 vcc, 8, v18
	v_cndmask_b32_e32 v7, v20, v7, vcc
	v_cndmask_b32_e32 v6, v15, v6, vcc
	v_lshlrev_b32_e32 v14, 24, v44
	v_lshlrev_b32_e32 v6, 20, v6
	v_and_b32_e32 v14, 0x80000000, v14
	v_lshl_add_u32 v7, v7, 23, v31
	v_or3_b32 v15, v14, v7, v6
.LBB6_3671:                             ;   in Loop: Header=BB6_3409 Depth=3
	s_or_b64 exec, exec, s[68:69]
.LBB6_3672:                             ;   in Loop: Header=BB6_3409 Depth=3
	s_or_b64 exec, exec, s[66:67]
.LBB6_3673:                             ;   in Loop: Header=BB6_3409 Depth=3
	s_or_b64 exec, exec, s[28:29]
	v_add_f32_e32 v14, v17, v15
	v_and_b32_sdwa v17, v14, s91 dst_sel:DWORD dst_unused:UNUSED_PAD src0_sel:BYTE_3 src1_sel:DWORD
	v_and_b32_e32 v6, 0x7f800000, v14
	v_mov_b32_e32 v7, v27
	v_and_b32_e32 v26, 0x7fffff, v14
	v_or_b32_e32 v44, 0x7e, v17
	v_cmp_ne_u64_e32 vcc, s[52:53], v[6:7]
	s_and_saveexec_b64 s[28:29], vcc
	s_xor_b64 s[66:67], exec, s[28:29]
	s_cbranch_execz .LBB6_3687
; %bb.3674:                             ;   in Loop: Header=BB6_3409 Depth=3
	v_and_b32_e32 v6, 0x7fffffff, v14
	v_mov_b32_e32 v7, v27
	v_cmp_gt_u64_e32 vcc, s[54:55], v[6:7]
	s_and_saveexec_b64 s[28:29], vcc
	s_xor_b64 s[68:69], exec, s[28:29]
	s_cbranch_execz .LBB6_3686
; %bb.3675:                             ;   in Loop: Header=BB6_3409 Depth=3
	v_cmp_ne_u32_e32 vcc, 0, v14
	v_mov_b32_e32 v44, 0
	s_and_saveexec_b64 s[70:71], vcc
	s_cbranch_execz .LBB6_3685
; %bb.3676:                             ;   in Loop: Header=BB6_3409 Depth=3
	v_bfe_u32 v6, v14, 23, 8
	v_sub_u32_e32 v14, 0x79, v6
	v_cmp_gt_u32_e32 vcc, s93, v6
	v_add_u32_e32 v7, 0xffffff81, v6
	v_cndmask_b32_e32 v14, 0, v14, vcc
	v_cmp_eq_u32_e32 vcc, 0, v6
	v_mov_b32_e32 v0, 0xffffff82
	v_cndmask_b32_e32 v18, v7, v0, vcc
	v_mov_b32_e32 v0, 0x78
	v_cndmask_b32_e32 v29, v14, v0, vcc
	v_or_b32_e32 v15, 0x800000, v26
	v_add_u32_e32 v6, 20, v29
	v_cndmask_b32_e32 v26, v15, v26, vcc
	v_lshlrev_b64 v[6:7], v6, -1
	v_not_b32_e32 v6, v6
	v_lshrrev_b64 v[20:21], v29, v[26:27]
	v_not_b32_e32 v7, v7
	v_and_b32_e32 v6, v26, v6
	v_add_u32_e32 v14, 19, v29
	v_lshrrev_b32_e32 v26, 23, v20
	v_and_b32_e32 v7, 0, v7
	v_lshlrev_b64 v[14:15], v14, 1
	v_add3_u32 v29, v29, v18, v26
	v_bfe_u32 v18, v20, 20, 1
	v_add_u32_e32 v18, -1, v18
	v_cmp_eq_u64_e32 vcc, v[6:7], v[14:15]
	v_cndmask_b32_e32 v6, 0, v18, vcc
	v_add_u32_e32 v6, v6, v20
	v_and_b32_e32 v6, 0xfffff, v6
	v_add_co_u32_e32 v14, vcc, v6, v20
	v_add_u32_e32 v26, 6, v29
	v_addc_co_u32_e32 v15, vcc, 0, v21, vcc
	v_cmp_ne_u32_e32 vcc, 0, v26
                                        ; implicit-def: $vgpr18
	s_and_saveexec_b64 s[28:29], vcc
	s_xor_b64 s[28:29], exec, s[28:29]
; %bb.3677:                             ;   in Loop: Header=BB6_3409 Depth=3
	v_add_u32_e32 v6, 7, v29
	v_cmp_lt_u64_e32 vcc, s[56:57], v[14:15]
	v_cndmask_b32_e32 v18, v26, v6, vcc
	v_cndmask_b32_e64 v6, 0, 1, vcc
	v_lshrrev_b64 v[14:15], v6, v[14:15]
; %bb.3678:                             ;   in Loop: Header=BB6_3409 Depth=3
	s_andn2_saveexec_b64 s[28:29], s[28:29]
; %bb.3679:                             ;   in Loop: Header=BB6_3409 Depth=3
	v_bfe_u32 v18, v14, 23, 1
; %bb.3680:                             ;   in Loop: Header=BB6_3409 Depth=3
	s_or_b64 exec, exec, s[28:29]
	v_lshrrev_b64 v[6:7], 20, v[14:15]
	v_cmp_gt_i32_e32 vcc, 16, v18
	v_cndmask_b32_e32 v15, 0, v7, vcc
	v_cndmask_b32_e32 v14, 7, v6, vcc
	v_cmp_ne_u32_e32 vcc, 0, v18
	v_cmp_ne_u64_e64 s[28:29], 0, v[14:15]
	s_or_b64 s[28:29], vcc, s[28:29]
                                        ; implicit-def: $vgpr44
	s_and_saveexec_b64 vcc, s[28:29]
	s_xor_b64 s[28:29], exec, vcc
; %bb.3681:                             ;   in Loop: Header=BB6_3409 Depth=3
	v_min_i32_e32 v6, 15, v18
	v_lshl_or_b32 v6, v6, 3, v17
	v_and_or_b32 v44, v14, 7, v6
                                        ; implicit-def: $vgpr17
; %bb.3682:                             ;   in Loop: Header=BB6_3409 Depth=3
	s_andn2_saveexec_b64 s[28:29], s[28:29]
; %bb.3683:                             ;   in Loop: Header=BB6_3409 Depth=3
	v_mov_b32_e32 v44, v17
; %bb.3684:                             ;   in Loop: Header=BB6_3409 Depth=3
	s_or_b64 exec, exec, s[28:29]
.LBB6_3685:                             ;   in Loop: Header=BB6_3409 Depth=3
	s_or_b64 exec, exec, s[70:71]
.LBB6_3686:                             ;   in Loop: Header=BB6_3409 Depth=3
	s_andn2_saveexec_b64 s[28:29], s[68:69]
	s_or_b64 exec, exec, s[28:29]
                                        ; implicit-def: $vgpr14
.LBB6_3687:                             ;   in Loop: Header=BB6_3409 Depth=3
	s_andn2_saveexec_b64 s[28:29], s[66:67]
; %bb.3688:                             ;   in Loop: Header=BB6_3409 Depth=3
	v_or_b32_sdwa v6, v14, s92 dst_sel:DWORD dst_unused:UNUSED_PAD src0_sel:BYTE_3 src1_sel:DWORD
	v_cmp_eq_u64_e32 vcc, 0, v[26:27]
	v_cndmask_b32_e32 v44, v6, v44, vcc
; %bb.3689:                             ;   in Loop: Header=BB6_3409 Depth=3
	s_or_b64 exec, exec, s[28:29]
	v_and_b32_e32 v14, 0xff, v40
	v_cmp_ne_u16_e32 vcc, 0, v14
	v_mov_b32_e32 v15, 0
	v_mov_b32_e32 v17, 0
	s_and_saveexec_b64 s[28:29], vcc
	s_cbranch_execz .LBB6_3695
; %bb.3690:                             ;   in Loop: Header=BB6_3409 Depth=3
	v_cmp_ne_u16_e32 vcc, s91, v14
	v_bfrev_b32_e32 v17, 1
	s_and_saveexec_b64 s[66:67], vcc
	s_cbranch_execz .LBB6_3694
; %bb.3691:                             ;   in Loop: Header=BB6_3409 Depth=3
	v_and_b32_e32 v18, 0x7f, v40
	v_cmp_ne_u32_e32 vcc, s92, v18
	v_mov_b32_e32 v17, 0x7f800001
	s_and_saveexec_b64 s[68:69], vcc
	s_cbranch_execz .LBB6_3693
; %bb.3692:                             ;   in Loop: Header=BB6_3409 Depth=3
	v_and_b32_e32 v17, 7, v14
	v_ffbh_u32_e32 v6, v17
	v_min_u32_e32 v21, 32, v6
	v_subrev_u32_e32 v6, 28, v21
	v_lshlrev_b64 v[6:7], v6, v[14:15]
	v_lshrrev_b32_e32 v20, 3, v18
	v_sub_u32_e32 v7, 29, v21
	v_and_b32_e32 v6, 7, v6
	v_cmp_gt_u32_e32 vcc, 8, v18
	v_cndmask_b32_e32 v7, v20, v7, vcc
	v_cndmask_b32_e32 v6, v17, v6, vcc
	v_lshlrev_b32_e32 v14, 24, v40
	v_lshlrev_b32_e32 v6, 20, v6
	v_and_b32_e32 v14, 0x80000000, v14
	v_lshl_add_u32 v7, v7, 23, v31
	v_or3_b32 v17, v14, v7, v6
.LBB6_3693:                             ;   in Loop: Header=BB6_3409 Depth=3
	s_or_b64 exec, exec, s[68:69]
.LBB6_3694:                             ;   in Loop: Header=BB6_3409 Depth=3
	s_or_b64 exec, exec, s[66:67]
.LBB6_3695:                             ;   in Loop: Header=BB6_3409 Depth=3
	s_or_b64 exec, exec, s[28:29]
	v_and_b32_e32 v14, 0xff, v53
	v_cmp_ne_u16_e32 vcc, 0, v14
	s_and_saveexec_b64 s[28:29], vcc
	s_cbranch_execz .LBB6_3701
; %bb.3696:                             ;   in Loop: Header=BB6_3409 Depth=3
	v_cmp_ne_u16_e32 vcc, s91, v14
	v_bfrev_b32_e32 v15, 1
	s_and_saveexec_b64 s[66:67], vcc
	s_cbranch_execz .LBB6_3700
; %bb.3697:                             ;   in Loop: Header=BB6_3409 Depth=3
	v_and_b32_e32 v18, 0x7f, v53
	v_cmp_ne_u32_e32 vcc, s92, v18
	v_mov_b32_e32 v15, 0x7f800001
	s_and_saveexec_b64 s[68:69], vcc
	s_cbranch_execz .LBB6_3699
; %bb.3698:                             ;   in Loop: Header=BB6_3409 Depth=3
	v_and_b32_e32 v15, 7, v14
	v_ffbh_u32_e32 v6, v15
	v_min_u32_e32 v21, 32, v6
	v_subrev_u32_e32 v6, 28, v21
	v_lshlrev_b64 v[6:7], v6, v[14:15]
	v_lshrrev_b32_e32 v20, 3, v18
	v_sub_u32_e32 v7, 29, v21
	v_and_b32_e32 v6, 7, v6
	v_cmp_gt_u32_e32 vcc, 8, v18
	v_cndmask_b32_e32 v7, v20, v7, vcc
	v_cndmask_b32_e32 v6, v15, v6, vcc
	v_lshlrev_b32_e32 v14, 24, v53
	v_lshlrev_b32_e32 v6, 20, v6
	v_and_b32_e32 v14, 0x80000000, v14
	v_lshl_add_u32 v7, v7, 23, v31
	v_or3_b32 v15, v14, v7, v6
.LBB6_3699:                             ;   in Loop: Header=BB6_3409 Depth=3
	s_or_b64 exec, exec, s[68:69]
.LBB6_3700:                             ;   in Loop: Header=BB6_3409 Depth=3
	s_or_b64 exec, exec, s[66:67]
.LBB6_3701:                             ;   in Loop: Header=BB6_3409 Depth=3
	s_or_b64 exec, exec, s[28:29]
	v_add_f32_e32 v14, v17, v15
	v_and_b32_sdwa v17, v14, s91 dst_sel:DWORD dst_unused:UNUSED_PAD src0_sel:BYTE_3 src1_sel:DWORD
	v_and_b32_e32 v6, 0x7f800000, v14
	v_mov_b32_e32 v7, v27
	v_and_b32_e32 v26, 0x7fffff, v14
	v_or_b32_e32 v53, 0x7e, v17
	v_cmp_ne_u64_e32 vcc, s[52:53], v[6:7]
	s_and_saveexec_b64 s[28:29], vcc
	s_xor_b64 s[66:67], exec, s[28:29]
	s_cbranch_execz .LBB6_3715
; %bb.3702:                             ;   in Loop: Header=BB6_3409 Depth=3
	v_and_b32_e32 v6, 0x7fffffff, v14
	v_mov_b32_e32 v7, v27
	v_cmp_gt_u64_e32 vcc, s[54:55], v[6:7]
	s_and_saveexec_b64 s[28:29], vcc
	s_xor_b64 s[68:69], exec, s[28:29]
	s_cbranch_execz .LBB6_3714
; %bb.3703:                             ;   in Loop: Header=BB6_3409 Depth=3
	v_cmp_ne_u32_e32 vcc, 0, v14
	v_mov_b32_e32 v53, 0
	s_and_saveexec_b64 s[70:71], vcc
	s_cbranch_execz .LBB6_3713
; %bb.3704:                             ;   in Loop: Header=BB6_3409 Depth=3
	v_bfe_u32 v6, v14, 23, 8
	v_sub_u32_e32 v14, 0x79, v6
	v_cmp_gt_u32_e32 vcc, s93, v6
	v_add_u32_e32 v7, 0xffffff81, v6
	v_cndmask_b32_e32 v14, 0, v14, vcc
	v_cmp_eq_u32_e32 vcc, 0, v6
	v_mov_b32_e32 v0, 0xffffff82
	v_cndmask_b32_e32 v18, v7, v0, vcc
	v_mov_b32_e32 v0, 0x78
	v_cndmask_b32_e32 v29, v14, v0, vcc
	v_or_b32_e32 v15, 0x800000, v26
	v_add_u32_e32 v6, 20, v29
	v_cndmask_b32_e32 v26, v15, v26, vcc
	v_lshlrev_b64 v[6:7], v6, -1
	v_not_b32_e32 v6, v6
	v_lshrrev_b64 v[20:21], v29, v[26:27]
	v_not_b32_e32 v7, v7
	v_and_b32_e32 v6, v26, v6
	v_add_u32_e32 v14, 19, v29
	v_lshrrev_b32_e32 v26, 23, v20
	v_and_b32_e32 v7, 0, v7
	v_lshlrev_b64 v[14:15], v14, 1
	v_add3_u32 v29, v29, v18, v26
	v_bfe_u32 v18, v20, 20, 1
	v_add_u32_e32 v18, -1, v18
	v_cmp_eq_u64_e32 vcc, v[6:7], v[14:15]
	v_cndmask_b32_e32 v6, 0, v18, vcc
	v_add_u32_e32 v6, v6, v20
	v_and_b32_e32 v6, 0xfffff, v6
	v_add_co_u32_e32 v14, vcc, v6, v20
	v_add_u32_e32 v26, 6, v29
	v_addc_co_u32_e32 v15, vcc, 0, v21, vcc
	v_cmp_ne_u32_e32 vcc, 0, v26
                                        ; implicit-def: $vgpr18
	s_and_saveexec_b64 s[28:29], vcc
	s_xor_b64 s[28:29], exec, s[28:29]
; %bb.3705:                             ;   in Loop: Header=BB6_3409 Depth=3
	v_add_u32_e32 v6, 7, v29
	v_cmp_lt_u64_e32 vcc, s[56:57], v[14:15]
	v_cndmask_b32_e32 v18, v26, v6, vcc
	v_cndmask_b32_e64 v6, 0, 1, vcc
	v_lshrrev_b64 v[14:15], v6, v[14:15]
; %bb.3706:                             ;   in Loop: Header=BB6_3409 Depth=3
	s_andn2_saveexec_b64 s[28:29], s[28:29]
; %bb.3707:                             ;   in Loop: Header=BB6_3409 Depth=3
	v_bfe_u32 v18, v14, 23, 1
; %bb.3708:                             ;   in Loop: Header=BB6_3409 Depth=3
	s_or_b64 exec, exec, s[28:29]
	v_lshrrev_b64 v[6:7], 20, v[14:15]
	v_cmp_gt_i32_e32 vcc, 16, v18
	v_cndmask_b32_e32 v15, 0, v7, vcc
	v_cndmask_b32_e32 v14, 7, v6, vcc
	v_cmp_ne_u32_e32 vcc, 0, v18
	v_cmp_ne_u64_e64 s[28:29], 0, v[14:15]
	s_or_b64 s[28:29], vcc, s[28:29]
                                        ; implicit-def: $vgpr53
	s_and_saveexec_b64 vcc, s[28:29]
	s_xor_b64 s[28:29], exec, vcc
; %bb.3709:                             ;   in Loop: Header=BB6_3409 Depth=3
	v_min_i32_e32 v6, 15, v18
	v_lshl_or_b32 v6, v6, 3, v17
	v_and_or_b32 v53, v14, 7, v6
                                        ; implicit-def: $vgpr17
; %bb.3710:                             ;   in Loop: Header=BB6_3409 Depth=3
	s_andn2_saveexec_b64 s[28:29], s[28:29]
; %bb.3711:                             ;   in Loop: Header=BB6_3409 Depth=3
	v_mov_b32_e32 v53, v17
; %bb.3712:                             ;   in Loop: Header=BB6_3409 Depth=3
	s_or_b64 exec, exec, s[28:29]
.LBB6_3713:                             ;   in Loop: Header=BB6_3409 Depth=3
	s_or_b64 exec, exec, s[70:71]
.LBB6_3714:                             ;   in Loop: Header=BB6_3409 Depth=3
	s_andn2_saveexec_b64 s[28:29], s[68:69]
	s_or_b64 exec, exec, s[28:29]
                                        ; implicit-def: $vgpr14
.LBB6_3715:                             ;   in Loop: Header=BB6_3409 Depth=3
	s_andn2_saveexec_b64 s[28:29], s[66:67]
; %bb.3716:                             ;   in Loop: Header=BB6_3409 Depth=3
	v_or_b32_sdwa v6, v14, s92 dst_sel:DWORD dst_unused:UNUSED_PAD src0_sel:BYTE_3 src1_sel:DWORD
	v_cmp_eq_u64_e32 vcc, 0, v[26:27]
	v_cndmask_b32_e32 v53, v6, v53, vcc
; %bb.3717:                             ;   in Loop: Header=BB6_3409 Depth=3
	s_or_b64 exec, exec, s[28:29]
	v_and_b32_e32 v14, 0xff, v39
	v_cmp_ne_u16_e32 vcc, 0, v14
	v_mov_b32_e32 v15, 0
	v_mov_b32_e32 v17, 0
	s_and_saveexec_b64 s[28:29], vcc
	s_cbranch_execz .LBB6_3723
; %bb.3718:                             ;   in Loop: Header=BB6_3409 Depth=3
	v_cmp_ne_u16_e32 vcc, s91, v14
	v_bfrev_b32_e32 v17, 1
	s_and_saveexec_b64 s[66:67], vcc
	s_cbranch_execz .LBB6_3722
; %bb.3719:                             ;   in Loop: Header=BB6_3409 Depth=3
	v_and_b32_e32 v18, 0x7f, v39
	v_cmp_ne_u32_e32 vcc, s92, v18
	v_mov_b32_e32 v17, 0x7f800001
	s_and_saveexec_b64 s[68:69], vcc
	s_cbranch_execz .LBB6_3721
; %bb.3720:                             ;   in Loop: Header=BB6_3409 Depth=3
	v_and_b32_e32 v17, 7, v14
	v_ffbh_u32_e32 v6, v17
	v_min_u32_e32 v21, 32, v6
	v_subrev_u32_e32 v6, 28, v21
	v_lshlrev_b64 v[6:7], v6, v[14:15]
	v_lshrrev_b32_e32 v20, 3, v18
	v_sub_u32_e32 v7, 29, v21
	v_and_b32_e32 v6, 7, v6
	v_cmp_gt_u32_e32 vcc, 8, v18
	v_cndmask_b32_e32 v7, v20, v7, vcc
	v_cndmask_b32_e32 v6, v17, v6, vcc
	v_lshlrev_b32_e32 v14, 24, v39
	v_lshlrev_b32_e32 v6, 20, v6
	v_and_b32_e32 v14, 0x80000000, v14
	v_lshl_add_u32 v7, v7, 23, v31
	v_or3_b32 v17, v14, v7, v6
.LBB6_3721:                             ;   in Loop: Header=BB6_3409 Depth=3
	s_or_b64 exec, exec, s[68:69]
.LBB6_3722:                             ;   in Loop: Header=BB6_3409 Depth=3
	s_or_b64 exec, exec, s[66:67]
.LBB6_3723:                             ;   in Loop: Header=BB6_3409 Depth=3
	s_or_b64 exec, exec, s[28:29]
	v_and_b32_e32 v14, 0xff, v38
	v_cmp_ne_u16_e32 vcc, 0, v14
	s_and_saveexec_b64 s[28:29], vcc
	s_cbranch_execz .LBB6_3729
; %bb.3724:                             ;   in Loop: Header=BB6_3409 Depth=3
	v_cmp_ne_u16_e32 vcc, s91, v14
	v_bfrev_b32_e32 v15, 1
	s_and_saveexec_b64 s[66:67], vcc
	s_cbranch_execz .LBB6_3728
; %bb.3725:                             ;   in Loop: Header=BB6_3409 Depth=3
	v_and_b32_e32 v18, 0x7f, v38
	v_cmp_ne_u32_e32 vcc, s92, v18
	v_mov_b32_e32 v15, 0x7f800001
	s_and_saveexec_b64 s[68:69], vcc
	s_cbranch_execz .LBB6_3727
; %bb.3726:                             ;   in Loop: Header=BB6_3409 Depth=3
	v_and_b32_e32 v15, 7, v14
	v_ffbh_u32_e32 v6, v15
	v_min_u32_e32 v21, 32, v6
	v_subrev_u32_e32 v6, 28, v21
	v_lshlrev_b64 v[6:7], v6, v[14:15]
	v_lshrrev_b32_e32 v20, 3, v18
	v_sub_u32_e32 v7, 29, v21
	v_and_b32_e32 v6, 7, v6
	v_cmp_gt_u32_e32 vcc, 8, v18
	v_cndmask_b32_e32 v7, v20, v7, vcc
	v_cndmask_b32_e32 v6, v15, v6, vcc
	v_lshlrev_b32_e32 v14, 24, v38
	v_lshlrev_b32_e32 v6, 20, v6
	v_and_b32_e32 v14, 0x80000000, v14
	v_lshl_add_u32 v7, v7, 23, v31
	v_or3_b32 v15, v14, v7, v6
.LBB6_3727:                             ;   in Loop: Header=BB6_3409 Depth=3
	s_or_b64 exec, exec, s[68:69]
.LBB6_3728:                             ;   in Loop: Header=BB6_3409 Depth=3
	s_or_b64 exec, exec, s[66:67]
.LBB6_3729:                             ;   in Loop: Header=BB6_3409 Depth=3
	s_or_b64 exec, exec, s[28:29]
	v_add_f32_e32 v14, v17, v15
	v_and_b32_sdwa v17, v14, s91 dst_sel:DWORD dst_unused:UNUSED_PAD src0_sel:BYTE_3 src1_sel:DWORD
	v_and_b32_e32 v6, 0x7f800000, v14
	v_mov_b32_e32 v7, v27
	v_and_b32_e32 v26, 0x7fffff, v14
	v_or_b32_e32 v38, 0x7e, v17
	v_cmp_ne_u64_e32 vcc, s[52:53], v[6:7]
	s_and_saveexec_b64 s[28:29], vcc
	s_xor_b64 s[66:67], exec, s[28:29]
	s_cbranch_execz .LBB6_3743
; %bb.3730:                             ;   in Loop: Header=BB6_3409 Depth=3
	v_and_b32_e32 v6, 0x7fffffff, v14
	v_mov_b32_e32 v7, v27
	v_cmp_gt_u64_e32 vcc, s[54:55], v[6:7]
	s_and_saveexec_b64 s[28:29], vcc
	s_xor_b64 s[68:69], exec, s[28:29]
	s_cbranch_execz .LBB6_3742
; %bb.3731:                             ;   in Loop: Header=BB6_3409 Depth=3
	v_cmp_ne_u32_e32 vcc, 0, v14
	v_mov_b32_e32 v38, 0
	s_and_saveexec_b64 s[70:71], vcc
	s_cbranch_execz .LBB6_3741
; %bb.3732:                             ;   in Loop: Header=BB6_3409 Depth=3
	v_bfe_u32 v6, v14, 23, 8
	v_sub_u32_e32 v14, 0x79, v6
	v_cmp_gt_u32_e32 vcc, s93, v6
	v_add_u32_e32 v7, 0xffffff81, v6
	v_cndmask_b32_e32 v14, 0, v14, vcc
	v_cmp_eq_u32_e32 vcc, 0, v6
	v_mov_b32_e32 v0, 0xffffff82
	v_cndmask_b32_e32 v18, v7, v0, vcc
	v_mov_b32_e32 v0, 0x78
	v_cndmask_b32_e32 v29, v14, v0, vcc
	v_or_b32_e32 v15, 0x800000, v26
	v_add_u32_e32 v6, 20, v29
	v_cndmask_b32_e32 v26, v15, v26, vcc
	v_lshlrev_b64 v[6:7], v6, -1
	v_not_b32_e32 v6, v6
	v_lshrrev_b64 v[20:21], v29, v[26:27]
	v_not_b32_e32 v7, v7
	v_and_b32_e32 v6, v26, v6
	v_add_u32_e32 v14, 19, v29
	v_lshrrev_b32_e32 v26, 23, v20
	v_and_b32_e32 v7, 0, v7
	v_lshlrev_b64 v[14:15], v14, 1
	v_add3_u32 v29, v29, v18, v26
	v_bfe_u32 v18, v20, 20, 1
	v_add_u32_e32 v18, -1, v18
	v_cmp_eq_u64_e32 vcc, v[6:7], v[14:15]
	v_cndmask_b32_e32 v6, 0, v18, vcc
	v_add_u32_e32 v6, v6, v20
	v_and_b32_e32 v6, 0xfffff, v6
	v_add_co_u32_e32 v14, vcc, v6, v20
	v_add_u32_e32 v26, 6, v29
	v_addc_co_u32_e32 v15, vcc, 0, v21, vcc
	v_cmp_ne_u32_e32 vcc, 0, v26
                                        ; implicit-def: $vgpr18
	s_and_saveexec_b64 s[28:29], vcc
	s_xor_b64 s[28:29], exec, s[28:29]
; %bb.3733:                             ;   in Loop: Header=BB6_3409 Depth=3
	v_add_u32_e32 v6, 7, v29
	v_cmp_lt_u64_e32 vcc, s[56:57], v[14:15]
	v_cndmask_b32_e32 v18, v26, v6, vcc
	v_cndmask_b32_e64 v6, 0, 1, vcc
	v_lshrrev_b64 v[14:15], v6, v[14:15]
; %bb.3734:                             ;   in Loop: Header=BB6_3409 Depth=3
	s_andn2_saveexec_b64 s[28:29], s[28:29]
; %bb.3735:                             ;   in Loop: Header=BB6_3409 Depth=3
	v_bfe_u32 v18, v14, 23, 1
; %bb.3736:                             ;   in Loop: Header=BB6_3409 Depth=3
	s_or_b64 exec, exec, s[28:29]
	v_lshrrev_b64 v[6:7], 20, v[14:15]
	v_cmp_gt_i32_e32 vcc, 16, v18
	v_cndmask_b32_e32 v15, 0, v7, vcc
	v_cndmask_b32_e32 v14, 7, v6, vcc
	v_cmp_ne_u32_e32 vcc, 0, v18
	v_cmp_ne_u64_e64 s[28:29], 0, v[14:15]
	s_or_b64 s[28:29], vcc, s[28:29]
                                        ; implicit-def: $vgpr38
	s_and_saveexec_b64 vcc, s[28:29]
	s_xor_b64 s[28:29], exec, vcc
; %bb.3737:                             ;   in Loop: Header=BB6_3409 Depth=3
	v_min_i32_e32 v6, 15, v18
	v_lshl_or_b32 v6, v6, 3, v17
	v_and_or_b32 v38, v14, 7, v6
                                        ; implicit-def: $vgpr17
; %bb.3738:                             ;   in Loop: Header=BB6_3409 Depth=3
	s_andn2_saveexec_b64 s[28:29], s[28:29]
; %bb.3739:                             ;   in Loop: Header=BB6_3409 Depth=3
	v_mov_b32_e32 v38, v17
; %bb.3740:                             ;   in Loop: Header=BB6_3409 Depth=3
	s_or_b64 exec, exec, s[28:29]
.LBB6_3741:                             ;   in Loop: Header=BB6_3409 Depth=3
	s_or_b64 exec, exec, s[70:71]
.LBB6_3742:                             ;   in Loop: Header=BB6_3409 Depth=3
	s_andn2_saveexec_b64 s[28:29], s[68:69]
	s_or_b64 exec, exec, s[28:29]
                                        ; implicit-def: $vgpr14
.LBB6_3743:                             ;   in Loop: Header=BB6_3409 Depth=3
	s_andn2_saveexec_b64 s[28:29], s[66:67]
; %bb.3744:                             ;   in Loop: Header=BB6_3409 Depth=3
	v_or_b32_sdwa v6, v14, s92 dst_sel:DWORD dst_unused:UNUSED_PAD src0_sel:BYTE_3 src1_sel:DWORD
	v_cmp_eq_u64_e32 vcc, 0, v[26:27]
	v_cndmask_b32_e32 v38, v6, v38, vcc
; %bb.3745:                             ;   in Loop: Header=BB6_3409 Depth=3
	s_or_b64 exec, exec, s[28:29]
	v_and_b32_e32 v14, 0xff, v36
	v_cmp_ne_u16_e32 vcc, 0, v14
	v_mov_b32_e32 v15, 0
	v_mov_b32_e32 v17, 0
	s_and_saveexec_b64 s[28:29], vcc
	s_cbranch_execz .LBB6_3751
; %bb.3746:                             ;   in Loop: Header=BB6_3409 Depth=3
	v_cmp_ne_u16_e32 vcc, s91, v14
	v_bfrev_b32_e32 v17, 1
	s_and_saveexec_b64 s[66:67], vcc
	s_cbranch_execz .LBB6_3750
; %bb.3747:                             ;   in Loop: Header=BB6_3409 Depth=3
	v_and_b32_e32 v18, 0x7f, v36
	v_cmp_ne_u32_e32 vcc, s92, v18
	v_mov_b32_e32 v17, 0x7f800001
	s_and_saveexec_b64 s[68:69], vcc
	s_cbranch_execz .LBB6_3749
; %bb.3748:                             ;   in Loop: Header=BB6_3409 Depth=3
	v_and_b32_e32 v17, 7, v14
	v_ffbh_u32_e32 v6, v17
	v_min_u32_e32 v21, 32, v6
	v_subrev_u32_e32 v6, 28, v21
	v_lshlrev_b64 v[6:7], v6, v[14:15]
	v_lshrrev_b32_e32 v20, 3, v18
	v_sub_u32_e32 v7, 29, v21
	v_and_b32_e32 v6, 7, v6
	v_cmp_gt_u32_e32 vcc, 8, v18
	v_cndmask_b32_e32 v7, v20, v7, vcc
	v_cndmask_b32_e32 v6, v17, v6, vcc
	v_lshlrev_b32_e32 v14, 24, v36
	v_lshlrev_b32_e32 v6, 20, v6
	v_and_b32_e32 v14, 0x80000000, v14
	v_lshl_add_u32 v7, v7, 23, v31
	v_or3_b32 v17, v14, v7, v6
.LBB6_3749:                             ;   in Loop: Header=BB6_3409 Depth=3
	s_or_b64 exec, exec, s[68:69]
.LBB6_3750:                             ;   in Loop: Header=BB6_3409 Depth=3
	s_or_b64 exec, exec, s[66:67]
.LBB6_3751:                             ;   in Loop: Header=BB6_3409 Depth=3
	s_or_b64 exec, exec, s[28:29]
	v_and_b32_e32 v14, 0xff, v30
	v_cmp_ne_u16_e32 vcc, 0, v14
	s_and_saveexec_b64 s[28:29], vcc
	s_cbranch_execz .LBB6_3757
; %bb.3752:                             ;   in Loop: Header=BB6_3409 Depth=3
	v_cmp_ne_u16_e32 vcc, s91, v14
	v_bfrev_b32_e32 v15, 1
	s_and_saveexec_b64 s[66:67], vcc
	s_cbranch_execz .LBB6_3756
; %bb.3753:                             ;   in Loop: Header=BB6_3409 Depth=3
	v_and_b32_e32 v18, 0x7f, v30
	v_cmp_ne_u32_e32 vcc, s92, v18
	v_mov_b32_e32 v15, 0x7f800001
	s_and_saveexec_b64 s[68:69], vcc
	s_cbranch_execz .LBB6_3755
; %bb.3754:                             ;   in Loop: Header=BB6_3409 Depth=3
	v_and_b32_e32 v15, 7, v14
	v_ffbh_u32_e32 v6, v15
	v_min_u32_e32 v21, 32, v6
	v_subrev_u32_e32 v6, 28, v21
	v_lshlrev_b64 v[6:7], v6, v[14:15]
	v_lshrrev_b32_e32 v20, 3, v18
	v_sub_u32_e32 v7, 29, v21
	v_and_b32_e32 v6, 7, v6
	v_cmp_gt_u32_e32 vcc, 8, v18
	v_cndmask_b32_e32 v7, v20, v7, vcc
	v_cndmask_b32_e32 v6, v15, v6, vcc
	v_lshlrev_b32_e32 v14, 24, v30
	v_lshlrev_b32_e32 v6, 20, v6
	v_and_b32_e32 v14, 0x80000000, v14
	v_lshl_add_u32 v7, v7, 23, v31
	v_or3_b32 v15, v14, v7, v6
.LBB6_3755:                             ;   in Loop: Header=BB6_3409 Depth=3
	s_or_b64 exec, exec, s[68:69]
.LBB6_3756:                             ;   in Loop: Header=BB6_3409 Depth=3
	s_or_b64 exec, exec, s[66:67]
.LBB6_3757:                             ;   in Loop: Header=BB6_3409 Depth=3
	s_or_b64 exec, exec, s[28:29]
	v_add_f32_e32 v14, v17, v15
	v_and_b32_sdwa v18, v14, s91 dst_sel:DWORD dst_unused:UNUSED_PAD src0_sel:BYTE_3 src1_sel:DWORD
	v_and_b32_e32 v6, 0x7f800000, v14
	v_mov_b32_e32 v7, v27
	v_and_b32_e32 v26, 0x7fffff, v14
	v_or_b32_e32 v17, 0x7e, v18
	v_cmp_ne_u64_e32 vcc, s[52:53], v[6:7]
	s_and_saveexec_b64 s[28:29], vcc
	s_xor_b64 s[66:67], exec, s[28:29]
	s_cbranch_execz .LBB6_3771
; %bb.3758:                             ;   in Loop: Header=BB6_3409 Depth=3
	v_and_b32_e32 v6, 0x7fffffff, v14
	v_mov_b32_e32 v7, v27
	v_cmp_gt_u64_e32 vcc, s[54:55], v[6:7]
	s_and_saveexec_b64 s[28:29], vcc
	s_xor_b64 s[68:69], exec, s[28:29]
	s_cbranch_execz .LBB6_3770
; %bb.3759:                             ;   in Loop: Header=BB6_3409 Depth=3
	v_cmp_ne_u32_e32 vcc, 0, v14
	v_mov_b32_e32 v17, 0
	s_and_saveexec_b64 s[70:71], vcc
	s_cbranch_execz .LBB6_3769
; %bb.3760:                             ;   in Loop: Header=BB6_3409 Depth=3
	v_bfe_u32 v6, v14, 23, 8
	v_sub_u32_e32 v14, 0x79, v6
	v_cmp_gt_u32_e32 vcc, s93, v6
	v_add_u32_e32 v7, 0xffffff81, v6
	v_cndmask_b32_e32 v14, 0, v14, vcc
	v_cmp_eq_u32_e32 vcc, 0, v6
	v_mov_b32_e32 v0, 0xffffff82
	v_cndmask_b32_e32 v17, v7, v0, vcc
	v_mov_b32_e32 v0, 0x78
	v_cndmask_b32_e32 v29, v14, v0, vcc
	v_or_b32_e32 v15, 0x800000, v26
	v_add_u32_e32 v6, 20, v29
	v_cndmask_b32_e32 v26, v15, v26, vcc
	v_lshlrev_b64 v[6:7], v6, -1
	v_not_b32_e32 v6, v6
	v_lshrrev_b64 v[20:21], v29, v[26:27]
	v_not_b32_e32 v7, v7
	v_and_b32_e32 v6, v26, v6
	v_add_u32_e32 v14, 19, v29
	v_lshrrev_b32_e32 v26, 23, v20
	v_and_b32_e32 v7, 0, v7
	v_lshlrev_b64 v[14:15], v14, 1
	v_add3_u32 v29, v29, v17, v26
	v_bfe_u32 v26, v20, 20, 1
	v_add_u32_e32 v26, -1, v26
	v_cmp_eq_u64_e32 vcc, v[6:7], v[14:15]
	v_cndmask_b32_e32 v6, 0, v26, vcc
	v_add_u32_e32 v6, v6, v20
	v_and_b32_e32 v6, 0xfffff, v6
	v_add_co_u32_e32 v14, vcc, v6, v20
	v_add_u32_e32 v17, 6, v29
	v_addc_co_u32_e32 v15, vcc, 0, v21, vcc
	v_cmp_ne_u32_e32 vcc, 0, v17
                                        ; implicit-def: $vgpr26
	s_and_saveexec_b64 s[28:29], vcc
	s_xor_b64 s[28:29], exec, s[28:29]
; %bb.3761:                             ;   in Loop: Header=BB6_3409 Depth=3
	v_add_u32_e32 v6, 7, v29
	v_cmp_lt_u64_e32 vcc, s[56:57], v[14:15]
	v_cndmask_b32_e32 v26, v17, v6, vcc
	v_cndmask_b32_e64 v6, 0, 1, vcc
	v_lshrrev_b64 v[14:15], v6, v[14:15]
; %bb.3762:                             ;   in Loop: Header=BB6_3409 Depth=3
	s_andn2_saveexec_b64 s[28:29], s[28:29]
; %bb.3763:                             ;   in Loop: Header=BB6_3409 Depth=3
	v_bfe_u32 v26, v14, 23, 1
; %bb.3764:                             ;   in Loop: Header=BB6_3409 Depth=3
	s_or_b64 exec, exec, s[28:29]
	v_lshrrev_b64 v[6:7], 20, v[14:15]
	v_cmp_gt_i32_e32 vcc, 16, v26
	v_cndmask_b32_e32 v15, 0, v7, vcc
	v_cndmask_b32_e32 v14, 7, v6, vcc
	v_cmp_ne_u32_e32 vcc, 0, v26
	v_cmp_ne_u64_e64 s[28:29], 0, v[14:15]
	s_or_b64 s[28:29], vcc, s[28:29]
                                        ; implicit-def: $vgpr17
	s_and_saveexec_b64 vcc, s[28:29]
	s_xor_b64 s[28:29], exec, vcc
; %bb.3765:                             ;   in Loop: Header=BB6_3409 Depth=3
	v_min_i32_e32 v6, 15, v26
	v_lshl_or_b32 v6, v6, 3, v18
	v_and_or_b32 v17, v14, 7, v6
                                        ; implicit-def: $vgpr18
; %bb.3766:                             ;   in Loop: Header=BB6_3409 Depth=3
	s_andn2_saveexec_b64 s[28:29], s[28:29]
; %bb.3767:                             ;   in Loop: Header=BB6_3409 Depth=3
	v_mov_b32_e32 v17, v18
; %bb.3768:                             ;   in Loop: Header=BB6_3409 Depth=3
	s_or_b64 exec, exec, s[28:29]
.LBB6_3769:                             ;   in Loop: Header=BB6_3409 Depth=3
	s_or_b64 exec, exec, s[70:71]
.LBB6_3770:                             ;   in Loop: Header=BB6_3409 Depth=3
	s_andn2_saveexec_b64 s[28:29], s[68:69]
	s_or_b64 exec, exec, s[28:29]
                                        ; implicit-def: $vgpr14
.LBB6_3771:                             ;   in Loop: Header=BB6_3409 Depth=3
	s_andn2_saveexec_b64 s[28:29], s[66:67]
; %bb.3772:                             ;   in Loop: Header=BB6_3409 Depth=3
	v_or_b32_sdwa v6, v14, s92 dst_sel:DWORD dst_unused:UNUSED_PAD src0_sel:BYTE_3 src1_sel:DWORD
	v_cmp_eq_u64_e32 vcc, 0, v[26:27]
	v_cndmask_b32_e32 v17, v6, v17, vcc
; %bb.3773:                             ;   in Loop: Header=BB6_3409 Depth=3
	s_or_b64 exec, exec, s[28:29]
	v_and_b32_e32 v14, 0xff, v25
	v_cmp_ne_u16_e32 vcc, 0, v14
	v_mov_b32_e32 v15, 0
	v_mov_b32_e32 v18, 0
	s_and_saveexec_b64 s[28:29], vcc
	s_cbranch_execz .LBB6_3779
; %bb.3774:                             ;   in Loop: Header=BB6_3409 Depth=3
	v_cmp_ne_u16_e32 vcc, s91, v14
	v_bfrev_b32_e32 v18, 1
	s_and_saveexec_b64 s[66:67], vcc
	s_cbranch_execz .LBB6_3778
; %bb.3775:                             ;   in Loop: Header=BB6_3409 Depth=3
	v_and_b32_e32 v26, 0x7f, v25
	v_cmp_ne_u32_e32 vcc, s92, v26
	v_mov_b32_e32 v18, 0x7f800001
	s_and_saveexec_b64 s[68:69], vcc
	s_cbranch_execz .LBB6_3777
; %bb.3776:                             ;   in Loop: Header=BB6_3409 Depth=3
	v_and_b32_e32 v18, 7, v14
	v_ffbh_u32_e32 v6, v18
	v_min_u32_e32 v21, 32, v6
	v_subrev_u32_e32 v6, 28, v21
	v_lshlrev_b64 v[6:7], v6, v[14:15]
	v_lshrrev_b32_e32 v20, 3, v26
	v_sub_u32_e32 v7, 29, v21
	v_and_b32_e32 v6, 7, v6
	v_cmp_gt_u32_e32 vcc, 8, v26
	v_cndmask_b32_e32 v7, v20, v7, vcc
	v_cndmask_b32_e32 v6, v18, v6, vcc
	v_lshlrev_b32_e32 v14, 24, v25
	v_lshlrev_b32_e32 v6, 20, v6
	v_and_b32_e32 v14, 0x80000000, v14
	v_lshl_add_u32 v7, v7, 23, v31
	v_or3_b32 v18, v14, v7, v6
.LBB6_3777:                             ;   in Loop: Header=BB6_3409 Depth=3
	s_or_b64 exec, exec, s[68:69]
.LBB6_3778:                             ;   in Loop: Header=BB6_3409 Depth=3
	s_or_b64 exec, exec, s[66:67]
.LBB6_3779:                             ;   in Loop: Header=BB6_3409 Depth=3
	s_or_b64 exec, exec, s[28:29]
	v_and_b32_e32 v14, 0xff, v24
	v_cmp_ne_u16_e32 vcc, 0, v14
	s_and_saveexec_b64 s[28:29], vcc
	s_cbranch_execz .LBB6_3785
; %bb.3780:                             ;   in Loop: Header=BB6_3409 Depth=3
	v_cmp_ne_u16_e32 vcc, s91, v14
	v_bfrev_b32_e32 v15, 1
	s_and_saveexec_b64 s[66:67], vcc
	s_cbranch_execz .LBB6_3784
; %bb.3781:                             ;   in Loop: Header=BB6_3409 Depth=3
	v_and_b32_e32 v25, 0x7f, v24
	v_cmp_ne_u32_e32 vcc, s92, v25
	v_mov_b32_e32 v15, 0x7f800001
	s_and_saveexec_b64 s[68:69], vcc
	s_cbranch_execz .LBB6_3783
; %bb.3782:                             ;   in Loop: Header=BB6_3409 Depth=3
	v_and_b32_e32 v15, 7, v14
	v_ffbh_u32_e32 v6, v15
	v_min_u32_e32 v21, 32, v6
	v_subrev_u32_e32 v6, 28, v21
	v_lshlrev_b64 v[6:7], v6, v[14:15]
	v_lshrrev_b32_e32 v20, 3, v25
	v_sub_u32_e32 v7, 29, v21
	v_and_b32_e32 v6, 7, v6
	v_cmp_gt_u32_e32 vcc, 8, v25
	v_cndmask_b32_e32 v7, v20, v7, vcc
	v_cndmask_b32_e32 v6, v15, v6, vcc
	v_lshlrev_b32_e32 v14, 24, v24
	v_lshlrev_b32_e32 v6, 20, v6
	v_and_b32_e32 v14, 0x80000000, v14
	v_lshl_add_u32 v7, v7, 23, v31
	v_or3_b32 v15, v14, v7, v6
.LBB6_3783:                             ;   in Loop: Header=BB6_3409 Depth=3
	s_or_b64 exec, exec, s[68:69]
.LBB6_3784:                             ;   in Loop: Header=BB6_3409 Depth=3
	s_or_b64 exec, exec, s[66:67]
.LBB6_3785:                             ;   in Loop: Header=BB6_3409 Depth=3
	s_or_b64 exec, exec, s[28:29]
	v_add_f32_e32 v14, v18, v15
	v_and_b32_sdwa v18, v14, s91 dst_sel:DWORD dst_unused:UNUSED_PAD src0_sel:BYTE_3 src1_sel:DWORD
	v_and_b32_e32 v6, 0x7f800000, v14
	v_mov_b32_e32 v7, v27
	v_and_b32_e32 v26, 0x7fffff, v14
	v_or_b32_e32 v24, 0x7e, v18
	v_cmp_ne_u64_e32 vcc, s[52:53], v[6:7]
	s_and_saveexec_b64 s[28:29], vcc
	s_xor_b64 s[66:67], exec, s[28:29]
	s_cbranch_execz .LBB6_3799
; %bb.3786:                             ;   in Loop: Header=BB6_3409 Depth=3
	v_and_b32_e32 v6, 0x7fffffff, v14
	v_mov_b32_e32 v7, v27
	v_cmp_gt_u64_e32 vcc, s[54:55], v[6:7]
	s_and_saveexec_b64 s[28:29], vcc
	s_xor_b64 s[68:69], exec, s[28:29]
	s_cbranch_execz .LBB6_3798
; %bb.3787:                             ;   in Loop: Header=BB6_3409 Depth=3
	v_cmp_ne_u32_e32 vcc, 0, v14
	v_mov_b32_e32 v24, 0
	s_and_saveexec_b64 s[70:71], vcc
	s_cbranch_execz .LBB6_3797
; %bb.3788:                             ;   in Loop: Header=BB6_3409 Depth=3
	v_bfe_u32 v6, v14, 23, 8
	v_sub_u32_e32 v14, 0x79, v6
	v_cmp_gt_u32_e32 vcc, s93, v6
	v_add_u32_e32 v7, 0xffffff81, v6
	v_cndmask_b32_e32 v14, 0, v14, vcc
	v_cmp_eq_u32_e32 vcc, 0, v6
	v_mov_b32_e32 v0, 0xffffff82
	v_cndmask_b32_e32 v24, v7, v0, vcc
	v_mov_b32_e32 v0, 0x78
	v_cndmask_b32_e32 v25, v14, v0, vcc
	v_or_b32_e32 v15, 0x800000, v26
	v_add_u32_e32 v6, 20, v25
	v_cndmask_b32_e32 v26, v15, v26, vcc
	v_lshlrev_b64 v[6:7], v6, -1
	v_not_b32_e32 v6, v6
	v_lshrrev_b64 v[20:21], v25, v[26:27]
	v_not_b32_e32 v7, v7
	v_and_b32_e32 v6, v26, v6
	v_add_u32_e32 v14, 19, v25
	v_lshrrev_b32_e32 v26, 23, v20
	v_and_b32_e32 v7, 0, v7
	v_lshlrev_b64 v[14:15], v14, 1
	v_add3_u32 v26, v25, v24, v26
	v_bfe_u32 v25, v20, 20, 1
	v_add_u32_e32 v25, -1, v25
	v_cmp_eq_u64_e32 vcc, v[6:7], v[14:15]
	v_cndmask_b32_e32 v6, 0, v25, vcc
	v_add_u32_e32 v6, v6, v20
	v_and_b32_e32 v6, 0xfffff, v6
	v_add_co_u32_e32 v14, vcc, v6, v20
	v_add_u32_e32 v24, 6, v26
	v_addc_co_u32_e32 v15, vcc, 0, v21, vcc
	v_cmp_ne_u32_e32 vcc, 0, v24
                                        ; implicit-def: $vgpr25
	s_and_saveexec_b64 s[28:29], vcc
	s_xor_b64 s[28:29], exec, s[28:29]
; %bb.3789:                             ;   in Loop: Header=BB6_3409 Depth=3
	v_add_u32_e32 v6, 7, v26
	v_cmp_lt_u64_e32 vcc, s[56:57], v[14:15]
	v_cndmask_b32_e32 v25, v24, v6, vcc
	v_cndmask_b32_e64 v6, 0, 1, vcc
	v_lshrrev_b64 v[14:15], v6, v[14:15]
; %bb.3790:                             ;   in Loop: Header=BB6_3409 Depth=3
	s_andn2_saveexec_b64 s[28:29], s[28:29]
; %bb.3791:                             ;   in Loop: Header=BB6_3409 Depth=3
	v_bfe_u32 v25, v14, 23, 1
; %bb.3792:                             ;   in Loop: Header=BB6_3409 Depth=3
	s_or_b64 exec, exec, s[28:29]
	v_lshrrev_b64 v[6:7], 20, v[14:15]
	v_cmp_gt_i32_e32 vcc, 16, v25
	v_cndmask_b32_e32 v15, 0, v7, vcc
	v_cndmask_b32_e32 v14, 7, v6, vcc
	v_cmp_ne_u32_e32 vcc, 0, v25
	v_cmp_ne_u64_e64 s[28:29], 0, v[14:15]
	s_or_b64 s[28:29], vcc, s[28:29]
                                        ; implicit-def: $vgpr24
	s_and_saveexec_b64 vcc, s[28:29]
	s_xor_b64 s[28:29], exec, vcc
; %bb.3793:                             ;   in Loop: Header=BB6_3409 Depth=3
	v_min_i32_e32 v6, 15, v25
	v_lshl_or_b32 v6, v6, 3, v18
	v_and_or_b32 v24, v14, 7, v6
                                        ; implicit-def: $vgpr18
; %bb.3794:                             ;   in Loop: Header=BB6_3409 Depth=3
	s_andn2_saveexec_b64 s[28:29], s[28:29]
; %bb.3795:                             ;   in Loop: Header=BB6_3409 Depth=3
	v_mov_b32_e32 v24, v18
; %bb.3796:                             ;   in Loop: Header=BB6_3409 Depth=3
	s_or_b64 exec, exec, s[28:29]
.LBB6_3797:                             ;   in Loop: Header=BB6_3409 Depth=3
	s_or_b64 exec, exec, s[70:71]
.LBB6_3798:                             ;   in Loop: Header=BB6_3409 Depth=3
	s_andn2_saveexec_b64 s[28:29], s[68:69]
	s_or_b64 exec, exec, s[28:29]
                                        ; implicit-def: $vgpr14
.LBB6_3799:                             ;   in Loop: Header=BB6_3409 Depth=3
	s_andn2_saveexec_b64 s[28:29], s[66:67]
; %bb.3800:                             ;   in Loop: Header=BB6_3409 Depth=3
	v_or_b32_sdwa v6, v14, s92 dst_sel:DWORD dst_unused:UNUSED_PAD src0_sel:BYTE_3 src1_sel:DWORD
	v_cmp_eq_u64_e32 vcc, 0, v[26:27]
	v_cndmask_b32_e32 v24, v6, v24, vcc
; %bb.3801:                             ;   in Loop: Header=BB6_3409 Depth=3
	s_or_b64 exec, exec, s[28:29]
	v_and_b32_e32 v14, 0xff, v22
	v_cmp_ne_u16_e32 vcc, 0, v14
	v_mov_b32_e32 v15, 0
	v_mov_b32_e32 v18, 0
	s_and_saveexec_b64 s[28:29], vcc
	s_cbranch_execz .LBB6_3807
; %bb.3802:                             ;   in Loop: Header=BB6_3409 Depth=3
	v_cmp_ne_u16_e32 vcc, s91, v14
	v_bfrev_b32_e32 v18, 1
	s_and_saveexec_b64 s[66:67], vcc
	s_cbranch_execz .LBB6_3806
; %bb.3803:                             ;   in Loop: Header=BB6_3409 Depth=3
	v_and_b32_e32 v25, 0x7f, v22
	v_cmp_ne_u32_e32 vcc, s92, v25
	v_mov_b32_e32 v18, 0x7f800001
	s_and_saveexec_b64 s[68:69], vcc
	s_cbranch_execz .LBB6_3805
; %bb.3804:                             ;   in Loop: Header=BB6_3409 Depth=3
	v_and_b32_e32 v18, 7, v14
	v_ffbh_u32_e32 v6, v18
	v_min_u32_e32 v21, 32, v6
	v_subrev_u32_e32 v6, 28, v21
	v_lshlrev_b64 v[6:7], v6, v[14:15]
	v_lshrrev_b32_e32 v20, 3, v25
	v_sub_u32_e32 v7, 29, v21
	v_and_b32_e32 v6, 7, v6
	v_cmp_gt_u32_e32 vcc, 8, v25
	v_cndmask_b32_e32 v7, v20, v7, vcc
	v_cndmask_b32_e32 v6, v18, v6, vcc
	v_lshlrev_b32_e32 v14, 24, v22
	v_lshlrev_b32_e32 v6, 20, v6
	v_and_b32_e32 v14, 0x80000000, v14
	v_lshl_add_u32 v7, v7, 23, v31
	v_or3_b32 v18, v14, v7, v6
.LBB6_3805:                             ;   in Loop: Header=BB6_3409 Depth=3
	s_or_b64 exec, exec, s[68:69]
.LBB6_3806:                             ;   in Loop: Header=BB6_3409 Depth=3
	s_or_b64 exec, exec, s[66:67]
.LBB6_3807:                             ;   in Loop: Header=BB6_3409 Depth=3
	s_or_b64 exec, exec, s[28:29]
	v_and_b32_e32 v14, 0xff, v2
	v_cmp_ne_u16_e32 vcc, 0, v14
	s_and_saveexec_b64 s[28:29], vcc
	s_cbranch_execz .LBB6_3813
; %bb.3808:                             ;   in Loop: Header=BB6_3409 Depth=3
	v_cmp_ne_u16_e32 vcc, s91, v14
	v_bfrev_b32_e32 v15, 1
	s_and_saveexec_b64 s[66:67], vcc
	s_cbranch_execz .LBB6_3812
; %bb.3809:                             ;   in Loop: Header=BB6_3409 Depth=3
	v_and_b32_e32 v22, 0x7f, v2
	v_cmp_ne_u32_e32 vcc, s92, v22
	v_mov_b32_e32 v15, 0x7f800001
	s_and_saveexec_b64 s[68:69], vcc
	s_cbranch_execz .LBB6_3811
; %bb.3810:                             ;   in Loop: Header=BB6_3409 Depth=3
	v_and_b32_e32 v15, 7, v14
	v_ffbh_u32_e32 v6, v15
	v_min_u32_e32 v21, 32, v6
	v_subrev_u32_e32 v6, 28, v21
	v_lshlrev_b64 v[6:7], v6, v[14:15]
	v_lshrrev_b32_e32 v20, 3, v22
	v_sub_u32_e32 v7, 29, v21
	v_and_b32_e32 v6, 7, v6
	v_cmp_gt_u32_e32 vcc, 8, v22
	v_cndmask_b32_e32 v7, v20, v7, vcc
	v_cndmask_b32_e32 v6, v15, v6, vcc
	v_lshlrev_b32_e32 v2, 24, v2
	v_lshlrev_b32_e32 v6, 20, v6
	v_and_b32_e32 v2, 0x80000000, v2
	v_lshl_add_u32 v7, v7, 23, v31
	v_or3_b32 v15, v2, v7, v6
.LBB6_3811:                             ;   in Loop: Header=BB6_3409 Depth=3
	s_or_b64 exec, exec, s[68:69]
.LBB6_3812:                             ;   in Loop: Header=BB6_3409 Depth=3
	s_or_b64 exec, exec, s[66:67]
.LBB6_3813:                             ;   in Loop: Header=BB6_3409 Depth=3
	s_or_b64 exec, exec, s[28:29]
	v_add_f32_e32 v14, v18, v15
	v_and_b32_sdwa v18, v14, s91 dst_sel:DWORD dst_unused:UNUSED_PAD src0_sel:BYTE_3 src1_sel:DWORD
	v_and_b32_e32 v6, 0x7f800000, v14
	v_mov_b32_e32 v7, v27
	v_and_b32_e32 v26, 0x7fffff, v14
	v_or_b32_e32 v2, 0x7e, v18
	v_cmp_ne_u64_e32 vcc, s[52:53], v[6:7]
	s_and_saveexec_b64 s[28:29], vcc
	s_xor_b64 s[66:67], exec, s[28:29]
	s_cbranch_execz .LBB6_3827
; %bb.3814:                             ;   in Loop: Header=BB6_3409 Depth=3
	v_and_b32_e32 v6, 0x7fffffff, v14
	v_mov_b32_e32 v7, v27
	v_cmp_gt_u64_e32 vcc, s[54:55], v[6:7]
	s_and_saveexec_b64 s[28:29], vcc
	s_xor_b64 s[68:69], exec, s[28:29]
	s_cbranch_execz .LBB6_3826
; %bb.3815:                             ;   in Loop: Header=BB6_3409 Depth=3
	v_cmp_ne_u32_e32 vcc, 0, v14
	v_mov_b32_e32 v2, 0
	s_and_saveexec_b64 s[70:71], vcc
	s_cbranch_execz .LBB6_3825
; %bb.3816:                             ;   in Loop: Header=BB6_3409 Depth=3
	v_bfe_u32 v2, v14, 23, 8
	v_sub_u32_e32 v7, 0x79, v2
	v_cmp_gt_u32_e32 vcc, s93, v2
	v_add_u32_e32 v6, 0xffffff81, v2
	v_cndmask_b32_e32 v7, 0, v7, vcc
	v_cmp_eq_u32_e32 vcc, 0, v2
	v_mov_b32_e32 v0, 0xffffff82
	v_cndmask_b32_e32 v2, v6, v0, vcc
	v_mov_b32_e32 v0, 0x78
	v_or_b32_e32 v14, 0x800000, v26
	v_cndmask_b32_e32 v22, v7, v0, vcc
	v_cndmask_b32_e32 v26, v14, v26, vcc
	v_add_u32_e32 v6, 20, v22
	v_lshlrev_b64 v[6:7], v6, -1
	v_lshrrev_b64 v[20:21], v22, v[26:27]
	v_not_b32_e32 v7, v7
	v_not_b32_e32 v6, v6
	v_add_u32_e32 v14, 19, v22
	v_lshrrev_b32_e32 v25, 23, v20
	v_and_b32_e32 v7, 0, v7
	v_and_b32_e32 v6, v26, v6
	v_lshlrev_b64 v[14:15], v14, 1
	v_add3_u32 v25, v22, v2, v25
	v_bfe_u32 v22, v20, 20, 1
	v_add_u32_e32 v22, -1, v22
	v_cmp_eq_u64_e32 vcc, v[6:7], v[14:15]
	v_cndmask_b32_e32 v6, 0, v22, vcc
	v_add_u32_e32 v6, v6, v20
	v_and_b32_e32 v6, 0xfffff, v6
	v_add_co_u32_e32 v14, vcc, v6, v20
	v_add_u32_e32 v2, 6, v25
	v_addc_co_u32_e32 v15, vcc, 0, v21, vcc
	v_cmp_ne_u32_e32 vcc, 0, v2
                                        ; implicit-def: $vgpr22
	s_and_saveexec_b64 s[28:29], vcc
	s_xor_b64 s[28:29], exec, s[28:29]
; %bb.3817:                             ;   in Loop: Header=BB6_3409 Depth=3
	v_add_u32_e32 v6, 7, v25
	v_cmp_lt_u64_e32 vcc, s[56:57], v[14:15]
	v_cndmask_b32_e32 v22, v2, v6, vcc
	v_cndmask_b32_e64 v2, 0, 1, vcc
	v_lshrrev_b64 v[14:15], v2, v[14:15]
; %bb.3818:                             ;   in Loop: Header=BB6_3409 Depth=3
	s_andn2_saveexec_b64 s[28:29], s[28:29]
; %bb.3819:                             ;   in Loop: Header=BB6_3409 Depth=3
	v_bfe_u32 v22, v14, 23, 1
; %bb.3820:                             ;   in Loop: Header=BB6_3409 Depth=3
	s_or_b64 exec, exec, s[28:29]
	v_lshrrev_b64 v[6:7], 20, v[14:15]
	v_cmp_gt_i32_e32 vcc, 16, v22
	v_cndmask_b32_e32 v15, 0, v7, vcc
	v_cndmask_b32_e32 v14, 7, v6, vcc
	v_cmp_ne_u32_e32 vcc, 0, v22
	v_cmp_ne_u64_e64 s[28:29], 0, v[14:15]
	s_or_b64 s[28:29], vcc, s[28:29]
                                        ; implicit-def: $vgpr2
	s_and_saveexec_b64 vcc, s[28:29]
	s_xor_b64 s[28:29], exec, vcc
; %bb.3821:                             ;   in Loop: Header=BB6_3409 Depth=3
	v_min_i32_e32 v2, 15, v22
	v_lshl_or_b32 v2, v2, 3, v18
	v_and_or_b32 v2, v14, 7, v2
                                        ; implicit-def: $vgpr18
; %bb.3822:                             ;   in Loop: Header=BB6_3409 Depth=3
	s_andn2_saveexec_b64 s[28:29], s[28:29]
; %bb.3823:                             ;   in Loop: Header=BB6_3409 Depth=3
	v_mov_b32_e32 v2, v18
; %bb.3824:                             ;   in Loop: Header=BB6_3409 Depth=3
	s_or_b64 exec, exec, s[28:29]
.LBB6_3825:                             ;   in Loop: Header=BB6_3409 Depth=3
	s_or_b64 exec, exec, s[70:71]
.LBB6_3826:                             ;   in Loop: Header=BB6_3409 Depth=3
	s_andn2_saveexec_b64 s[28:29], s[68:69]
	s_or_b64 exec, exec, s[28:29]
                                        ; implicit-def: $vgpr14
.LBB6_3827:                             ;   in Loop: Header=BB6_3409 Depth=3
	s_andn2_saveexec_b64 s[28:29], s[66:67]
; %bb.3828:                             ;   in Loop: Header=BB6_3409 Depth=3
	v_or_b32_sdwa v6, v14, s92 dst_sel:DWORD dst_unused:UNUSED_PAD src0_sel:BYTE_3 src1_sel:DWORD
	v_cmp_eq_u64_e32 vcc, 0, v[26:27]
	v_cndmask_b32_e32 v2, v6, v2, vcc
; %bb.3829:                             ;   in Loop: Header=BB6_3409 Depth=3
	s_or_b64 exec, exec, s[28:29]
	v_and_b32_e32 v14, 0xff, v42
	v_cmp_ne_u16_e32 vcc, 0, v14
	v_mov_b32_e32 v15, 0
	v_mov_b32_e32 v18, 0
	s_and_saveexec_b64 s[28:29], vcc
	s_cbranch_execz .LBB6_3835
; %bb.3830:                             ;   in Loop: Header=BB6_3409 Depth=3
	v_cmp_ne_u16_e32 vcc, s91, v14
	v_bfrev_b32_e32 v18, 1
	s_and_saveexec_b64 s[66:67], vcc
	s_cbranch_execz .LBB6_3834
; %bb.3831:                             ;   in Loop: Header=BB6_3409 Depth=3
	v_and_b32_e32 v22, 0x7f, v42
	v_cmp_ne_u32_e32 vcc, s92, v22
	v_mov_b32_e32 v18, 0x7f800001
	s_and_saveexec_b64 s[68:69], vcc
	s_cbranch_execz .LBB6_3833
; %bb.3832:                             ;   in Loop: Header=BB6_3409 Depth=3
	v_and_b32_e32 v18, 7, v14
	v_ffbh_u32_e32 v6, v18
	v_min_u32_e32 v21, 32, v6
	v_subrev_u32_e32 v6, 28, v21
	v_lshlrev_b64 v[6:7], v6, v[14:15]
	v_lshrrev_b32_e32 v20, 3, v22
	v_sub_u32_e32 v7, 29, v21
	v_and_b32_e32 v6, 7, v6
	v_cmp_gt_u32_e32 vcc, 8, v22
	v_cndmask_b32_e32 v7, v20, v7, vcc
	v_cndmask_b32_e32 v6, v18, v6, vcc
	v_lshlrev_b32_e32 v14, 24, v42
	v_lshlrev_b32_e32 v6, 20, v6
	v_and_b32_e32 v14, 0x80000000, v14
	v_lshl_add_u32 v7, v7, 23, v31
	v_or3_b32 v18, v14, v7, v6
.LBB6_3833:                             ;   in Loop: Header=BB6_3409 Depth=3
	s_or_b64 exec, exec, s[68:69]
.LBB6_3834:                             ;   in Loop: Header=BB6_3409 Depth=3
	s_or_b64 exec, exec, s[66:67]
.LBB6_3835:                             ;   in Loop: Header=BB6_3409 Depth=3
	s_or_b64 exec, exec, s[28:29]
	v_and_b32_e32 v14, 0xff, v3
	v_cmp_ne_u16_e32 vcc, 0, v14
	s_and_saveexec_b64 s[28:29], vcc
	s_cbranch_execz .LBB6_3841
; %bb.3836:                             ;   in Loop: Header=BB6_3409 Depth=3
	v_cmp_ne_u16_e32 vcc, s91, v14
	v_bfrev_b32_e32 v15, 1
	s_and_saveexec_b64 s[66:67], vcc
	s_cbranch_execz .LBB6_3840
; %bb.3837:                             ;   in Loop: Header=BB6_3409 Depth=3
	v_and_b32_e32 v21, 0x7f, v3
	v_cmp_ne_u32_e32 vcc, s92, v21
	v_mov_b32_e32 v15, 0x7f800001
	s_and_saveexec_b64 s[68:69], vcc
	s_cbranch_execz .LBB6_3839
; %bb.3838:                             ;   in Loop: Header=BB6_3409 Depth=3
	v_and_b32_e32 v15, 7, v14
	v_ffbh_u32_e32 v6, v15
	v_min_u32_e32 v22, 32, v6
	v_subrev_u32_e32 v6, 28, v22
	v_lshlrev_b64 v[6:7], v6, v[14:15]
	v_lshrrev_b32_e32 v20, 3, v21
	v_sub_u32_e32 v7, 29, v22
	v_and_b32_e32 v6, 7, v6
	v_cmp_gt_u32_e32 vcc, 8, v21
	v_cndmask_b32_e32 v7, v20, v7, vcc
	v_cndmask_b32_e32 v6, v15, v6, vcc
	v_lshlrev_b32_e32 v3, 24, v3
	v_lshlrev_b32_e32 v6, 20, v6
	v_and_b32_e32 v3, 0x80000000, v3
	v_lshl_add_u32 v7, v7, 23, v31
	v_or3_b32 v15, v3, v7, v6
.LBB6_3839:                             ;   in Loop: Header=BB6_3409 Depth=3
	s_or_b64 exec, exec, s[68:69]
.LBB6_3840:                             ;   in Loop: Header=BB6_3409 Depth=3
	s_or_b64 exec, exec, s[66:67]
.LBB6_3841:                             ;   in Loop: Header=BB6_3409 Depth=3
	s_or_b64 exec, exec, s[28:29]
	v_add_f32_e32 v14, v18, v15
	v_and_b32_sdwa v18, v14, s91 dst_sel:DWORD dst_unused:UNUSED_PAD src0_sel:BYTE_3 src1_sel:DWORD
	v_and_b32_e32 v6, 0x7f800000, v14
	v_mov_b32_e32 v7, v27
	v_and_b32_e32 v26, 0x7fffff, v14
	v_or_b32_e32 v15, 0x7e, v18
	v_cmp_ne_u64_e32 vcc, s[52:53], v[6:7]
	s_and_saveexec_b64 s[28:29], vcc
	s_xor_b64 s[66:67], exec, s[28:29]
	s_cbranch_execz .LBB6_3855
; %bb.3842:                             ;   in Loop: Header=BB6_3409 Depth=3
	v_and_b32_e32 v6, 0x7fffffff, v14
	v_mov_b32_e32 v7, v27
	v_cmp_gt_u64_e32 vcc, s[54:55], v[6:7]
	s_and_saveexec_b64 s[28:29], vcc
	s_xor_b64 s[68:69], exec, s[28:29]
	s_cbranch_execz .LBB6_3854
; %bb.3843:                             ;   in Loop: Header=BB6_3409 Depth=3
	v_cmp_ne_u32_e32 vcc, 0, v14
	v_mov_b32_e32 v15, 0
	s_and_saveexec_b64 s[70:71], vcc
	s_cbranch_execz .LBB6_3853
; %bb.3844:                             ;   in Loop: Header=BB6_3409 Depth=3
	v_bfe_u32 v3, v14, 23, 8
	v_sub_u32_e32 v7, 0x79, v3
	v_cmp_gt_u32_e32 vcc, s93, v3
	v_add_u32_e32 v6, 0xffffff81, v3
	v_cndmask_b32_e32 v7, 0, v7, vcc
	v_cmp_eq_u32_e32 vcc, 0, v3
	v_mov_b32_e32 v0, 0xffffff82
	v_cndmask_b32_e32 v3, v6, v0, vcc
	v_mov_b32_e32 v0, 0x78
	v_or_b32_e32 v14, 0x800000, v26
	v_cndmask_b32_e32 v20, v7, v0, vcc
	v_cndmask_b32_e32 v26, v14, v26, vcc
	v_add_u32_e32 v6, 20, v20
	v_lshlrev_b64 v[6:7], v6, -1
	v_lshrrev_b64 v[50:51], v20, v[26:27]
	v_not_b32_e32 v7, v7
	v_not_b32_e32 v6, v6
	v_add_u32_e32 v14, 19, v20
	v_lshrrev_b32_e32 v21, 23, v50
	v_and_b32_e32 v7, 0, v7
	v_and_b32_e32 v6, v26, v6
	v_lshlrev_b64 v[14:15], v14, 1
	v_add3_u32 v22, v20, v3, v21
	v_bfe_u32 v3, v50, 20, 1
	v_add_u32_e32 v3, -1, v3
	v_cmp_eq_u64_e32 vcc, v[6:7], v[14:15]
	v_cndmask_b32_e32 v3, 0, v3, vcc
	v_add_u32_e32 v3, v3, v50
	v_and_b32_e32 v3, 0xfffff, v3
	v_add_co_u32_e32 v14, vcc, v3, v50
	v_add_u32_e32 v21, 6, v22
	v_addc_co_u32_e32 v15, vcc, 0, v51, vcc
	v_cmp_ne_u32_e32 vcc, 0, v21
                                        ; implicit-def: $vgpr20
	s_and_saveexec_b64 s[28:29], vcc
	s_xor_b64 s[28:29], exec, s[28:29]
; %bb.3845:                             ;   in Loop: Header=BB6_3409 Depth=3
	v_add_u32_e32 v3, 7, v22
	v_cmp_lt_u64_e32 vcc, s[56:57], v[14:15]
	v_cndmask_b32_e32 v20, v21, v3, vcc
	v_cndmask_b32_e64 v3, 0, 1, vcc
	v_lshrrev_b64 v[14:15], v3, v[14:15]
; %bb.3846:                             ;   in Loop: Header=BB6_3409 Depth=3
	s_andn2_saveexec_b64 s[28:29], s[28:29]
; %bb.3847:                             ;   in Loop: Header=BB6_3409 Depth=3
	v_bfe_u32 v20, v14, 23, 1
; %bb.3848:                             ;   in Loop: Header=BB6_3409 Depth=3
	s_or_b64 exec, exec, s[28:29]
	v_lshrrev_b64 v[6:7], 20, v[14:15]
	v_cmp_gt_i32_e32 vcc, 16, v20
	v_cndmask_b32_e32 v15, 0, v7, vcc
	v_cndmask_b32_e32 v14, 7, v6, vcc
	v_cmp_ne_u32_e32 vcc, 0, v20
	v_cmp_ne_u64_e64 s[28:29], 0, v[14:15]
	s_or_b64 s[28:29], vcc, s[28:29]
                                        ; implicit-def: $vgpr15
	s_and_saveexec_b64 vcc, s[28:29]
	s_xor_b64 s[28:29], exec, vcc
; %bb.3849:                             ;   in Loop: Header=BB6_3409 Depth=3
	v_min_i32_e32 v3, 15, v20
	v_lshl_or_b32 v3, v3, 3, v18
	v_and_or_b32 v15, v14, 7, v3
                                        ; implicit-def: $vgpr18
; %bb.3850:                             ;   in Loop: Header=BB6_3409 Depth=3
	s_andn2_saveexec_b64 s[28:29], s[28:29]
; %bb.3851:                             ;   in Loop: Header=BB6_3409 Depth=3
	v_mov_b32_e32 v15, v18
; %bb.3852:                             ;   in Loop: Header=BB6_3409 Depth=3
	s_or_b64 exec, exec, s[28:29]
.LBB6_3853:                             ;   in Loop: Header=BB6_3409 Depth=3
	s_or_b64 exec, exec, s[70:71]
.LBB6_3854:                             ;   in Loop: Header=BB6_3409 Depth=3
	s_andn2_saveexec_b64 s[28:29], s[68:69]
	s_or_b64 exec, exec, s[28:29]
                                        ; implicit-def: $vgpr14
.LBB6_3855:                             ;   in Loop: Header=BB6_3409 Depth=3
	s_andn2_saveexec_b64 s[28:29], s[66:67]
	s_cbranch_execz .LBB6_3408
; %bb.3856:                             ;   in Loop: Header=BB6_3409 Depth=3
	v_or_b32_sdwa v3, v14, s92 dst_sel:DWORD dst_unused:UNUSED_PAD src0_sel:BYTE_3 src1_sel:DWORD
	v_cmp_eq_u64_e32 vcc, 0, v[26:27]
	v_cndmask_b32_e32 v15, v3, v15, vcc
	s_branch .LBB6_3408
.LBB6_3857:                             ;   in Loop: Header=BB6_2119 Depth=2
	s_or_b64 exec, exec, s[64:65]
	v_accvgpr_read_b32 v57, a3
	v_accvgpr_read_b32 v12, a57
	;; [unrolled: 1-line block ×6, first 2 shown]
.LBB6_3858:                             ;   in Loop: Header=BB6_2119 Depth=2
	s_or_b64 exec, exec, s[30:31]
	v_lshlrev_b32_e32 v1, 10, v3
	v_cmp_ne_u32_e32 vcc, v4, v1
	s_and_saveexec_b64 s[64:65], vcc
	s_cbranch_execz .LBB6_3892
; %bb.3859:                             ;   in Loop: Header=BB6_2119 Depth=2
	v_add_u32_e32 v2, v0, v2
	v_and_b32_e32 v2, 0xffffffc0, v2
	v_sub_u32_e32 v2, v0, v2
	v_lshlrev_b32_e32 v3, 6, v16
	v_sub_u32_e32 v2, v2, v3
	v_add_u32_e32 v2, v1, v2
	v_sub_u32_e32 v1, v4, v2
	v_cmp_lt_i32_e32 vcc, 0, v1
	s_and_b64 exec, exec, vcc
	s_cbranch_execz .LBB6_3892
; %bb.3860:                             ;   in Loop: Header=BB6_2119 Depth=2
	s_trap 2
	ds_read_b128 v[4:7], v0
	v_add_u32_e32 v2, v2, v12
	v_ashrrev_i32_e32 v3, 31, v2
	s_mov_b64 s[66:67], 0
	s_waitcnt lgkmcnt(0)
	v_add_co_u32_e32 v4, vcc, v4, v2
	v_addc_co_u32_e32 v5, vcc, v5, v3, vcc
	v_add_co_u32_e32 v8, vcc, v6, v2
	v_addc_co_u32_e32 v9, vcc, v7, v3, vcc
	v_pk_mov_b32 v[10:11], v[4:5], v[4:5] op_sel:[0,1]
	v_pk_mov_b32 v[12:13], v[8:9], v[8:9] op_sel:[0,1]
.LBB6_3861:                             ;   Parent Loop BB6_47 Depth=1
                                        ;     Parent Loop BB6_2119 Depth=2
                                        ; =>    This Loop Header: Depth=3
                                        ;         Child Loop BB6_3890 Depth 4
	flat_load_ubyte v7, v[10:11] glc slc
	flat_load_ubyte v3, v[12:13] glc slc
	v_mov_b32_e32 v2, 0
	v_mov_b32_e32 v6, 0
	s_waitcnt vmcnt(0) lgkmcnt(0)
	v_cmp_ne_u16_e32 vcc, 0, v7
	s_and_saveexec_b64 s[28:29], vcc
	s_cbranch_execz .LBB6_3867
; %bb.3862:                             ;   in Loop: Header=BB6_3861 Depth=3
	v_cmp_ne_u16_e32 vcc, s91, v7
	v_bfrev_b32_e32 v6, 1
	s_and_saveexec_b64 s[30:31], vcc
	s_cbranch_execz .LBB6_3866
; %bb.3863:                             ;   in Loop: Header=BB6_3861 Depth=3
	v_and_b32_e32 v14, 0xffff, v7
	v_and_b32_e32 v15, 0x7f, v14
	v_cmp_ne_u32_e32 vcc, s92, v15
	v_mov_b32_e32 v6, 0x7f800001
	s_and_saveexec_b64 s[68:69], vcc
	s_cbranch_execz .LBB6_3865
; %bb.3864:                             ;   in Loop: Header=BB6_3861 Depth=3
	v_and_b32_e32 v6, 7, v14
	v_ffbh_u32_e32 v16, v6
	v_min_u32_e32 v19, 32, v16
	v_subrev_u32_e32 v16, 28, v19
	v_lshlrev_b64 v[16:17], v16, v[14:15]
	v_lshrrev_b32_e32 v18, 3, v15
	v_sub_u32_e32 v14, 29, v19
	v_and_b32_e32 v16, 7, v16
	v_cmp_gt_u32_e32 vcc, 8, v15
	v_cndmask_b32_e32 v14, v18, v14, vcc
	v_cndmask_b32_e32 v6, v6, v16, vcc
	v_lshlrev_b32_e32 v7, 24, v7
	v_lshlrev_b32_e32 v6, 20, v6
	v_and_b32_e32 v7, 0x80000000, v7
	v_lshl_add_u32 v14, v14, 23, v31
	v_or3_b32 v6, v7, v14, v6
.LBB6_3865:                             ;   in Loop: Header=BB6_3861 Depth=3
	s_or_b64 exec, exec, s[68:69]
.LBB6_3866:                             ;   in Loop: Header=BB6_3861 Depth=3
	s_or_b64 exec, exec, s[30:31]
.LBB6_3867:                             ;   in Loop: Header=BB6_3861 Depth=3
	s_or_b64 exec, exec, s[28:29]
	v_and_b32_e32 v14, 0xff, v3
	v_cmp_ne_u16_e32 vcc, 0, v14
	s_and_saveexec_b64 s[28:29], vcc
	s_cbranch_execz .LBB6_3873
; %bb.3868:                             ;   in Loop: Header=BB6_3861 Depth=3
	v_cmp_ne_u16_e32 vcc, s91, v14
	v_bfrev_b32_e32 v2, 1
	s_and_saveexec_b64 s[30:31], vcc
	s_cbranch_execz .LBB6_3872
; %bb.3869:                             ;   in Loop: Header=BB6_3861 Depth=3
	v_and_b32_e32 v7, 0x7f, v3
	v_cmp_ne_u32_e32 vcc, s92, v7
	v_mov_b32_e32 v2, 0x7f800001
	s_and_saveexec_b64 s[68:69], vcc
	s_cbranch_execz .LBB6_3871
; %bb.3870:                             ;   in Loop: Header=BB6_3861 Depth=3
	v_and_b32_e32 v15, 7, v14
	v_lshlrev_b32_e32 v2, 24, v3
	v_and_b32_e32 v17, 0x80000000, v2
	v_ffbh_u32_e32 v2, v15
	v_min_u32_e32 v18, 32, v2
	v_subrev_u32_e32 v2, 28, v18
	v_lshlrev_b64 v[2:3], v2, v[14:15]
	v_lshrrev_b32_e32 v16, 3, v7
	v_sub_u32_e32 v3, 29, v18
	v_and_b32_e32 v2, 7, v2
	v_cmp_gt_u32_e32 vcc, 8, v7
	v_cndmask_b32_e32 v3, v16, v3, vcc
	v_cndmask_b32_e32 v2, v15, v2, vcc
	v_lshlrev_b32_e32 v2, 20, v2
	v_lshl_add_u32 v3, v3, 23, v31
	v_or3_b32 v2, v17, v3, v2
.LBB6_3871:                             ;   in Loop: Header=BB6_3861 Depth=3
	s_or_b64 exec, exec, s[68:69]
.LBB6_3872:                             ;   in Loop: Header=BB6_3861 Depth=3
	s_or_b64 exec, exec, s[30:31]
.LBB6_3873:                             ;   in Loop: Header=BB6_3861 Depth=3
	s_or_b64 exec, exec, s[28:29]
	v_add_f32_e32 v6, v6, v2
	v_and_b32_sdwa v3, v6, s91 dst_sel:DWORD dst_unused:UNUSED_PAD src0_sel:BYTE_3 src1_sel:DWORD
	v_and_b32_e32 v14, 0x7f800000, v6
	v_mov_b32_e32 v15, v27
	v_and_b32_e32 v26, 0x7fffff, v6
	v_or_b32_e32 v2, 0x7e, v3
	v_cmp_ne_u64_e32 vcc, s[52:53], v[14:15]
	s_and_saveexec_b64 s[28:29], vcc
	s_xor_b64 s[30:31], exec, s[28:29]
	s_cbranch_execz .LBB6_3887
; %bb.3874:                             ;   in Loop: Header=BB6_3861 Depth=3
	v_and_b32_e32 v14, 0x7fffffff, v6
	v_mov_b32_e32 v15, v27
	v_cmp_gt_u64_e32 vcc, s[54:55], v[14:15]
	s_and_saveexec_b64 s[28:29], vcc
	s_xor_b64 s[68:69], exec, s[28:29]
	s_cbranch_execz .LBB6_3886
; %bb.3875:                             ;   in Loop: Header=BB6_3861 Depth=3
	v_cmp_ne_u32_e32 vcc, 0, v6
	v_mov_b32_e32 v2, 0
	s_and_saveexec_b64 s[70:71], vcc
	s_cbranch_execz .LBB6_3885
; %bb.3876:                             ;   in Loop: Header=BB6_3861 Depth=3
	v_bfe_u32 v2, v6, 23, 8
	v_sub_u32_e32 v7, 0x79, v2
	v_cmp_gt_u32_e32 vcc, s93, v2
	v_add_u32_e32 v6, 0xffffff81, v2
	v_cndmask_b32_e32 v7, 0, v7, vcc
	v_cmp_eq_u32_e32 vcc, 0, v2
	v_mov_b32_e32 v0, 0xffffff82
	v_cndmask_b32_e32 v2, v6, v0, vcc
	v_mov_b32_e32 v0, 0x78
	v_cndmask_b32_e32 v20, v7, v0, vcc
	v_add_u32_e32 v6, 20, v20
	v_or_b32_e32 v14, 0x800000, v26
	v_lshlrev_b64 v[6:7], v6, -1
	v_cndmask_b32_e32 v26, v14, v26, vcc
	v_not_b32_e32 v6, v6
	v_and_b32_e32 v14, v26, v6
	v_add_u32_e32 v6, 19, v20
	v_lshrrev_b64 v[18:19], v20, v[26:27]
	v_not_b32_e32 v7, v7
	v_lshlrev_b64 v[16:17], v6, 1
	v_lshrrev_b32_e32 v6, 23, v18
	v_and_b32_e32 v15, 0, v7
	v_add3_u32 v7, v20, v2, v6
	v_bfe_u32 v6, v18, 20, 1
	v_add_u32_e32 v6, -1, v6
	v_cmp_eq_u64_e32 vcc, v[14:15], v[16:17]
	v_cndmask_b32_e32 v6, 0, v6, vcc
	v_add_u32_e32 v6, v6, v18
	v_and_b32_e32 v6, 0xfffff, v6
	v_add_co_u32_e32 v14, vcc, v6, v18
	v_add_u32_e32 v2, 6, v7
	v_addc_co_u32_e32 v15, vcc, 0, v19, vcc
	v_cmp_ne_u32_e32 vcc, 0, v2
                                        ; implicit-def: $vgpr6
	s_and_saveexec_b64 s[28:29], vcc
	s_xor_b64 s[28:29], exec, s[28:29]
; %bb.3877:                             ;   in Loop: Header=BB6_3861 Depth=3
	v_add_u32_e32 v6, 7, v7
	v_cmp_lt_u64_e32 vcc, s[56:57], v[14:15]
	v_cndmask_b32_e32 v6, v2, v6, vcc
	v_cndmask_b32_e64 v2, 0, 1, vcc
	v_lshrrev_b64 v[14:15], v2, v[14:15]
; %bb.3878:                             ;   in Loop: Header=BB6_3861 Depth=3
	s_andn2_saveexec_b64 s[28:29], s[28:29]
; %bb.3879:                             ;   in Loop: Header=BB6_3861 Depth=3
	v_bfe_u32 v6, v14, 23, 1
; %bb.3880:                             ;   in Loop: Header=BB6_3861 Depth=3
	s_or_b64 exec, exec, s[28:29]
	v_lshrrev_b64 v[14:15], 20, v[14:15]
	v_cmp_gt_i32_e32 vcc, 16, v6
	v_cndmask_b32_e32 v15, 0, v15, vcc
	v_cndmask_b32_e32 v14, 7, v14, vcc
	v_cmp_ne_u32_e32 vcc, 0, v6
	v_cmp_ne_u64_e64 s[28:29], 0, v[14:15]
	s_or_b64 s[28:29], vcc, s[28:29]
                                        ; implicit-def: $vgpr2
	s_and_saveexec_b64 vcc, s[28:29]
	s_xor_b64 s[28:29], exec, vcc
; %bb.3881:                             ;   in Loop: Header=BB6_3861 Depth=3
	v_min_i32_e32 v2, 15, v6
	v_lshl_or_b32 v2, v2, 3, v3
	v_and_or_b32 v2, v14, 7, v2
                                        ; implicit-def: $vgpr3
; %bb.3882:                             ;   in Loop: Header=BB6_3861 Depth=3
	s_andn2_saveexec_b64 s[28:29], s[28:29]
; %bb.3883:                             ;   in Loop: Header=BB6_3861 Depth=3
	v_mov_b32_e32 v2, v3
; %bb.3884:                             ;   in Loop: Header=BB6_3861 Depth=3
	s_or_b64 exec, exec, s[28:29]
.LBB6_3885:                             ;   in Loop: Header=BB6_3861 Depth=3
	s_or_b64 exec, exec, s[70:71]
.LBB6_3886:                             ;   in Loop: Header=BB6_3861 Depth=3
	s_andn2_saveexec_b64 s[28:29], s[68:69]
	s_or_b64 exec, exec, s[28:29]
                                        ; implicit-def: $vgpr6
.LBB6_3887:                             ;   in Loop: Header=BB6_3861 Depth=3
	s_andn2_saveexec_b64 s[28:29], s[30:31]
; %bb.3888:                             ;   in Loop: Header=BB6_3861 Depth=3
	v_or_b32_sdwa v3, v6, s92 dst_sel:DWORD dst_unused:UNUSED_PAD src0_sel:BYTE_3 src1_sel:DWORD
	v_cmp_eq_u64_e32 vcc, 0, v[26:27]
	v_cndmask_b32_e32 v2, v3, v2, vcc
; %bb.3889:                             ;   in Loop: Header=BB6_3861 Depth=3
	s_or_b64 exec, exec, s[28:29]
	s_mov_b64 s[70:71], 0
	s_mov_b64 s[68:69], -1
.LBB6_3890:                             ;   Parent Loop BB6_47 Depth=1
                                        ;     Parent Loop BB6_2119 Depth=2
                                        ;       Parent Loop BB6_3861 Depth=3
                                        ; =>      This Inner Loop Header: Depth=4
	s_cmp_eq_u32 s70, 1
	s_cselect_b64 vcc, -1, 0
	v_cndmask_b32_e32 v6, v4, v8, vcc
	v_cndmask_b32_e32 v7, v5, v9, vcc
	v_add_co_u32_e64 v3, s[28:29], 64, v6
	s_cmp_eq_u32 s70, 0
	flat_store_byte v[6:7], v2 glc slc
	v_addc_co_u32_e64 v6, s[28:29], 0, v7, s[28:29]
	s_cselect_b64 s[28:29], -1, 0
	s_and_b64 s[30:31], exec, s[68:69]
	s_mov_b64 s[70:71], 1
	s_mov_b64 s[68:69], 0
	v_cndmask_b32_e32 v9, v9, v6, vcc
	v_cndmask_b32_e32 v8, v8, v3, vcc
	v_cndmask_b32_e64 v5, v5, v6, s[28:29]
	v_cndmask_b32_e64 v4, v4, v3, s[28:29]
	s_mov_b64 vcc, s[30:31]
	s_cbranch_vccnz .LBB6_3890
; %bb.3891:                             ;   in Loop: Header=BB6_3861 Depth=3
	v_accvgpr_read_b32 v0, a40
	v_add_co_u32_e32 v10, vcc, v10, v0
	v_accvgpr_read_b32 v2, a41
	v_addc_co_u32_e32 v11, vcc, v11, v2, vcc
	v_add_co_u32_e32 v12, vcc, v12, v0
	v_addc_co_u32_e32 v13, vcc, v13, v2, vcc
	v_accvgpr_read_b32 v2, a32
	v_add_co_u32_e32 v4, vcc, v4, v2
	v_accvgpr_read_b32 v3, a31
	v_accvgpr_read_b32 v0, a27
	v_addc_co_u32_e32 v5, vcc, v5, v3, vcc
	v_sub_u32_e32 v1, v1, v0
	v_cmp_gt_i32_e32 vcc, 1, v1
	s_or_b64 s[66:67], vcc, s[66:67]
	v_add_co_u32_e32 v8, vcc, v8, v2
	v_addc_co_u32_e32 v9, vcc, v9, v3, vcc
	s_andn2_b64 exec, exec, s[66:67]
	s_cbranch_execnz .LBB6_3861
.LBB6_3892:                             ;   in Loop: Header=BB6_2119 Depth=2
	s_or_b64 exec, exec, s[64:65]
	s_or_b64 exec, exec, s[34:35]
	s_branch .LBB6_2192
.LBB6_3893:                             ;   in Loop: Header=BB6_2119 Depth=2
	s_mov_b64 s[30:31], -1
	s_and_saveexec_b64 s[28:29], s[22:23]
	s_cbranch_execz .LBB6_3895
; %bb.3894:                             ;   in Loop: Header=BB6_2119 Depth=2
	ds_read_b32 v1, v0 offset:720
	s_waitcnt lgkmcnt(0)
	v_and_b32_e32 v1, 15, v1
	v_cmp_eq_u32_e32 vcc, 0, v1
	s_orn2_b64 s[30:31], vcc, exec
.LBB6_3895:                             ;   in Loop: Header=BB6_2119 Depth=2
	s_or_b64 exec, exec, s[28:29]
	s_and_saveexec_b64 s[28:29], s[18:19]
	s_cbranch_execz .LBB6_3897
; %bb.3896:                             ;   in Loop: Header=BB6_2119 Depth=2
	ds_read_b32 v1, v0 offset:784
	s_waitcnt lgkmcnt(0)
	v_and_b32_e32 v1, 15, v1
	v_cmp_eq_u32_e32 vcc, 0, v1
	s_and_b64 vcc, s[30:31], vcc
	s_andn2_b64 s[30:31], s[30:31], exec
	s_and_b64 vcc, vcc, exec
	s_or_b64 s[30:31], s[30:31], vcc
.LBB6_3897:                             ;   in Loop: Header=BB6_2119 Depth=2
	s_or_b64 exec, exec, s[28:29]
	s_xor_b64 vcc, s[30:31], -1
	v_cndmask_b32_e64 v1, 0, 1, vcc
	s_mov_b64 s[28:29], -1
	;;#ASMSTART
	;;#ASMEND
	v_cmp_ne_u32_e32 vcc, 0, v1
	v_mov_b32_e32 v59, 0
	v_mov_b32_e32 v42, v34
	v_accvgpr_read_b32 v0, a3
	v_accvgpr_read_b32 v4, a33
	s_cbranch_vccz .LBB6_3899
; %bb.3898:                             ;   in Loop: Header=BB6_2119 Depth=2
	s_and_saveexec_b64 s[30:31], s[28:29]
	s_cbranch_execnz .LBB6_5064
	s_branch .LBB6_5549
.LBB6_3899:                             ;   in Loop: Header=BB6_2119 Depth=2
	v_ashrrev_i32_e32 v1, 31, v34
	v_lshrrev_b32_e32 v1, 21, v1
	v_add_u32_e32 v1, v34, v1
	v_ashrrev_i32_e32 v1, 11, v1
	v_accvgpr_read_b32 v0, a33
	v_sub_u32_e32 v46, v1, v0
	v_accvgpr_write_b32 a57, v33
	v_accvgpr_write_b32 a61, v34
	v_cmp_lt_i32_e32 vcc, 0, v46
	s_and_saveexec_b64 s[30:31], vcc
	s_cbranch_execz .LBB6_4671
; %bb.3900:                             ;   in Loop: Header=BB6_2119 Depth=2
	s_trap 2
	ds_read_b128 v[2:5], v0
	ds_read_b64 v[6:7], v0
	v_accvgpr_read_b32 v0, a48
	v_accvgpr_write_b32 a62, v1
	v_accvgpr_read_b32 v1, a47
	s_waitcnt lgkmcnt(0)
	v_add_co_u32_e32 v24, vcc, v2, v0
	v_addc_co_u32_e32 v25, vcc, v3, v1, vcc
	v_add_co_u32_e32 v40, vcc, v4, v0
	v_addc_co_u32_e32 v41, vcc, v5, v1, vcc
	;; [unrolled: 2-line block ×3, first 2 shown]
	s_mov_b64 s[34:35], 0
	s_branch .LBB6_3902
.LBB6_3901:                             ;   in Loop: Header=BB6_3902 Depth=3
	s_or_b64 exec, exec, s[28:29]
	v_lshlrev_b32_e32 v6, 8, v28
	v_perm_b32 v6, v6, v47, s94
	v_lshl_or_b32 v6, v36, 16, v6
	v_lshlrev_b32_e32 v3, 8, v3
	v_lshl_or_b32 v51, v21, 24, v6
	v_and_b32_e32 v6, 0xff, v34
	v_lshlrev_b32_e32 v9, 8, v45
	v_perm_b32 v3, v3, v59, s94
	v_lshlrev_b32_e32 v7, 24, v30
	v_lshlrev_b32_e32 v6, 16, v6
	v_perm_b32 v9, v9, v55, s94
	v_lshl_or_b32 v3, v20, 16, v3
	v_or3_b32 v50, v7, v6, v9
	v_and_b32_e32 v6, 0xff, v53
	v_lshl_or_b32 v53, v1, 24, v3
	v_lshlrev_b32_e32 v1, 8, v18
	v_lshlrev_b32_e32 v9, 8, v52
	v_perm_b32 v1, v1, v44, s94
	v_lshlrev_b32_e32 v7, 24, v58
	v_lshlrev_b32_e32 v6, 16, v6
	v_perm_b32 v9, v9, v37, s94
	v_lshl_or_b32 v1, v16, 16, v1
	v_or3_b32 v52, v7, v6, v9
	v_lshl_or_b32 v15, v13, 24, v1
	v_and_b32_e32 v1, 0xff, v22
	v_lshlrev_b32_e32 v6, 8, v19
	v_lshlrev_b32_e32 v3, 24, v23
	;; [unrolled: 1-line block ×3, first 2 shown]
	v_perm_b32 v2, v6, v2, s94
	v_or3_b32 v14, v3, v1, v2
	v_and_b32_e32 v1, 0xff, v54
	v_lshlrev_b32_e32 v3, 8, v56
	v_lshlrev_b32_e32 v2, 24, v57
	;; [unrolled: 1-line block ×3, first 2 shown]
	v_perm_b32 v3, v3, v17, s94
	v_or3_b32 v16, v2, v1, v3
	v_lshlrev_b32_e32 v1, 8, v12
	v_perm_b32 v1, v1, v43, s94
	v_lshl_or_b32 v1, v29, 16, v1
	v_lshl_or_b32 v17, v8, 24, v1
	v_accvgpr_read_b32 v1, a38
	v_add_co_u32_e32 v24, vcc, v24, v1
	v_accvgpr_read_b32 v2, a39
	v_addc_co_u32_e32 v25, vcc, v25, v2, vcc
	v_add_co_u32_e32 v40, vcc, v40, v1
	v_accvgpr_read_b32 v0, a26
	v_addc_co_u32_e32 v41, vcc, v41, v2, vcc
	v_sub_u32_e32 v46, v46, v0
	v_cmp_gt_i32_e32 vcc, 1, v46
	global_store_dwordx4 v[4:5], v[50:53], off glc slc
	global_store_dwordx4 v[4:5], v[14:17], off offset:1024 glc slc
	s_or_b64 s[34:35], vcc, s[34:35]
	v_add_co_u32_e32 v4, vcc, v4, v1
	v_addc_co_u32_e32 v5, vcc, v5, v2, vcc
	s_andn2_b64 exec, exec, s[34:35]
	s_cbranch_execz .LBB6_4670
.LBB6_3902:                             ;   Parent Loop BB6_47 Depth=1
                                        ;     Parent Loop BB6_2119 Depth=2
                                        ; =>    This Inner Loop Header: Depth=3
	global_load_dwordx4 v[20:23], v[24:25], off glc slc
	global_load_dwordx4 v[12:15], v[24:25], off offset:1024 glc slc
	global_load_dwordx4 v[16:19], v[40:41], off glc slc
	global_load_dwordx4 v[8:11], v[40:41], off offset:1024 glc slc
	v_mov_b32_e32 v1, 0
	v_mov_b32_e32 v2, 0
	s_waitcnt vmcnt(0)
	v_cmp_ne_u16_sdwa vcc, v20, v27 src0_sel:BYTE_0 src1_sel:DWORD
	s_and_saveexec_b64 s[28:29], vcc
	s_cbranch_execz .LBB6_3908
; %bb.3903:                             ;   in Loop: Header=BB6_3902 Depth=3
	v_cmp_ne_u16_sdwa vcc, v20, s91 src0_sel:BYTE_0 src1_sel:DWORD
	v_bfrev_b32_e32 v2, 1
	s_and_saveexec_b64 s[64:65], vcc
	s_cbranch_execz .LBB6_3907
; %bb.3904:                             ;   in Loop: Header=BB6_3902 Depth=3
	v_and_b32_e32 v3, 0x7f, v20
	v_cmp_ne_u32_e32 vcc, s92, v3
	v_mov_b32_e32 v2, 0x7f800001
	s_and_saveexec_b64 s[66:67], vcc
	s_cbranch_execz .LBB6_3906
; %bb.3905:                             ;   in Loop: Header=BB6_3902 Depth=3
	v_and_b32_e32 v2, 7, v20
	v_ffbh_u32_e32 v2, v2
	v_min_u32_e32 v2, 32, v2
	v_lshrrev_b32_e32 v6, 3, v3
	v_subrev_u32_e32 v7, 28, v2
	v_sub_u32_e32 v2, 29, v2
	v_cmp_gt_u32_e32 vcc, 8, v3
	v_cndmask_b32_e32 v6, v6, v2, vcc
	v_cndmask_b32_e32 v2, 0, v7, vcc
	v_lshlrev_b64 v[2:3], v2, v[20:21]
	v_lshlrev_b32_e32 v2, 20, v2
	v_lshlrev_b32_e32 v3, 24, v20
	v_and_b32_e32 v2, 0x700000, v2
	v_and_b32_e32 v3, 0x80000000, v3
	v_lshl_add_u32 v6, v6, 23, v31
	v_or3_b32 v2, v3, v6, v2
.LBB6_3906:                             ;   in Loop: Header=BB6_3902 Depth=3
	s_or_b64 exec, exec, s[66:67]
.LBB6_3907:                             ;   in Loop: Header=BB6_3902 Depth=3
	s_or_b64 exec, exec, s[64:65]
.LBB6_3908:                             ;   in Loop: Header=BB6_3902 Depth=3
	s_or_b64 exec, exec, s[28:29]
	v_cmp_ne_u16_sdwa vcc, v16, v27 src0_sel:BYTE_0 src1_sel:DWORD
	s_and_saveexec_b64 s[28:29], vcc
	s_cbranch_execz .LBB6_3914
; %bb.3909:                             ;   in Loop: Header=BB6_3902 Depth=3
	v_cmp_ne_u16_sdwa vcc, v16, s91 src0_sel:BYTE_0 src1_sel:DWORD
	v_bfrev_b32_e32 v1, 1
	s_and_saveexec_b64 s[64:65], vcc
	s_cbranch_execz .LBB6_3913
; %bb.3910:                             ;   in Loop: Header=BB6_3902 Depth=3
	v_and_b32_e32 v3, 0x7f, v16
	v_cmp_ne_u32_e32 vcc, s92, v3
	v_mov_b32_e32 v1, 0x7f800001
	s_and_saveexec_b64 s[66:67], vcc
	s_cbranch_execz .LBB6_3912
; %bb.3911:                             ;   in Loop: Header=BB6_3902 Depth=3
	v_and_b32_e32 v1, 7, v16
	v_ffbh_u32_e32 v1, v1
	v_min_u32_e32 v1, 32, v1
	v_subrev_u32_e32 v7, 28, v1
	v_cmp_gt_u32_e32 vcc, 8, v3
	v_lshrrev_b32_e32 v6, 3, v3
	v_sub_u32_e32 v1, 29, v1
	v_cndmask_b32_e32 v3, 0, v7, vcc
	v_cndmask_b32_e32 v1, v6, v1, vcc
	v_lshlrev_b64 v[6:7], v3, v[16:17]
	v_lshlrev_b32_e32 v3, 20, v6
	v_lshlrev_b32_e32 v6, 24, v16
	v_and_b32_e32 v3, 0x700000, v3
	v_and_b32_e32 v6, 0x80000000, v6
	v_lshl_add_u32 v1, v1, 23, v31
	v_or3_b32 v1, v6, v1, v3
.LBB6_3912:                             ;   in Loop: Header=BB6_3902 Depth=3
	s_or_b64 exec, exec, s[66:67]
.LBB6_3913:                             ;   in Loop: Header=BB6_3902 Depth=3
	s_or_b64 exec, exec, s[64:65]
.LBB6_3914:                             ;   in Loop: Header=BB6_3902 Depth=3
	s_or_b64 exec, exec, s[28:29]
	v_add_f32_e32 v2, v2, v1
	v_and_b32_sdwa v1, v2, s91 dst_sel:DWORD dst_unused:UNUSED_PAD src0_sel:BYTE_3 src1_sel:DWORD
	v_and_b32_e32 v6, 0x7f800000, v2
	v_mov_b32_e32 v7, v27
	v_and_b32_e32 v26, 0x7fffff, v2
	v_or_b32_e32 v55, 0x7e, v1
	v_cmp_ne_u64_e32 vcc, s[52:53], v[6:7]
	s_and_saveexec_b64 s[28:29], vcc
	s_xor_b64 s[64:65], exec, s[28:29]
	s_cbranch_execz .LBB6_3924
; %bb.3915:                             ;   in Loop: Header=BB6_3902 Depth=3
	v_and_b32_e32 v6, 0x7fffffff, v2
	v_mov_b32_e32 v7, v27
	v_cmp_gt_u64_e32 vcc, s[54:55], v[6:7]
	s_and_saveexec_b64 s[66:67], vcc
	s_cbranch_execz .LBB6_3923
; %bb.3916:                             ;   in Loop: Header=BB6_3902 Depth=3
	v_cmp_ne_u32_e32 vcc, 0, v2
	v_mov_b32_e32 v55, 0
	s_and_saveexec_b64 s[68:69], vcc
	s_cbranch_execz .LBB6_3922
; %bb.3917:                             ;   in Loop: Header=BB6_3902 Depth=3
	v_bfe_u32 v2, v2, 23, 8
	v_sub_u32_e32 v6, 0x79, v2
	v_cmp_gt_u32_e32 vcc, s93, v2
	v_add_u32_e32 v3, 0xffffff81, v2
	v_cndmask_b32_e32 v6, 0, v6, vcc
	v_cmp_eq_u32_e32 vcc, 0, v2
	v_mov_b32_e32 v0, 0xffffff82
	v_cndmask_b32_e32 v30, v3, v0, vcc
	v_mov_b32_e32 v0, 0x78
	v_cndmask_b32_e32 v6, v6, v0, vcc
	v_add_u32_e32 v2, 20, v6
	v_or_b32_e32 v7, 0x800000, v26
	v_lshlrev_b64 v[2:3], v2, -1
	v_cndmask_b32_e32 v26, v7, v26, vcc
	v_not_b32_e32 v2, v2
	v_and_b32_e32 v28, v26, v2
	v_add_u32_e32 v2, 19, v6
	v_lshrrev_b64 v[50:51], v6, v[26:27]
	v_not_b32_e32 v3, v3
	v_lshlrev_b64 v[36:37], v2, 1
	v_lshrrev_b32_e32 v2, 23, v50
	v_and_b32_e32 v29, 0, v3
	v_add3_u32 v6, v6, v30, v2
	v_bfe_u32 v2, v50, 20, 1
	v_add_u32_e32 v2, -1, v2
	v_cmp_eq_u64_e32 vcc, v[28:29], v[36:37]
	v_cndmask_b32_e32 v2, 0, v2, vcc
	v_add_u32_e32 v2, v2, v50
	v_and_b32_e32 v2, 0xfffff, v2
	v_add_co_u32_e32 v52, vcc, v2, v50
	v_add_u32_e32 v3, 6, v6
	v_addc_co_u32_e32 v53, vcc, 0, v51, vcc
	v_cmp_ne_u32_e32 vcc, 0, v3
                                        ; implicit-def: $vgpr2
	s_and_saveexec_b64 s[28:29], vcc
	s_xor_b64 s[28:29], exec, s[28:29]
; %bb.3918:                             ;   in Loop: Header=BB6_3902 Depth=3
	v_add_u32_e32 v2, 7, v6
	v_cmp_lt_u64_e32 vcc, s[56:57], v[52:53]
	v_cndmask_b32_e32 v2, v3, v2, vcc
	v_cndmask_b32_e64 v3, 0, 1, vcc
	v_lshrrev_b64 v[52:53], v3, v[52:53]
; %bb.3919:                             ;   in Loop: Header=BB6_3902 Depth=3
	s_andn2_saveexec_b64 s[28:29], s[28:29]
; %bb.3920:                             ;   in Loop: Header=BB6_3902 Depth=3
	v_bfe_u32 v2, v52, 23, 1
; %bb.3921:                             ;   in Loop: Header=BB6_3902 Depth=3
	s_or_b64 exec, exec, s[28:29]
	v_lshrrev_b64 v[6:7], 20, v[52:53]
	v_cmp_gt_i32_e32 vcc, 16, v2
	v_cndmask_b32_e32 v7, 0, v7, vcc
	v_cndmask_b32_e32 v6, 7, v6, vcc
	v_cmp_eq_u32_e32 vcc, 0, v2
	v_min_i32_e32 v2, 15, v2
	v_cmp_eq_u64_e64 s[28:29], 0, v[6:7]
	v_lshlrev_b32_e32 v2, 3, v2
	v_and_or_b32 v2, v6, 7, v2
	s_and_b64 s[28:29], vcc, s[28:29]
	v_cndmask_b32_e64 v2, v2, 0, s[28:29]
	v_or_b32_e32 v55, v2, v1
.LBB6_3922:                             ;   in Loop: Header=BB6_3902 Depth=3
	s_or_b64 exec, exec, s[68:69]
.LBB6_3923:                             ;   in Loop: Header=BB6_3902 Depth=3
	s_or_b64 exec, exec, s[66:67]
                                        ; implicit-def: $vgpr2
.LBB6_3924:                             ;   in Loop: Header=BB6_3902 Depth=3
	s_andn2_saveexec_b64 s[28:29], s[64:65]
; %bb.3925:                             ;   in Loop: Header=BB6_3902 Depth=3
	v_or_b32_sdwa v1, v2, s92 dst_sel:DWORD dst_unused:UNUSED_PAD src0_sel:BYTE_3 src1_sel:DWORD
	v_cmp_eq_u64_e32 vcc, 0, v[26:27]
	v_cndmask_b32_e32 v55, v1, v55, vcc
; %bb.3926:                             ;   in Loop: Header=BB6_3902 Depth=3
	s_or_b64 exec, exec, s[28:29]
	v_lshrrev_b16_e32 v26, 8, v20
	v_cmp_ne_u16_e32 vcc, 0, v26
	v_mov_b32_e32 v1, 0
	v_mov_b32_e32 v2, 0
	s_and_saveexec_b64 s[28:29], vcc
	s_cbranch_execz .LBB6_3932
; %bb.3927:                             ;   in Loop: Header=BB6_3902 Depth=3
	v_cmp_ne_u16_e32 vcc, s91, v26
	v_bfrev_b32_e32 v2, 1
	s_and_saveexec_b64 s[64:65], vcc
	s_cbranch_execz .LBB6_3931
; %bb.3928:                             ;   in Loop: Header=BB6_3902 Depth=3
	v_and_b32_e32 v3, 0x7f, v26
	v_cmp_ne_u32_e32 vcc, s92, v3
	v_mov_b32_e32 v2, 0x7f800001
	s_and_saveexec_b64 s[66:67], vcc
	s_cbranch_execz .LBB6_3930
; %bb.3929:                             ;   in Loop: Header=BB6_3902 Depth=3
	v_and_b32_e32 v2, 7, v26
	v_ffbh_u32_e32 v6, v2
	v_min_u32_e32 v29, 32, v6
	v_subrev_u32_e32 v6, 28, v29
	v_lshlrev_b64 v[6:7], v6, v[26:27]
	v_lshrrev_b32_e32 v28, 3, v3
	v_sub_u32_e32 v7, 29, v29
	v_and_b32_e32 v6, 7, v6
	v_cmp_gt_u32_e32 vcc, 8, v3
	v_cndmask_b32_e32 v3, v28, v7, vcc
	v_cndmask_b32_e32 v2, v2, v6, vcc
	v_lshlrev_b32_e32 v6, 16, v20
	v_lshlrev_b32_e32 v2, 20, v2
	v_and_b32_e32 v6, 0x80000000, v6
	v_lshl_add_u32 v3, v3, 23, v31
	v_or3_b32 v2, v6, v3, v2
.LBB6_3930:                             ;   in Loop: Header=BB6_3902 Depth=3
	s_or_b64 exec, exec, s[66:67]
.LBB6_3931:                             ;   in Loop: Header=BB6_3902 Depth=3
	s_or_b64 exec, exec, s[64:65]
.LBB6_3932:                             ;   in Loop: Header=BB6_3902 Depth=3
	s_or_b64 exec, exec, s[28:29]
	v_lshrrev_b16_e32 v26, 8, v16
	v_cmp_ne_u16_e32 vcc, 0, v26
	s_and_saveexec_b64 s[28:29], vcc
	s_cbranch_execz .LBB6_3938
; %bb.3933:                             ;   in Loop: Header=BB6_3902 Depth=3
	v_cmp_ne_u16_e32 vcc, s91, v26
	v_bfrev_b32_e32 v1, 1
	s_and_saveexec_b64 s[64:65], vcc
	s_cbranch_execz .LBB6_3937
; %bb.3934:                             ;   in Loop: Header=BB6_3902 Depth=3
	v_and_b32_e32 v3, 0x7f, v26
	v_cmp_ne_u32_e32 vcc, s92, v3
	v_mov_b32_e32 v1, 0x7f800001
	s_and_saveexec_b64 s[66:67], vcc
	s_cbranch_execz .LBB6_3936
; %bb.3935:                             ;   in Loop: Header=BB6_3902 Depth=3
	v_and_b32_e32 v1, 7, v26
	v_ffbh_u32_e32 v6, v1
	v_min_u32_e32 v29, 32, v6
	v_subrev_u32_e32 v6, 28, v29
	v_lshlrev_b64 v[6:7], v6, v[26:27]
	v_lshrrev_b32_e32 v28, 3, v3
	v_sub_u32_e32 v7, 29, v29
	v_and_b32_e32 v6, 7, v6
	v_cmp_gt_u32_e32 vcc, 8, v3
	v_cndmask_b32_e32 v3, v28, v7, vcc
	v_cndmask_b32_e32 v1, v1, v6, vcc
	v_lshlrev_b32_e32 v6, 16, v16
	v_lshlrev_b32_e32 v1, 20, v1
	v_and_b32_e32 v6, 0x80000000, v6
	v_lshl_add_u32 v3, v3, 23, v31
	v_or3_b32 v1, v6, v3, v1
.LBB6_3936:                             ;   in Loop: Header=BB6_3902 Depth=3
	s_or_b64 exec, exec, s[66:67]
.LBB6_3937:                             ;   in Loop: Header=BB6_3902 Depth=3
	s_or_b64 exec, exec, s[64:65]
.LBB6_3938:                             ;   in Loop: Header=BB6_3902 Depth=3
	s_or_b64 exec, exec, s[28:29]
	v_add_f32_e32 v2, v2, v1
	v_and_b32_sdwa v1, v2, s91 dst_sel:DWORD dst_unused:UNUSED_PAD src0_sel:BYTE_3 src1_sel:DWORD
	v_and_b32_e32 v28, 0x7f800000, v2
	v_mov_b32_e32 v29, v27
	v_and_b32_e32 v26, 0x7fffff, v2
	v_or_b32_e32 v45, 0x7e, v1
	v_cmp_ne_u64_e32 vcc, s[52:53], v[28:29]
	s_and_saveexec_b64 s[28:29], vcc
	s_xor_b64 s[64:65], exec, s[28:29]
	s_cbranch_execz .LBB6_3948
; %bb.3939:                             ;   in Loop: Header=BB6_3902 Depth=3
	v_and_b32_e32 v28, 0x7fffffff, v2
	v_mov_b32_e32 v29, v27
	v_cmp_gt_u64_e32 vcc, s[54:55], v[28:29]
	s_and_saveexec_b64 s[66:67], vcc
	s_cbranch_execz .LBB6_3947
; %bb.3940:                             ;   in Loop: Header=BB6_3902 Depth=3
	v_cmp_ne_u32_e32 vcc, 0, v2
	v_mov_b32_e32 v45, 0
	s_and_saveexec_b64 s[68:69], vcc
	s_cbranch_execz .LBB6_3946
; %bb.3941:                             ;   in Loop: Header=BB6_3902 Depth=3
	v_bfe_u32 v2, v2, 23, 8
	v_sub_u32_e32 v6, 0x79, v2
	v_cmp_gt_u32_e32 vcc, s93, v2
	v_add_u32_e32 v3, 0xffffff81, v2
	v_cndmask_b32_e32 v6, 0, v6, vcc
	v_cmp_eq_u32_e32 vcc, 0, v2
	v_mov_b32_e32 v0, 0xffffff82
	v_cndmask_b32_e32 v30, v3, v0, vcc
	v_mov_b32_e32 v0, 0x78
	v_cndmask_b32_e32 v6, v6, v0, vcc
	v_add_u32_e32 v2, 20, v6
	v_or_b32_e32 v7, 0x800000, v26
	v_lshlrev_b64 v[2:3], v2, -1
	v_cndmask_b32_e32 v26, v7, v26, vcc
	v_not_b32_e32 v2, v2
	v_and_b32_e32 v28, v26, v2
	v_add_u32_e32 v2, 19, v6
	v_lshrrev_b64 v[50:51], v6, v[26:27]
	v_not_b32_e32 v3, v3
	v_lshlrev_b64 v[36:37], v2, 1
	v_lshrrev_b32_e32 v2, 23, v50
	v_and_b32_e32 v29, 0, v3
	v_add3_u32 v6, v6, v30, v2
	v_bfe_u32 v2, v50, 20, 1
	v_add_u32_e32 v2, -1, v2
	v_cmp_eq_u64_e32 vcc, v[28:29], v[36:37]
	v_cndmask_b32_e32 v2, 0, v2, vcc
	v_add_u32_e32 v2, v2, v50
	v_and_b32_e32 v2, 0xfffff, v2
	v_add_co_u32_e32 v52, vcc, v2, v50
	v_add_u32_e32 v3, 6, v6
	v_addc_co_u32_e32 v53, vcc, 0, v51, vcc
	v_cmp_ne_u32_e32 vcc, 0, v3
                                        ; implicit-def: $vgpr2
	s_and_saveexec_b64 s[28:29], vcc
	s_xor_b64 s[28:29], exec, s[28:29]
; %bb.3942:                             ;   in Loop: Header=BB6_3902 Depth=3
	v_add_u32_e32 v2, 7, v6
	v_cmp_lt_u64_e32 vcc, s[56:57], v[52:53]
	v_cndmask_b32_e32 v2, v3, v2, vcc
	v_cndmask_b32_e64 v3, 0, 1, vcc
	v_lshrrev_b64 v[52:53], v3, v[52:53]
; %bb.3943:                             ;   in Loop: Header=BB6_3902 Depth=3
	s_andn2_saveexec_b64 s[28:29], s[28:29]
; %bb.3944:                             ;   in Loop: Header=BB6_3902 Depth=3
	v_bfe_u32 v2, v52, 23, 1
; %bb.3945:                             ;   in Loop: Header=BB6_3902 Depth=3
	s_or_b64 exec, exec, s[28:29]
	v_lshrrev_b64 v[6:7], 20, v[52:53]
	v_cmp_gt_i32_e32 vcc, 16, v2
	v_cndmask_b32_e32 v7, 0, v7, vcc
	v_cndmask_b32_e32 v6, 7, v6, vcc
	v_cmp_eq_u32_e32 vcc, 0, v2
	v_min_i32_e32 v2, 15, v2
	v_cmp_eq_u64_e64 s[28:29], 0, v[6:7]
	v_lshlrev_b32_e32 v2, 3, v2
	v_and_or_b32 v2, v6, 7, v2
	s_and_b64 s[28:29], vcc, s[28:29]
	v_cndmask_b32_e64 v2, v2, 0, s[28:29]
	v_or_b32_e32 v45, v2, v1
.LBB6_3946:                             ;   in Loop: Header=BB6_3902 Depth=3
	s_or_b64 exec, exec, s[68:69]
.LBB6_3947:                             ;   in Loop: Header=BB6_3902 Depth=3
	s_or_b64 exec, exec, s[66:67]
                                        ; implicit-def: $vgpr2
.LBB6_3948:                             ;   in Loop: Header=BB6_3902 Depth=3
	s_andn2_saveexec_b64 s[28:29], s[64:65]
; %bb.3949:                             ;   in Loop: Header=BB6_3902 Depth=3
	v_or_b32_sdwa v1, v2, s92 dst_sel:DWORD dst_unused:UNUSED_PAD src0_sel:BYTE_3 src1_sel:DWORD
	v_cmp_eq_u64_e32 vcc, 0, v[26:27]
	v_cndmask_b32_e32 v45, v1, v45, vcc
; %bb.3950:                             ;   in Loop: Header=BB6_3902 Depth=3
	s_or_b64 exec, exec, s[28:29]
	v_lshrrev_b32_e32 v26, 16, v20
	v_cmp_ne_u16_sdwa vcc, v26, v27 src0_sel:BYTE_0 src1_sel:DWORD
	v_mov_b32_e32 v1, 0
	v_mov_b32_e32 v2, 0
	s_and_saveexec_b64 s[28:29], vcc
	s_cbranch_execz .LBB6_3956
; %bb.3951:                             ;   in Loop: Header=BB6_3902 Depth=3
	v_cmp_ne_u16_sdwa vcc, v26, s91 src0_sel:BYTE_0 src1_sel:DWORD
	v_bfrev_b32_e32 v2, 1
	s_and_saveexec_b64 s[64:65], vcc
	s_cbranch_execz .LBB6_3955
; %bb.3952:                             ;   in Loop: Header=BB6_3902 Depth=3
	v_bfe_u32 v3, v20, 16, 7
	v_cmp_ne_u32_e32 vcc, s92, v3
	v_mov_b32_e32 v2, 0x7f800001
	s_and_saveexec_b64 s[66:67], vcc
	s_cbranch_execz .LBB6_3954
; %bb.3953:                             ;   in Loop: Header=BB6_3902 Depth=3
	v_and_b32_e32 v2, 7, v26
	v_ffbh_u32_e32 v7, v2
	v_min_u32_e32 v7, 32, v7
	v_subrev_u32_e32 v28, 28, v7
	v_lshlrev_b64 v[28:29], v28, v[26:27]
	v_lshrrev_b32_e32 v6, 3, v3
	v_sub_u32_e32 v7, 29, v7
	v_and_b32_e32 v28, 7, v28
	v_cmp_gt_u32_e32 vcc, 8, v3
	v_cndmask_b32_e32 v3, v6, v7, vcc
	v_cndmask_b32_e32 v2, v2, v28, vcc
	v_lshlrev_b32_e32 v6, 24, v26
	v_lshlrev_b32_e32 v2, 20, v2
	v_and_b32_e32 v6, 0x80000000, v6
	v_lshl_add_u32 v3, v3, 23, v31
	v_or3_b32 v2, v6, v3, v2
.LBB6_3954:                             ;   in Loop: Header=BB6_3902 Depth=3
	s_or_b64 exec, exec, s[66:67]
.LBB6_3955:                             ;   in Loop: Header=BB6_3902 Depth=3
	s_or_b64 exec, exec, s[64:65]
.LBB6_3956:                             ;   in Loop: Header=BB6_3902 Depth=3
	s_or_b64 exec, exec, s[28:29]
	v_lshrrev_b32_e32 v26, 16, v16
	v_cmp_ne_u16_sdwa vcc, v26, v27 src0_sel:BYTE_0 src1_sel:DWORD
	s_and_saveexec_b64 s[28:29], vcc
	s_cbranch_execz .LBB6_3962
; %bb.3957:                             ;   in Loop: Header=BB6_3902 Depth=3
	v_cmp_ne_u16_sdwa vcc, v26, s91 src0_sel:BYTE_0 src1_sel:DWORD
	v_bfrev_b32_e32 v1, 1
	s_and_saveexec_b64 s[64:65], vcc
	s_cbranch_execz .LBB6_3961
; %bb.3958:                             ;   in Loop: Header=BB6_3902 Depth=3
	v_bfe_u32 v3, v16, 16, 7
	v_cmp_ne_u32_e32 vcc, s92, v3
	v_mov_b32_e32 v1, 0x7f800001
	s_and_saveexec_b64 s[66:67], vcc
	s_cbranch_execz .LBB6_3960
; %bb.3959:                             ;   in Loop: Header=BB6_3902 Depth=3
	v_and_b32_e32 v1, 7, v26
	v_ffbh_u32_e32 v7, v1
	v_min_u32_e32 v7, 32, v7
	v_subrev_u32_e32 v28, 28, v7
	v_lshlrev_b64 v[28:29], v28, v[26:27]
	v_lshrrev_b32_e32 v6, 3, v3
	v_sub_u32_e32 v7, 29, v7
	v_and_b32_e32 v26, 7, v28
	v_cmp_gt_u32_e32 vcc, 8, v3
	v_cndmask_b32_e32 v3, v6, v7, vcc
	v_cndmask_b32_e32 v1, v1, v26, vcc
	v_lshlrev_b32_e32 v6, 8, v16
	v_lshlrev_b32_e32 v1, 20, v1
	v_and_b32_e32 v6, 0x80000000, v6
	v_lshl_add_u32 v3, v3, 23, v31
	v_or3_b32 v1, v6, v3, v1
.LBB6_3960:                             ;   in Loop: Header=BB6_3902 Depth=3
	s_or_b64 exec, exec, s[66:67]
.LBB6_3961:                             ;   in Loop: Header=BB6_3902 Depth=3
	s_or_b64 exec, exec, s[64:65]
.LBB6_3962:                             ;   in Loop: Header=BB6_3902 Depth=3
	s_or_b64 exec, exec, s[28:29]
	v_add_f32_e32 v2, v2, v1
	v_and_b32_sdwa v1, v2, s91 dst_sel:DWORD dst_unused:UNUSED_PAD src0_sel:BYTE_3 src1_sel:DWORD
	v_and_b32_e32 v28, 0x7f800000, v2
	v_mov_b32_e32 v29, v27
	v_and_b32_e32 v26, 0x7fffff, v2
	v_or_b32_e32 v34, 0x7e, v1
	v_cmp_ne_u64_e32 vcc, s[52:53], v[28:29]
	s_and_saveexec_b64 s[28:29], vcc
	s_xor_b64 s[64:65], exec, s[28:29]
	s_cbranch_execz .LBB6_3972
; %bb.3963:                             ;   in Loop: Header=BB6_3902 Depth=3
	v_and_b32_e32 v28, 0x7fffffff, v2
	v_mov_b32_e32 v29, v27
	v_cmp_gt_u64_e32 vcc, s[54:55], v[28:29]
	s_and_saveexec_b64 s[66:67], vcc
	s_cbranch_execz .LBB6_3971
; %bb.3964:                             ;   in Loop: Header=BB6_3902 Depth=3
	v_cmp_ne_u32_e32 vcc, 0, v2
	v_mov_b32_e32 v34, 0
	s_and_saveexec_b64 s[68:69], vcc
	s_cbranch_execz .LBB6_3970
; %bb.3965:                             ;   in Loop: Header=BB6_3902 Depth=3
	v_bfe_u32 v2, v2, 23, 8
	v_sub_u32_e32 v6, 0x79, v2
	v_cmp_gt_u32_e32 vcc, s93, v2
	v_add_u32_e32 v3, 0xffffff81, v2
	v_cndmask_b32_e32 v6, 0, v6, vcc
	v_cmp_eq_u32_e32 vcc, 0, v2
	v_mov_b32_e32 v0, 0xffffff82
	v_cndmask_b32_e32 v30, v3, v0, vcc
	v_mov_b32_e32 v0, 0x78
	v_cndmask_b32_e32 v6, v6, v0, vcc
	v_add_u32_e32 v2, 20, v6
	v_or_b32_e32 v7, 0x800000, v26
	v_lshlrev_b64 v[2:3], v2, -1
	v_cndmask_b32_e32 v26, v7, v26, vcc
	v_not_b32_e32 v2, v2
	v_and_b32_e32 v28, v26, v2
	v_add_u32_e32 v2, 19, v6
	v_lshrrev_b64 v[50:51], v6, v[26:27]
	v_not_b32_e32 v3, v3
	v_lshlrev_b64 v[36:37], v2, 1
	v_lshrrev_b32_e32 v2, 23, v50
	v_and_b32_e32 v29, 0, v3
	v_add3_u32 v7, v6, v30, v2
	v_bfe_u32 v2, v50, 20, 1
	v_add_u32_e32 v2, -1, v2
	v_cmp_eq_u64_e32 vcc, v[28:29], v[36:37]
	v_cndmask_b32_e32 v2, 0, v2, vcc
	v_add_u32_e32 v2, v2, v50
	v_and_b32_e32 v2, 0xfffff, v2
	v_add_co_u32_e32 v52, vcc, v2, v50
	v_add_u32_e32 v3, 6, v7
	v_addc_co_u32_e32 v53, vcc, 0, v51, vcc
	v_cmp_ne_u32_e32 vcc, 0, v3
                                        ; implicit-def: $vgpr2
	s_and_saveexec_b64 s[28:29], vcc
	s_xor_b64 s[28:29], exec, s[28:29]
; %bb.3966:                             ;   in Loop: Header=BB6_3902 Depth=3
	v_add_u32_e32 v2, 7, v7
	v_cmp_lt_u64_e32 vcc, s[56:57], v[52:53]
	v_cndmask_b32_e32 v2, v3, v2, vcc
	v_cndmask_b32_e64 v3, 0, 1, vcc
	v_lshrrev_b64 v[52:53], v3, v[52:53]
; %bb.3967:                             ;   in Loop: Header=BB6_3902 Depth=3
	s_andn2_saveexec_b64 s[28:29], s[28:29]
; %bb.3968:                             ;   in Loop: Header=BB6_3902 Depth=3
	v_bfe_u32 v2, v52, 23, 1
; %bb.3969:                             ;   in Loop: Header=BB6_3902 Depth=3
	s_or_b64 exec, exec, s[28:29]
	v_lshrrev_b64 v[28:29], 20, v[52:53]
	v_cmp_gt_i32_e32 vcc, 16, v2
	v_cndmask_b32_e32 v29, 0, v29, vcc
	v_cndmask_b32_e32 v28, 7, v28, vcc
	v_cmp_eq_u32_e32 vcc, 0, v2
	v_min_i32_e32 v2, 15, v2
	v_cmp_eq_u64_e64 s[28:29], 0, v[28:29]
	v_lshlrev_b32_e32 v2, 3, v2
	v_and_or_b32 v2, v28, 7, v2
	s_and_b64 s[28:29], vcc, s[28:29]
	v_cndmask_b32_e64 v2, v2, 0, s[28:29]
	v_or_b32_e32 v34, v2, v1
.LBB6_3970:                             ;   in Loop: Header=BB6_3902 Depth=3
	s_or_b64 exec, exec, s[68:69]
.LBB6_3971:                             ;   in Loop: Header=BB6_3902 Depth=3
	s_or_b64 exec, exec, s[66:67]
                                        ; implicit-def: $vgpr2
.LBB6_3972:                             ;   in Loop: Header=BB6_3902 Depth=3
	s_andn2_saveexec_b64 s[28:29], s[64:65]
; %bb.3973:                             ;   in Loop: Header=BB6_3902 Depth=3
	v_or_b32_sdwa v1, v2, s92 dst_sel:DWORD dst_unused:UNUSED_PAD src0_sel:BYTE_3 src1_sel:DWORD
	v_cmp_eq_u64_e32 vcc, 0, v[26:27]
	v_cndmask_b32_e32 v34, v1, v34, vcc
; %bb.3974:                             ;   in Loop: Header=BB6_3902 Depth=3
	s_or_b64 exec, exec, s[28:29]
	v_cmp_lt_u32_e32 vcc, s43, v20
	v_mov_b32_e32 v1, 0
	v_mov_b32_e32 v2, 0
	s_and_saveexec_b64 s[28:29], vcc
	s_cbranch_execz .LBB6_3980
; %bb.3975:                             ;   in Loop: Header=BB6_3902 Depth=3
	v_lshrrev_b32_e32 v26, 24, v20
	v_cmp_ne_u32_e32 vcc, s91, v26
	v_bfrev_b32_e32 v2, 1
	s_and_saveexec_b64 s[64:65], vcc
	s_cbranch_execz .LBB6_3979
; %bb.3976:                             ;   in Loop: Header=BB6_3902 Depth=3
	v_bfe_u32 v3, v20, 24, 7
	v_cmp_ne_u32_e32 vcc, s92, v3
	v_mov_b32_e32 v2, 0x7f800001
	s_and_saveexec_b64 s[66:67], vcc
	s_cbranch_execz .LBB6_3978
; %bb.3977:                             ;   in Loop: Header=BB6_3902 Depth=3
	v_and_b32_e32 v2, 7, v26
	v_ffbh_u32_e32 v7, v2
	v_min_u32_e32 v7, 32, v7
	v_subrev_u32_e32 v28, 28, v7
	v_lshlrev_b64 v[28:29], v28, v[26:27]
	v_lshrrev_b32_e32 v6, 3, v3
	v_sub_u32_e32 v7, 29, v7
	v_and_b32_e32 v28, 7, v28
	v_cmp_gt_u32_e32 vcc, 8, v3
	v_cndmask_b32_e32 v3, v6, v7, vcc
	v_cndmask_b32_e32 v2, v2, v28, vcc
	v_lshlrev_b32_e32 v6, 24, v26
	v_lshlrev_b32_e32 v2, 20, v2
	v_and_b32_e32 v6, 0x80000000, v6
	v_lshl_add_u32 v3, v3, 23, v31
	v_or3_b32 v2, v6, v3, v2
.LBB6_3978:                             ;   in Loop: Header=BB6_3902 Depth=3
	s_or_b64 exec, exec, s[66:67]
.LBB6_3979:                             ;   in Loop: Header=BB6_3902 Depth=3
	s_or_b64 exec, exec, s[64:65]
.LBB6_3980:                             ;   in Loop: Header=BB6_3902 Depth=3
	s_or_b64 exec, exec, s[28:29]
	v_cmp_lt_u32_e32 vcc, s43, v16
	s_and_saveexec_b64 s[28:29], vcc
	s_cbranch_execz .LBB6_3986
; %bb.3981:                             ;   in Loop: Header=BB6_3902 Depth=3
	v_lshrrev_b32_e32 v26, 24, v16
	v_cmp_ne_u32_e32 vcc, s91, v26
	v_bfrev_b32_e32 v1, 1
	s_and_saveexec_b64 s[64:65], vcc
	s_cbranch_execz .LBB6_3985
; %bb.3982:                             ;   in Loop: Header=BB6_3902 Depth=3
	v_bfe_u32 v3, v16, 24, 7
	v_cmp_ne_u32_e32 vcc, s92, v3
	v_mov_b32_e32 v1, 0x7f800001
	s_and_saveexec_b64 s[66:67], vcc
	s_cbranch_execz .LBB6_3984
; %bb.3983:                             ;   in Loop: Header=BB6_3902 Depth=3
	v_and_b32_e32 v1, 7, v26
	v_ffbh_u32_e32 v7, v1
	v_min_u32_e32 v7, 32, v7
	v_subrev_u32_e32 v28, 28, v7
	v_lshlrev_b64 v[28:29], v28, v[26:27]
	v_lshrrev_b32_e32 v6, 3, v3
	v_sub_u32_e32 v7, 29, v7
	v_and_b32_e32 v28, 7, v28
	v_cmp_gt_u32_e32 vcc, 8, v3
	v_cndmask_b32_e32 v3, v6, v7, vcc
	v_cndmask_b32_e32 v1, v1, v28, vcc
	v_lshlrev_b32_e32 v6, 24, v26
	v_lshlrev_b32_e32 v1, 20, v1
	v_and_b32_e32 v6, 0x80000000, v6
	v_lshl_add_u32 v3, v3, 23, v31
	v_or3_b32 v1, v6, v3, v1
.LBB6_3984:                             ;   in Loop: Header=BB6_3902 Depth=3
	s_or_b64 exec, exec, s[66:67]
.LBB6_3985:                             ;   in Loop: Header=BB6_3902 Depth=3
	s_or_b64 exec, exec, s[64:65]
.LBB6_3986:                             ;   in Loop: Header=BB6_3902 Depth=3
	s_or_b64 exec, exec, s[28:29]
	v_add_f32_e32 v2, v2, v1
	v_and_b32_sdwa v1, v2, s91 dst_sel:DWORD dst_unused:UNUSED_PAD src0_sel:BYTE_3 src1_sel:DWORD
	v_and_b32_e32 v28, 0x7f800000, v2
	v_mov_b32_e32 v29, v27
	v_and_b32_e32 v26, 0x7fffff, v2
	v_or_b32_e32 v30, 0x7e, v1
	v_cmp_ne_u64_e32 vcc, s[52:53], v[28:29]
	s_and_saveexec_b64 s[28:29], vcc
	s_xor_b64 s[64:65], exec, s[28:29]
	s_cbranch_execz .LBB6_3996
; %bb.3987:                             ;   in Loop: Header=BB6_3902 Depth=3
	v_and_b32_e32 v28, 0x7fffffff, v2
	v_mov_b32_e32 v29, v27
	v_cmp_gt_u64_e32 vcc, s[54:55], v[28:29]
	s_and_saveexec_b64 s[66:67], vcc
	s_cbranch_execz .LBB6_3995
; %bb.3988:                             ;   in Loop: Header=BB6_3902 Depth=3
	v_cmp_ne_u32_e32 vcc, 0, v2
	v_mov_b32_e32 v30, 0
	s_and_saveexec_b64 s[68:69], vcc
	s_cbranch_execz .LBB6_3994
; %bb.3989:                             ;   in Loop: Header=BB6_3902 Depth=3
	v_bfe_u32 v2, v2, 23, 8
	v_sub_u32_e32 v6, 0x79, v2
	v_cmp_gt_u32_e32 vcc, s93, v2
	v_add_u32_e32 v3, 0xffffff81, v2
	v_cndmask_b32_e32 v6, 0, v6, vcc
	v_cmp_eq_u32_e32 vcc, 0, v2
	v_mov_b32_e32 v0, 0xffffff82
	v_cndmask_b32_e32 v30, v3, v0, vcc
	v_mov_b32_e32 v0, 0x78
	v_cndmask_b32_e32 v6, v6, v0, vcc
	v_add_u32_e32 v2, 20, v6
	v_or_b32_e32 v7, 0x800000, v26
	v_lshlrev_b64 v[2:3], v2, -1
	v_cndmask_b32_e32 v26, v7, v26, vcc
	v_not_b32_e32 v2, v2
	v_and_b32_e32 v28, v26, v2
	v_add_u32_e32 v2, 19, v6
	v_lshrrev_b64 v[50:51], v6, v[26:27]
	v_not_b32_e32 v3, v3
	v_lshlrev_b64 v[36:37], v2, 1
	v_lshrrev_b32_e32 v2, 23, v50
	v_and_b32_e32 v29, 0, v3
	v_add3_u32 v26, v6, v30, v2
	v_bfe_u32 v2, v50, 20, 1
	v_add_u32_e32 v2, -1, v2
	v_cmp_eq_u64_e32 vcc, v[28:29], v[36:37]
	v_cndmask_b32_e32 v2, 0, v2, vcc
	v_add_u32_e32 v2, v2, v50
	v_and_b32_e32 v2, 0xfffff, v2
	v_add_co_u32_e32 v52, vcc, v2, v50
	v_add_u32_e32 v3, 6, v26
	v_addc_co_u32_e32 v53, vcc, 0, v51, vcc
	v_cmp_ne_u32_e32 vcc, 0, v3
                                        ; implicit-def: $vgpr2
	s_and_saveexec_b64 s[28:29], vcc
	s_xor_b64 s[28:29], exec, s[28:29]
; %bb.3990:                             ;   in Loop: Header=BB6_3902 Depth=3
	v_add_u32_e32 v2, 7, v26
	v_cmp_lt_u64_e32 vcc, s[56:57], v[52:53]
	v_cndmask_b32_e32 v2, v3, v2, vcc
	v_cndmask_b32_e64 v3, 0, 1, vcc
	v_lshrrev_b64 v[52:53], v3, v[52:53]
; %bb.3991:                             ;   in Loop: Header=BB6_3902 Depth=3
	s_andn2_saveexec_b64 s[28:29], s[28:29]
; %bb.3992:                             ;   in Loop: Header=BB6_3902 Depth=3
	v_bfe_u32 v2, v52, 23, 1
; %bb.3993:                             ;   in Loop: Header=BB6_3902 Depth=3
	s_or_b64 exec, exec, s[28:29]
	v_lshrrev_b64 v[28:29], 20, v[52:53]
	v_cmp_gt_i32_e32 vcc, 16, v2
	v_cndmask_b32_e32 v29, 0, v29, vcc
	v_cndmask_b32_e32 v28, 7, v28, vcc
	v_cmp_eq_u32_e32 vcc, 0, v2
	v_min_i32_e32 v2, 15, v2
	v_cmp_eq_u64_e64 s[28:29], 0, v[28:29]
	v_lshlrev_b32_e32 v2, 3, v2
	v_and_or_b32 v2, v28, 7, v2
	s_and_b64 s[28:29], vcc, s[28:29]
	v_cndmask_b32_e64 v2, v2, 0, s[28:29]
	v_or_b32_e32 v30, v2, v1
.LBB6_3994:                             ;   in Loop: Header=BB6_3902 Depth=3
	s_or_b64 exec, exec, s[68:69]
.LBB6_3995:                             ;   in Loop: Header=BB6_3902 Depth=3
	s_or_b64 exec, exec, s[66:67]
                                        ; implicit-def: $vgpr2
.LBB6_3996:                             ;   in Loop: Header=BB6_3902 Depth=3
	s_andn2_saveexec_b64 s[28:29], s[64:65]
; %bb.3997:                             ;   in Loop: Header=BB6_3902 Depth=3
	v_or_b32_sdwa v1, v2, s92 dst_sel:DWORD dst_unused:UNUSED_PAD src0_sel:BYTE_3 src1_sel:DWORD
	v_cmp_eq_u64_e32 vcc, 0, v[26:27]
	v_cndmask_b32_e32 v30, v1, v30, vcc
; %bb.3998:                             ;   in Loop: Header=BB6_3902 Depth=3
	s_or_b64 exec, exec, s[28:29]
	v_mov_b32_e32 v26, v21
	v_cmp_ne_u16_sdwa vcc, v21, v27 src0_sel:BYTE_0 src1_sel:DWORD
	v_mov_b32_e32 v2, 0
	v_mov_b32_e32 v1, 0
	s_and_saveexec_b64 s[28:29], vcc
	s_cbranch_execz .LBB6_4004
; %bb.3999:                             ;   in Loop: Header=BB6_3902 Depth=3
	v_cmp_ne_u16_sdwa vcc, v21, s91 src0_sel:BYTE_0 src1_sel:DWORD
	v_bfrev_b32_e32 v1, 1
	s_and_saveexec_b64 s[64:65], vcc
	s_cbranch_execz .LBB6_4003
; %bb.4000:                             ;   in Loop: Header=BB6_3902 Depth=3
	v_and_b32_e32 v3, 0x7f, v21
	v_cmp_ne_u32_e32 vcc, s92, v3
	v_mov_b32_e32 v1, 0x7f800001
	s_and_saveexec_b64 s[66:67], vcc
	s_cbranch_execz .LBB6_4002
; %bb.4001:                             ;   in Loop: Header=BB6_3902 Depth=3
	v_and_b32_e32 v1, 7, v21
	v_ffbh_u32_e32 v1, v1
	v_min_u32_e32 v1, 32, v1
	v_subrev_u32_e32 v7, 28, v1
	v_cmp_gt_u32_e32 vcc, 8, v3
	v_lshrrev_b32_e32 v6, 3, v3
	v_cndmask_b32_e32 v3, 0, v7, vcc
	v_sub_u32_e32 v1, 29, v1
	v_lshlrev_b64 v[28:29], v3, v[26:27]
	v_cndmask_b32_e32 v1, v6, v1, vcc
	v_lshlrev_b32_e32 v3, 20, v28
	v_lshlrev_b32_e32 v6, 24, v26
	v_and_b32_e32 v3, 0x700000, v3
	v_and_b32_e32 v6, 0x80000000, v6
	v_lshl_add_u32 v1, v1, 23, v31
	v_or3_b32 v1, v6, v1, v3
.LBB6_4002:                             ;   in Loop: Header=BB6_3902 Depth=3
	s_or_b64 exec, exec, s[66:67]
.LBB6_4003:                             ;   in Loop: Header=BB6_3902 Depth=3
	s_or_b64 exec, exec, s[64:65]
.LBB6_4004:                             ;   in Loop: Header=BB6_3902 Depth=3
	s_or_b64 exec, exec, s[28:29]
	v_cmp_ne_u16_sdwa vcc, v17, v27 src0_sel:BYTE_0 src1_sel:DWORD
	s_and_saveexec_b64 s[28:29], vcc
	s_cbranch_execz .LBB6_4010
; %bb.4005:                             ;   in Loop: Header=BB6_3902 Depth=3
	v_cmp_ne_u16_sdwa vcc, v17, s91 src0_sel:BYTE_0 src1_sel:DWORD
	v_bfrev_b32_e32 v2, 1
	s_and_saveexec_b64 s[64:65], vcc
	s_cbranch_execz .LBB6_4009
; %bb.4006:                             ;   in Loop: Header=BB6_3902 Depth=3
	v_and_b32_e32 v3, 0x7f, v17
	v_cmp_ne_u32_e32 vcc, s92, v3
	v_mov_b32_e32 v2, 0x7f800001
	s_and_saveexec_b64 s[66:67], vcc
	s_cbranch_execz .LBB6_4008
; %bb.4007:                             ;   in Loop: Header=BB6_3902 Depth=3
	v_and_b32_e32 v2, 7, v17
	v_ffbh_u32_e32 v2, v2
	v_min_u32_e32 v2, 32, v2
	v_lshrrev_b32_e32 v6, 3, v3
	v_subrev_u32_e32 v7, 28, v2
	v_sub_u32_e32 v2, 29, v2
	v_cmp_gt_u32_e32 vcc, 8, v3
	v_mov_b32_e32 v28, v17
	v_mov_b32_e32 v29, v27
	v_cndmask_b32_e32 v6, v6, v2, vcc
	v_cndmask_b32_e32 v2, 0, v7, vcc
	v_lshlrev_b64 v[2:3], v2, v[28:29]
	v_lshlrev_b32_e32 v2, 20, v2
	v_lshlrev_b32_e32 v3, 24, v28
	v_and_b32_e32 v2, 0x700000, v2
	v_and_b32_e32 v3, 0x80000000, v3
	v_lshl_add_u32 v6, v6, 23, v31
	v_or3_b32 v2, v3, v6, v2
.LBB6_4008:                             ;   in Loop: Header=BB6_3902 Depth=3
	s_or_b64 exec, exec, s[66:67]
.LBB6_4009:                             ;   in Loop: Header=BB6_3902 Depth=3
	s_or_b64 exec, exec, s[64:65]
.LBB6_4010:                             ;   in Loop: Header=BB6_3902 Depth=3
	s_or_b64 exec, exec, s[28:29]
	v_add_f32_e32 v2, v1, v2
	v_and_b32_sdwa v1, v2, s91 dst_sel:DWORD dst_unused:UNUSED_PAD src0_sel:BYTE_3 src1_sel:DWORD
	v_and_b32_e32 v28, 0x7f800000, v2
	v_mov_b32_e32 v29, v27
	v_and_b32_e32 v52, 0x7fffff, v2
	v_mov_b32_e32 v53, v27
	v_or_b32_e32 v47, 0x7e, v1
	v_cmp_ne_u64_e32 vcc, s[52:53], v[28:29]
	s_and_saveexec_b64 s[28:29], vcc
	s_xor_b64 s[64:65], exec, s[28:29]
	s_cbranch_execz .LBB6_4020
; %bb.4011:                             ;   in Loop: Header=BB6_3902 Depth=3
	v_and_b32_e32 v28, 0x7fffffff, v2
	v_mov_b32_e32 v29, v27
	v_cmp_gt_u64_e32 vcc, s[54:55], v[28:29]
	s_and_saveexec_b64 s[66:67], vcc
	s_cbranch_execz .LBB6_4019
; %bb.4012:                             ;   in Loop: Header=BB6_3902 Depth=3
	v_cmp_ne_u32_e32 vcc, 0, v2
	v_mov_b32_e32 v47, 0
	s_and_saveexec_b64 s[68:69], vcc
	s_cbranch_execz .LBB6_4018
; %bb.4013:                             ;   in Loop: Header=BB6_3902 Depth=3
	v_bfe_u32 v2, v2, 23, 8
	v_sub_u32_e32 v6, 0x79, v2
	v_cmp_gt_u32_e32 vcc, s93, v2
	v_add_u32_e32 v3, 0xffffff81, v2
	v_cndmask_b32_e32 v6, 0, v6, vcc
	v_cmp_eq_u32_e32 vcc, 0, v2
	v_mov_b32_e32 v0, 0xffffff82
	v_cndmask_b32_e32 v28, v3, v0, vcc
	v_mov_b32_e32 v0, 0x78
	v_cndmask_b32_e32 v6, v6, v0, vcc
	v_add_u32_e32 v2, 20, v6
	v_or_b32_e32 v7, 0x800000, v52
	v_lshlrev_b64 v[2:3], v2, -1
	v_cndmask_b32_e32 v52, v7, v52, vcc
	v_not_b32_e32 v2, v2
	v_and_b32_e32 v36, v52, v2
	v_add_u32_e32 v2, 19, v6
	v_lshrrev_b64 v[52:53], v6, v[52:53]
	v_not_b32_e32 v3, v3
	v_lshlrev_b64 v[50:51], v2, 1
	v_lshrrev_b32_e32 v2, 23, v52
	v_and_b32_e32 v37, 0, v3
	v_add3_u32 v28, v6, v28, v2
	v_bfe_u32 v2, v52, 20, 1
	v_add_u32_e32 v2, -1, v2
	v_cmp_eq_u64_e32 vcc, v[36:37], v[50:51]
	v_cndmask_b32_e32 v2, 0, v2, vcc
	v_add_u32_e32 v2, v2, v52
	v_and_b32_e32 v2, 0xfffff, v2
	v_add_co_u32_e32 v52, vcc, v2, v52
	v_add_u32_e32 v3, 6, v28
	v_addc_co_u32_e32 v53, vcc, 0, v53, vcc
	v_cmp_ne_u32_e32 vcc, 0, v3
                                        ; implicit-def: $vgpr2
	s_and_saveexec_b64 s[28:29], vcc
	s_xor_b64 s[28:29], exec, s[28:29]
; %bb.4014:                             ;   in Loop: Header=BB6_3902 Depth=3
	v_add_u32_e32 v2, 7, v28
	v_cmp_lt_u64_e32 vcc, s[56:57], v[52:53]
	v_cndmask_b32_e32 v2, v3, v2, vcc
	v_cndmask_b32_e64 v3, 0, 1, vcc
	v_lshrrev_b64 v[52:53], v3, v[52:53]
; %bb.4015:                             ;   in Loop: Header=BB6_3902 Depth=3
	s_andn2_saveexec_b64 s[28:29], s[28:29]
; %bb.4016:                             ;   in Loop: Header=BB6_3902 Depth=3
	v_bfe_u32 v2, v52, 23, 1
; %bb.4017:                             ;   in Loop: Header=BB6_3902 Depth=3
	s_or_b64 exec, exec, s[28:29]
	v_lshrrev_b64 v[28:29], 20, v[52:53]
	v_cmp_gt_i32_e32 vcc, 16, v2
	v_cndmask_b32_e32 v29, 0, v29, vcc
	v_cndmask_b32_e32 v28, 7, v28, vcc
	v_cmp_eq_u32_e32 vcc, 0, v2
	v_min_i32_e32 v2, 15, v2
	v_cmp_eq_u64_e64 s[28:29], 0, v[28:29]
	v_lshlrev_b32_e32 v2, 3, v2
	v_and_or_b32 v2, v28, 7, v2
	s_and_b64 s[28:29], vcc, s[28:29]
	v_cndmask_b32_e64 v2, v2, 0, s[28:29]
	v_or_b32_e32 v47, v2, v1
.LBB6_4018:                             ;   in Loop: Header=BB6_3902 Depth=3
	s_or_b64 exec, exec, s[68:69]
.LBB6_4019:                             ;   in Loop: Header=BB6_3902 Depth=3
	s_or_b64 exec, exec, s[66:67]
                                        ; implicit-def: $vgpr2
                                        ; implicit-def: $vgpr52_vgpr53
.LBB6_4020:                             ;   in Loop: Header=BB6_3902 Depth=3
	s_andn2_saveexec_b64 s[28:29], s[64:65]
; %bb.4021:                             ;   in Loop: Header=BB6_3902 Depth=3
	v_or_b32_sdwa v1, v2, s92 dst_sel:DWORD dst_unused:UNUSED_PAD src0_sel:BYTE_3 src1_sel:DWORD
	v_cmp_eq_u64_e32 vcc, 0, v[52:53]
	v_cndmask_b32_e32 v47, v1, v47, vcc
; %bb.4022:                             ;   in Loop: Header=BB6_3902 Depth=3
	s_or_b64 exec, exec, s[28:29]
	v_lshrrev_b16_e32 v52, 8, v26
	v_cmp_ne_u16_e32 vcc, 0, v52
	v_mov_b32_e32 v1, 0
	v_mov_b32_e32 v2, 0
	s_and_saveexec_b64 s[28:29], vcc
	s_cbranch_execz .LBB6_4028
; %bb.4023:                             ;   in Loop: Header=BB6_3902 Depth=3
	v_cmp_ne_u16_e32 vcc, s91, v52
	v_bfrev_b32_e32 v2, 1
	s_and_saveexec_b64 s[64:65], vcc
	s_cbranch_execz .LBB6_4027
; %bb.4024:                             ;   in Loop: Header=BB6_3902 Depth=3
	v_and_b32_e32 v3, 0x7f, v52
	v_cmp_ne_u32_e32 vcc, s92, v3
	v_mov_b32_e32 v2, 0x7f800001
	s_and_saveexec_b64 s[66:67], vcc
	s_cbranch_execz .LBB6_4026
; %bb.4025:                             ;   in Loop: Header=BB6_3902 Depth=3
	v_and_b32_e32 v2, 7, v52
	v_ffbh_u32_e32 v7, v2
	v_min_u32_e32 v7, 32, v7
	v_subrev_u32_e32 v28, 28, v7
	v_lshlrev_b64 v[28:29], v28, v[52:53]
	v_lshrrev_b32_e32 v6, 3, v3
	v_sub_u32_e32 v7, 29, v7
	v_and_b32_e32 v28, 7, v28
	v_cmp_gt_u32_e32 vcc, 8, v3
	v_cndmask_b32_e32 v3, v6, v7, vcc
	v_cndmask_b32_e32 v2, v2, v28, vcc
	v_lshlrev_b32_e32 v6, 16, v26
	v_lshlrev_b32_e32 v2, 20, v2
	v_and_b32_e32 v6, 0x80000000, v6
	v_lshl_add_u32 v3, v3, 23, v31
	v_or3_b32 v2, v6, v3, v2
.LBB6_4026:                             ;   in Loop: Header=BB6_3902 Depth=3
	s_or_b64 exec, exec, s[66:67]
.LBB6_4027:                             ;   in Loop: Header=BB6_3902 Depth=3
	s_or_b64 exec, exec, s[64:65]
.LBB6_4028:                             ;   in Loop: Header=BB6_3902 Depth=3
	s_or_b64 exec, exec, s[28:29]
	v_mov_b32_e32 v26, v17
	v_lshrrev_b16_e32 v52, 8, v26
	v_cmp_ne_u16_e32 vcc, 0, v52
	s_and_saveexec_b64 s[28:29], vcc
	s_cbranch_execz .LBB6_4034
; %bb.4029:                             ;   in Loop: Header=BB6_3902 Depth=3
	v_cmp_ne_u16_e32 vcc, s91, v52
	v_bfrev_b32_e32 v1, 1
	s_and_saveexec_b64 s[64:65], vcc
	s_cbranch_execz .LBB6_4033
; %bb.4030:                             ;   in Loop: Header=BB6_3902 Depth=3
	v_and_b32_e32 v3, 0x7f, v52
	v_cmp_ne_u32_e32 vcc, s92, v3
	v_mov_b32_e32 v1, 0x7f800001
	s_and_saveexec_b64 s[66:67], vcc
	s_cbranch_execz .LBB6_4032
; %bb.4031:                             ;   in Loop: Header=BB6_3902 Depth=3
	v_and_b32_e32 v1, 7, v52
	v_ffbh_u32_e32 v7, v1
	v_min_u32_e32 v7, 32, v7
	v_subrev_u32_e32 v28, 28, v7
	v_lshlrev_b64 v[28:29], v28, v[52:53]
	v_lshrrev_b32_e32 v6, 3, v3
	v_sub_u32_e32 v7, 29, v7
	v_and_b32_e32 v28, 7, v28
	v_cmp_gt_u32_e32 vcc, 8, v3
	v_cndmask_b32_e32 v3, v6, v7, vcc
	v_cndmask_b32_e32 v1, v1, v28, vcc
	v_lshlrev_b32_e32 v6, 16, v26
	v_lshlrev_b32_e32 v1, 20, v1
	v_and_b32_e32 v6, 0x80000000, v6
	v_lshl_add_u32 v3, v3, 23, v31
	v_or3_b32 v1, v6, v3, v1
.LBB6_4032:                             ;   in Loop: Header=BB6_3902 Depth=3
	s_or_b64 exec, exec, s[66:67]
.LBB6_4033:                             ;   in Loop: Header=BB6_3902 Depth=3
	s_or_b64 exec, exec, s[64:65]
.LBB6_4034:                             ;   in Loop: Header=BB6_3902 Depth=3
	s_or_b64 exec, exec, s[28:29]
	v_add_f32_e32 v2, v2, v1
	v_and_b32_sdwa v1, v2, s91 dst_sel:DWORD dst_unused:UNUSED_PAD src0_sel:BYTE_3 src1_sel:DWORD
	v_and_b32_e32 v36, 0x7f800000, v2
	v_mov_b32_e32 v37, v27
	v_and_b32_e32 v26, 0x7fffff, v2
	v_or_b32_e32 v28, 0x7e, v1
	v_cmp_ne_u64_e32 vcc, s[52:53], v[36:37]
	s_and_saveexec_b64 s[28:29], vcc
	s_xor_b64 s[64:65], exec, s[28:29]
	s_cbranch_execz .LBB6_4044
; %bb.4035:                             ;   in Loop: Header=BB6_3902 Depth=3
	v_and_b32_e32 v36, 0x7fffffff, v2
	v_mov_b32_e32 v37, v27
	v_cmp_gt_u64_e32 vcc, s[54:55], v[36:37]
	s_and_saveexec_b64 s[66:67], vcc
	s_cbranch_execz .LBB6_4043
; %bb.4036:                             ;   in Loop: Header=BB6_3902 Depth=3
	v_cmp_ne_u32_e32 vcc, 0, v2
	v_mov_b32_e32 v28, 0
	s_and_saveexec_b64 s[68:69], vcc
	s_cbranch_execz .LBB6_4042
; %bb.4037:                             ;   in Loop: Header=BB6_3902 Depth=3
	v_bfe_u32 v2, v2, 23, 8
	v_sub_u32_e32 v6, 0x79, v2
	v_cmp_gt_u32_e32 vcc, s93, v2
	v_add_u32_e32 v3, 0xffffff81, v2
	v_cndmask_b32_e32 v6, 0, v6, vcc
	v_cmp_eq_u32_e32 vcc, 0, v2
	v_mov_b32_e32 v0, 0xffffff82
	v_cndmask_b32_e32 v32, v3, v0, vcc
	v_mov_b32_e32 v0, 0x78
	v_cndmask_b32_e32 v6, v6, v0, vcc
	v_add_u32_e32 v2, 20, v6
	v_or_b32_e32 v7, 0x800000, v26
	v_lshlrev_b64 v[2:3], v2, -1
	v_cndmask_b32_e32 v26, v7, v26, vcc
	v_not_b32_e32 v2, v2
	v_and_b32_e32 v28, v26, v2
	v_add_u32_e32 v2, 19, v6
	v_lshrrev_b64 v[50:51], v6, v[26:27]
	v_not_b32_e32 v3, v3
	v_lshlrev_b64 v[36:37], v2, 1
	v_lshrrev_b32_e32 v2, 23, v50
	v_and_b32_e32 v29, 0, v3
	v_add3_u32 v26, v6, v32, v2
	v_bfe_u32 v2, v50, 20, 1
	v_add_u32_e32 v2, -1, v2
	v_cmp_eq_u64_e32 vcc, v[28:29], v[36:37]
	v_cndmask_b32_e32 v2, 0, v2, vcc
	v_add_u32_e32 v2, v2, v50
	v_and_b32_e32 v2, 0xfffff, v2
	v_add_co_u32_e32 v52, vcc, v2, v50
	v_add_u32_e32 v3, 6, v26
	v_addc_co_u32_e32 v53, vcc, 0, v51, vcc
	v_cmp_ne_u32_e32 vcc, 0, v3
                                        ; implicit-def: $vgpr2
	s_and_saveexec_b64 s[28:29], vcc
	s_xor_b64 s[28:29], exec, s[28:29]
; %bb.4038:                             ;   in Loop: Header=BB6_3902 Depth=3
	v_add_u32_e32 v2, 7, v26
	v_cmp_lt_u64_e32 vcc, s[56:57], v[52:53]
	v_cndmask_b32_e32 v2, v3, v2, vcc
	v_cndmask_b32_e64 v3, 0, 1, vcc
	v_lshrrev_b64 v[52:53], v3, v[52:53]
; %bb.4039:                             ;   in Loop: Header=BB6_3902 Depth=3
	s_andn2_saveexec_b64 s[28:29], s[28:29]
; %bb.4040:                             ;   in Loop: Header=BB6_3902 Depth=3
	v_bfe_u32 v2, v52, 23, 1
; %bb.4041:                             ;   in Loop: Header=BB6_3902 Depth=3
	s_or_b64 exec, exec, s[28:29]
	v_lshrrev_b64 v[28:29], 20, v[52:53]
	v_cmp_gt_i32_e32 vcc, 16, v2
	v_cndmask_b32_e32 v29, 0, v29, vcc
	v_cndmask_b32_e32 v28, 7, v28, vcc
	v_cmp_eq_u32_e32 vcc, 0, v2
	v_min_i32_e32 v2, 15, v2
	v_cmp_eq_u64_e64 s[28:29], 0, v[28:29]
	v_lshlrev_b32_e32 v2, 3, v2
	v_and_or_b32 v2, v28, 7, v2
	s_and_b64 s[28:29], vcc, s[28:29]
	v_cndmask_b32_e64 v2, v2, 0, s[28:29]
	v_or_b32_e32 v28, v2, v1
.LBB6_4042:                             ;   in Loop: Header=BB6_3902 Depth=3
	s_or_b64 exec, exec, s[68:69]
.LBB6_4043:                             ;   in Loop: Header=BB6_3902 Depth=3
	s_or_b64 exec, exec, s[66:67]
                                        ; implicit-def: $vgpr2
.LBB6_4044:                             ;   in Loop: Header=BB6_3902 Depth=3
	s_andn2_saveexec_b64 s[28:29], s[64:65]
; %bb.4045:                             ;   in Loop: Header=BB6_3902 Depth=3
	v_or_b32_sdwa v1, v2, s92 dst_sel:DWORD dst_unused:UNUSED_PAD src0_sel:BYTE_3 src1_sel:DWORD
	v_cmp_eq_u64_e32 vcc, 0, v[26:27]
	v_cndmask_b32_e32 v28, v1, v28, vcc
; %bb.4046:                             ;   in Loop: Header=BB6_3902 Depth=3
	s_or_b64 exec, exec, s[28:29]
	v_lshrrev_b32_e32 v26, 16, v21
	v_cmp_ne_u16_sdwa vcc, v26, v27 src0_sel:BYTE_0 src1_sel:DWORD
	v_mov_b32_e32 v1, 0
	v_mov_b32_e32 v2, 0
	s_and_saveexec_b64 s[28:29], vcc
	s_cbranch_execz .LBB6_4052
; %bb.4047:                             ;   in Loop: Header=BB6_3902 Depth=3
	v_cmp_ne_u16_sdwa vcc, v26, s91 src0_sel:BYTE_0 src1_sel:DWORD
	v_bfrev_b32_e32 v2, 1
	s_and_saveexec_b64 s[64:65], vcc
	s_cbranch_execz .LBB6_4051
; %bb.4048:                             ;   in Loop: Header=BB6_3902 Depth=3
	v_bfe_u32 v3, v21, 16, 7
	v_cmp_ne_u32_e32 vcc, s92, v3
	v_mov_b32_e32 v2, 0x7f800001
	s_and_saveexec_b64 s[66:67], vcc
	s_cbranch_execz .LBB6_4050
; %bb.4049:                             ;   in Loop: Header=BB6_3902 Depth=3
	v_and_b32_e32 v2, 7, v26
	v_ffbh_u32_e32 v7, v2
	v_min_u32_e32 v7, 32, v7
	v_subrev_u32_e32 v29, 28, v7
	v_lshlrev_b64 v[36:37], v29, v[26:27]
	v_lshrrev_b32_e32 v6, 3, v3
	v_sub_u32_e32 v7, 29, v7
	v_and_b32_e32 v29, 7, v36
	v_cmp_gt_u32_e32 vcc, 8, v3
	v_cndmask_b32_e32 v3, v6, v7, vcc
	v_cndmask_b32_e32 v2, v2, v29, vcc
	v_lshlrev_b32_e32 v6, 24, v26
	v_lshlrev_b32_e32 v2, 20, v2
	v_and_b32_e32 v6, 0x80000000, v6
	v_lshl_add_u32 v3, v3, 23, v31
	v_or3_b32 v2, v6, v3, v2
.LBB6_4050:                             ;   in Loop: Header=BB6_3902 Depth=3
	s_or_b64 exec, exec, s[66:67]
.LBB6_4051:                             ;   in Loop: Header=BB6_3902 Depth=3
	s_or_b64 exec, exec, s[64:65]
.LBB6_4052:                             ;   in Loop: Header=BB6_3902 Depth=3
	s_or_b64 exec, exec, s[28:29]
	v_lshrrev_b32_e32 v26, 16, v17
	v_cmp_ne_u16_sdwa vcc, v26, v27 src0_sel:BYTE_0 src1_sel:DWORD
	s_and_saveexec_b64 s[28:29], vcc
	s_cbranch_execz .LBB6_4058
; %bb.4053:                             ;   in Loop: Header=BB6_3902 Depth=3
	v_cmp_ne_u16_sdwa vcc, v26, s91 src0_sel:BYTE_0 src1_sel:DWORD
	v_bfrev_b32_e32 v1, 1
	s_and_saveexec_b64 s[64:65], vcc
	s_cbranch_execz .LBB6_4057
; %bb.4054:                             ;   in Loop: Header=BB6_3902 Depth=3
	v_bfe_u32 v3, v17, 16, 7
	v_cmp_ne_u32_e32 vcc, s92, v3
	v_mov_b32_e32 v1, 0x7f800001
	s_and_saveexec_b64 s[66:67], vcc
	s_cbranch_execz .LBB6_4056
; %bb.4055:                             ;   in Loop: Header=BB6_3902 Depth=3
	v_and_b32_e32 v1, 7, v26
	v_ffbh_u32_e32 v7, v1
	v_min_u32_e32 v7, 32, v7
	v_subrev_u32_e32 v29, 28, v7
	v_lshlrev_b64 v[36:37], v29, v[26:27]
	v_lshrrev_b32_e32 v6, 3, v3
	v_sub_u32_e32 v7, 29, v7
	v_and_b32_e32 v26, 7, v36
	v_cmp_gt_u32_e32 vcc, 8, v3
	v_cndmask_b32_e32 v3, v6, v7, vcc
	v_cndmask_b32_e32 v1, v1, v26, vcc
	v_lshlrev_b32_e32 v6, 8, v17
	v_lshlrev_b32_e32 v1, 20, v1
	v_and_b32_e32 v6, 0x80000000, v6
	v_lshl_add_u32 v3, v3, 23, v31
	v_or3_b32 v1, v6, v3, v1
.LBB6_4056:                             ;   in Loop: Header=BB6_3902 Depth=3
	s_or_b64 exec, exec, s[66:67]
.LBB6_4057:                             ;   in Loop: Header=BB6_3902 Depth=3
	s_or_b64 exec, exec, s[64:65]
.LBB6_4058:                             ;   in Loop: Header=BB6_3902 Depth=3
	s_or_b64 exec, exec, s[28:29]
	v_add_f32_e32 v2, v2, v1
	v_and_b32_sdwa v1, v2, s91 dst_sel:DWORD dst_unused:UNUSED_PAD src0_sel:BYTE_3 src1_sel:DWORD
	v_and_b32_e32 v50, 0x7f800000, v2
	v_mov_b32_e32 v51, v27
	v_and_b32_e32 v26, 0x7fffff, v2
	v_or_b32_e32 v36, 0x7e, v1
	v_cmp_ne_u64_e32 vcc, s[52:53], v[50:51]
	s_and_saveexec_b64 s[28:29], vcc
	s_xor_b64 s[64:65], exec, s[28:29]
	s_cbranch_execz .LBB6_4068
; %bb.4059:                             ;   in Loop: Header=BB6_3902 Depth=3
	v_and_b32_e32 v50, 0x7fffffff, v2
	v_mov_b32_e32 v51, v27
	v_cmp_gt_u64_e32 vcc, s[54:55], v[50:51]
	s_and_saveexec_b64 s[66:67], vcc
	s_cbranch_execz .LBB6_4067
; %bb.4060:                             ;   in Loop: Header=BB6_3902 Depth=3
	v_cmp_ne_u32_e32 vcc, 0, v2
	v_mov_b32_e32 v36, 0
	s_and_saveexec_b64 s[68:69], vcc
	s_cbranch_execz .LBB6_4066
; %bb.4061:                             ;   in Loop: Header=BB6_3902 Depth=3
	v_bfe_u32 v2, v2, 23, 8
	v_sub_u32_e32 v6, 0x79, v2
	v_cmp_gt_u32_e32 vcc, s93, v2
	v_add_u32_e32 v3, 0xffffff81, v2
	v_cndmask_b32_e32 v6, 0, v6, vcc
	v_cmp_eq_u32_e32 vcc, 0, v2
	v_mov_b32_e32 v0, 0xffffff82
	v_cndmask_b32_e32 v29, v3, v0, vcc
	v_mov_b32_e32 v0, 0x78
	v_cndmask_b32_e32 v6, v6, v0, vcc
	v_add_u32_e32 v2, 20, v6
	v_or_b32_e32 v7, 0x800000, v26
	v_lshlrev_b64 v[2:3], v2, -1
	v_cndmask_b32_e32 v26, v7, v26, vcc
	v_not_b32_e32 v2, v2
	v_and_b32_e32 v36, v26, v2
	v_add_u32_e32 v2, 19, v6
	v_lshrrev_b64 v[52:53], v6, v[26:27]
	v_not_b32_e32 v3, v3
	v_lshlrev_b64 v[50:51], v2, 1
	v_lshrrev_b32_e32 v2, 23, v52
	v_and_b32_e32 v37, 0, v3
	v_add3_u32 v26, v6, v29, v2
	v_bfe_u32 v2, v52, 20, 1
	v_add_u32_e32 v2, -1, v2
	v_cmp_eq_u64_e32 vcc, v[36:37], v[50:51]
	v_cndmask_b32_e32 v2, 0, v2, vcc
	v_add_u32_e32 v2, v2, v52
	v_and_b32_e32 v2, 0xfffff, v2
	v_add_co_u32_e32 v52, vcc, v2, v52
	v_add_u32_e32 v3, 6, v26
	v_addc_co_u32_e32 v53, vcc, 0, v53, vcc
	v_cmp_ne_u32_e32 vcc, 0, v3
                                        ; implicit-def: $vgpr2
	s_and_saveexec_b64 s[28:29], vcc
	s_xor_b64 s[28:29], exec, s[28:29]
; %bb.4062:                             ;   in Loop: Header=BB6_3902 Depth=3
	v_add_u32_e32 v2, 7, v26
	v_cmp_lt_u64_e32 vcc, s[56:57], v[52:53]
	v_cndmask_b32_e32 v2, v3, v2, vcc
	v_cndmask_b32_e64 v3, 0, 1, vcc
	v_lshrrev_b64 v[52:53], v3, v[52:53]
; %bb.4063:                             ;   in Loop: Header=BB6_3902 Depth=3
	s_andn2_saveexec_b64 s[28:29], s[28:29]
; %bb.4064:                             ;   in Loop: Header=BB6_3902 Depth=3
	v_bfe_u32 v2, v52, 23, 1
; %bb.4065:                             ;   in Loop: Header=BB6_3902 Depth=3
	s_or_b64 exec, exec, s[28:29]
	v_lshrrev_b64 v[36:37], 20, v[52:53]
	v_cmp_gt_i32_e32 vcc, 16, v2
	v_cndmask_b32_e32 v37, 0, v37, vcc
	v_cndmask_b32_e32 v36, 7, v36, vcc
	v_cmp_eq_u32_e32 vcc, 0, v2
	v_min_i32_e32 v2, 15, v2
	v_lshlrev_b32_e32 v2, 3, v2
	v_cmp_eq_u64_e64 s[28:29], 0, v[36:37]
	v_and_b32_e32 v2, 0xf8, v2
	v_and_or_b32 v2, v36, 7, v2
	s_and_b64 s[28:29], vcc, s[28:29]
	v_cndmask_b32_e64 v2, v2, 0, s[28:29]
	v_or_b32_e32 v36, v2, v1
.LBB6_4066:                             ;   in Loop: Header=BB6_3902 Depth=3
	s_or_b64 exec, exec, s[68:69]
.LBB6_4067:                             ;   in Loop: Header=BB6_3902 Depth=3
	s_or_b64 exec, exec, s[66:67]
                                        ; implicit-def: $vgpr2
.LBB6_4068:                             ;   in Loop: Header=BB6_3902 Depth=3
	s_andn2_saveexec_b64 s[28:29], s[64:65]
; %bb.4069:                             ;   in Loop: Header=BB6_3902 Depth=3
	v_or_b32_sdwa v1, v2, s92 dst_sel:DWORD dst_unused:UNUSED_PAD src0_sel:BYTE_3 src1_sel:DWORD
	v_cmp_eq_u64_e32 vcc, 0, v[26:27]
	v_cndmask_b32_e32 v36, v1, v36, vcc
; %bb.4070:                             ;   in Loop: Header=BB6_3902 Depth=3
	s_or_b64 exec, exec, s[28:29]
	v_cmp_lt_u64_e32 vcc, s[42:43], v[20:21]
	v_mov_b32_e32 v1, 0
	v_mov_b32_e32 v2, 0
	s_and_saveexec_b64 s[28:29], vcc
	s_cbranch_execz .LBB6_4076
; %bb.4071:                             ;   in Loop: Header=BB6_3902 Depth=3
	v_lshrrev_b32_e32 v20, 24, v21
	v_cmp_ne_u32_e32 vcc, s91, v20
	v_bfrev_b32_e32 v2, 1
	s_and_saveexec_b64 s[64:65], vcc
	s_cbranch_execz .LBB6_4075
; %bb.4072:                             ;   in Loop: Header=BB6_3902 Depth=3
	v_bfe_u32 v3, v21, 24, 7
	v_cmp_ne_u32_e32 vcc, s92, v3
	v_mov_b32_e32 v2, 0x7f800001
	s_and_saveexec_b64 s[66:67], vcc
	s_cbranch_execz .LBB6_4074
; %bb.4073:                             ;   in Loop: Header=BB6_3902 Depth=3
	v_and_b32_e32 v2, 7, v20
	v_ffbh_u32_e32 v7, v2
	v_min_u32_e32 v7, 32, v7
	v_subrev_u32_e32 v21, 28, v7
	v_lshlrev_b64 v[50:51], v21, v[20:21]
	v_lshrrev_b32_e32 v6, 3, v3
	v_sub_u32_e32 v7, 29, v7
	v_and_b32_e32 v21, 7, v50
	v_cmp_gt_u32_e32 vcc, 8, v3
	v_cndmask_b32_e32 v3, v6, v7, vcc
	v_cndmask_b32_e32 v2, v2, v21, vcc
	v_lshlrev_b32_e32 v6, 24, v20
	v_lshlrev_b32_e32 v2, 20, v2
	v_and_b32_e32 v6, 0x80000000, v6
	v_lshl_add_u32 v3, v3, 23, v31
	v_or3_b32 v2, v6, v3, v2
.LBB6_4074:                             ;   in Loop: Header=BB6_3902 Depth=3
	s_or_b64 exec, exec, s[66:67]
.LBB6_4075:                             ;   in Loop: Header=BB6_3902 Depth=3
	s_or_b64 exec, exec, s[64:65]
.LBB6_4076:                             ;   in Loop: Header=BB6_3902 Depth=3
	s_or_b64 exec, exec, s[28:29]
	v_cmp_lt_u64_e32 vcc, s[42:43], v[16:17]
	s_and_saveexec_b64 s[28:29], vcc
	s_cbranch_execz .LBB6_4082
; %bb.4077:                             ;   in Loop: Header=BB6_3902 Depth=3
	v_lshrrev_b32_e32 v16, 24, v17
	v_cmp_ne_u32_e32 vcc, s91, v16
	v_bfrev_b32_e32 v1, 1
	s_and_saveexec_b64 s[64:65], vcc
	s_cbranch_execz .LBB6_4081
; %bb.4078:                             ;   in Loop: Header=BB6_3902 Depth=3
	v_bfe_u32 v3, v17, 24, 7
	v_cmp_ne_u32_e32 vcc, s92, v3
	v_mov_b32_e32 v1, 0x7f800001
	s_and_saveexec_b64 s[66:67], vcc
	s_cbranch_execz .LBB6_4080
; %bb.4079:                             ;   in Loop: Header=BB6_3902 Depth=3
	v_and_b32_e32 v1, 7, v16
	v_ffbh_u32_e32 v7, v1
	v_min_u32_e32 v7, 32, v7
	v_subrev_u32_e32 v17, 28, v7
	v_lshlrev_b64 v[20:21], v17, v[16:17]
	v_lshrrev_b32_e32 v6, 3, v3
	v_sub_u32_e32 v7, 29, v7
	v_and_b32_e32 v17, 7, v20
	v_cmp_gt_u32_e32 vcc, 8, v3
	v_cndmask_b32_e32 v3, v6, v7, vcc
	v_cndmask_b32_e32 v1, v1, v17, vcc
	v_lshlrev_b32_e32 v6, 24, v16
	v_lshlrev_b32_e32 v1, 20, v1
	v_and_b32_e32 v6, 0x80000000, v6
	v_lshl_add_u32 v3, v3, 23, v31
	v_or3_b32 v1, v6, v3, v1
.LBB6_4080:                             ;   in Loop: Header=BB6_3902 Depth=3
	s_or_b64 exec, exec, s[66:67]
.LBB6_4081:                             ;   in Loop: Header=BB6_3902 Depth=3
	s_or_b64 exec, exec, s[64:65]
.LBB6_4082:                             ;   in Loop: Header=BB6_3902 Depth=3
	s_or_b64 exec, exec, s[28:29]
	v_add_f32_e32 v2, v2, v1
	v_and_b32_sdwa v1, v2, s91 dst_sel:DWORD dst_unused:UNUSED_PAD src0_sel:BYTE_3 src1_sel:DWORD
	v_and_b32_e32 v16, 0x7f800000, v2
	v_mov_b32_e32 v17, v27
	v_and_b32_e32 v26, 0x7fffff, v2
	v_or_b32_e32 v21, 0x7e, v1
	v_cmp_ne_u64_e32 vcc, s[52:53], v[16:17]
	s_and_saveexec_b64 s[28:29], vcc
	s_xor_b64 s[64:65], exec, s[28:29]
	s_cbranch_execz .LBB6_4092
; %bb.4083:                             ;   in Loop: Header=BB6_3902 Depth=3
	v_and_b32_e32 v16, 0x7fffffff, v2
	v_mov_b32_e32 v17, v27
	v_cmp_gt_u64_e32 vcc, s[54:55], v[16:17]
	s_and_saveexec_b64 s[66:67], vcc
	s_cbranch_execz .LBB6_4091
; %bb.4084:                             ;   in Loop: Header=BB6_3902 Depth=3
	v_cmp_ne_u32_e32 vcc, 0, v2
	v_mov_b32_e32 v21, 0
	s_and_saveexec_b64 s[68:69], vcc
	s_cbranch_execz .LBB6_4090
; %bb.4085:                             ;   in Loop: Header=BB6_3902 Depth=3
	v_bfe_u32 v2, v2, 23, 8
	v_sub_u32_e32 v6, 0x79, v2
	v_cmp_gt_u32_e32 vcc, s93, v2
	v_add_u32_e32 v3, 0xffffff81, v2
	v_cndmask_b32_e32 v6, 0, v6, vcc
	v_cmp_eq_u32_e32 vcc, 0, v2
	v_mov_b32_e32 v0, 0xffffff82
	v_cndmask_b32_e32 v20, v3, v0, vcc
	v_mov_b32_e32 v0, 0x78
	v_cndmask_b32_e32 v6, v6, v0, vcc
	v_add_u32_e32 v2, 20, v6
	v_or_b32_e32 v7, 0x800000, v26
	v_lshlrev_b64 v[2:3], v2, -1
	v_cndmask_b32_e32 v26, v7, v26, vcc
	v_not_b32_e32 v2, v2
	v_and_b32_e32 v16, v26, v2
	v_add_u32_e32 v2, 19, v6
	v_lshrrev_b64 v[52:53], v6, v[26:27]
	v_not_b32_e32 v3, v3
	v_lshlrev_b64 v[50:51], v2, 1
	v_lshrrev_b32_e32 v2, 23, v52
	v_and_b32_e32 v17, 0, v3
	v_add3_u32 v20, v6, v20, v2
	v_bfe_u32 v2, v52, 20, 1
	v_add_u32_e32 v2, -1, v2
	v_cmp_eq_u64_e32 vcc, v[16:17], v[50:51]
	v_cndmask_b32_e32 v2, 0, v2, vcc
	v_add_u32_e32 v2, v2, v52
	v_and_b32_e32 v2, 0xfffff, v2
	v_add_co_u32_e32 v16, vcc, v2, v52
	v_add_u32_e32 v3, 6, v20
	v_addc_co_u32_e32 v17, vcc, 0, v53, vcc
	v_cmp_ne_u32_e32 vcc, 0, v3
                                        ; implicit-def: $vgpr2
	s_and_saveexec_b64 s[28:29], vcc
	s_xor_b64 s[28:29], exec, s[28:29]
; %bb.4086:                             ;   in Loop: Header=BB6_3902 Depth=3
	v_add_u32_e32 v2, 7, v20
	v_cmp_lt_u64_e32 vcc, s[56:57], v[16:17]
	v_cndmask_b32_e32 v2, v3, v2, vcc
	v_cndmask_b32_e64 v3, 0, 1, vcc
	v_lshrrev_b64 v[16:17], v3, v[16:17]
; %bb.4087:                             ;   in Loop: Header=BB6_3902 Depth=3
	s_andn2_saveexec_b64 s[28:29], s[28:29]
; %bb.4088:                             ;   in Loop: Header=BB6_3902 Depth=3
	v_bfe_u32 v2, v16, 23, 1
; %bb.4089:                             ;   in Loop: Header=BB6_3902 Depth=3
	s_or_b64 exec, exec, s[28:29]
	v_lshrrev_b64 v[16:17], 20, v[16:17]
	v_cmp_gt_i32_e32 vcc, 16, v2
	v_cndmask_b32_e32 v17, 0, v17, vcc
	v_cndmask_b32_e32 v16, 7, v16, vcc
	v_cmp_eq_u32_e32 vcc, 0, v2
	v_min_i32_e32 v2, 15, v2
	v_lshlrev_b32_e32 v2, 3, v2
	v_cmp_eq_u64_e64 s[28:29], 0, v[16:17]
	v_and_b32_e32 v2, 0xf8, v2
	v_and_or_b32 v2, v16, 7, v2
	s_and_b64 s[28:29], vcc, s[28:29]
	v_cndmask_b32_e64 v2, v2, 0, s[28:29]
	v_or_b32_e32 v21, v2, v1
.LBB6_4090:                             ;   in Loop: Header=BB6_3902 Depth=3
	s_or_b64 exec, exec, s[68:69]
.LBB6_4091:                             ;   in Loop: Header=BB6_3902 Depth=3
	s_or_b64 exec, exec, s[66:67]
                                        ; implicit-def: $vgpr2
.LBB6_4092:                             ;   in Loop: Header=BB6_3902 Depth=3
	s_andn2_saveexec_b64 s[28:29], s[64:65]
; %bb.4093:                             ;   in Loop: Header=BB6_3902 Depth=3
	v_or_b32_sdwa v1, v2, s92 dst_sel:DWORD dst_unused:UNUSED_PAD src0_sel:BYTE_3 src1_sel:DWORD
	v_cmp_eq_u64_e32 vcc, 0, v[26:27]
	v_cndmask_b32_e32 v21, v1, v21, vcc
; %bb.4094:                             ;   in Loop: Header=BB6_3902 Depth=3
	s_or_b64 exec, exec, s[28:29]
	v_cmp_ne_u16_sdwa vcc, v22, v27 src0_sel:BYTE_0 src1_sel:DWORD
	v_mov_b32_e32 v1, 0
	v_mov_b32_e32 v2, 0
	s_and_saveexec_b64 s[28:29], vcc
	s_cbranch_execz .LBB6_4100
; %bb.4095:                             ;   in Loop: Header=BB6_3902 Depth=3
	v_cmp_ne_u16_sdwa vcc, v22, s91 src0_sel:BYTE_0 src1_sel:DWORD
	v_bfrev_b32_e32 v2, 1
	s_and_saveexec_b64 s[64:65], vcc
	s_cbranch_execz .LBB6_4099
; %bb.4096:                             ;   in Loop: Header=BB6_3902 Depth=3
	v_and_b32_e32 v3, 0x7f, v22
	v_cmp_ne_u32_e32 vcc, s92, v3
	v_mov_b32_e32 v2, 0x7f800001
	s_and_saveexec_b64 s[66:67], vcc
	s_cbranch_execz .LBB6_4098
; %bb.4097:                             ;   in Loop: Header=BB6_3902 Depth=3
	v_and_b32_e32 v2, 7, v22
	v_ffbh_u32_e32 v2, v2
	v_min_u32_e32 v2, 32, v2
	v_lshrrev_b32_e32 v6, 3, v3
	v_subrev_u32_e32 v7, 28, v2
	v_sub_u32_e32 v2, 29, v2
	v_cmp_gt_u32_e32 vcc, 8, v3
	v_cndmask_b32_e32 v6, v6, v2, vcc
	v_cndmask_b32_e32 v2, 0, v7, vcc
	v_lshlrev_b64 v[2:3], v2, v[22:23]
	v_lshlrev_b32_e32 v2, 20, v2
	v_lshlrev_b32_e32 v3, 24, v22
	v_and_b32_e32 v2, 0x700000, v2
	v_and_b32_e32 v3, 0x80000000, v3
	v_lshl_add_u32 v6, v6, 23, v31
	v_or3_b32 v2, v3, v6, v2
.LBB6_4098:                             ;   in Loop: Header=BB6_3902 Depth=3
	s_or_b64 exec, exec, s[66:67]
.LBB6_4099:                             ;   in Loop: Header=BB6_3902 Depth=3
	s_or_b64 exec, exec, s[64:65]
.LBB6_4100:                             ;   in Loop: Header=BB6_3902 Depth=3
	s_or_b64 exec, exec, s[28:29]
	v_cmp_ne_u16_sdwa vcc, v18, v27 src0_sel:BYTE_0 src1_sel:DWORD
	s_and_saveexec_b64 s[28:29], vcc
	s_cbranch_execz .LBB6_4106
; %bb.4101:                             ;   in Loop: Header=BB6_3902 Depth=3
	v_cmp_ne_u16_sdwa vcc, v18, s91 src0_sel:BYTE_0 src1_sel:DWORD
	v_bfrev_b32_e32 v1, 1
	s_and_saveexec_b64 s[64:65], vcc
	s_cbranch_execz .LBB6_4105
; %bb.4102:                             ;   in Loop: Header=BB6_3902 Depth=3
	v_and_b32_e32 v3, 0x7f, v18
	v_cmp_ne_u32_e32 vcc, s92, v3
	v_mov_b32_e32 v1, 0x7f800001
	s_and_saveexec_b64 s[66:67], vcc
	s_cbranch_execz .LBB6_4104
; %bb.4103:                             ;   in Loop: Header=BB6_3902 Depth=3
	v_and_b32_e32 v1, 7, v18
	v_ffbh_u32_e32 v1, v1
	v_min_u32_e32 v1, 32, v1
	v_subrev_u32_e32 v7, 28, v1
	v_cmp_gt_u32_e32 vcc, 8, v3
	v_lshrrev_b32_e32 v6, 3, v3
	v_cndmask_b32_e32 v3, 0, v7, vcc
	v_sub_u32_e32 v1, 29, v1
	v_lshlrev_b64 v[16:17], v3, v[18:19]
	v_cndmask_b32_e32 v1, v6, v1, vcc
	v_lshlrev_b32_e32 v3, 20, v16
	v_lshlrev_b32_e32 v6, 24, v18
	v_and_b32_e32 v3, 0x700000, v3
	v_and_b32_e32 v6, 0x80000000, v6
	v_lshl_add_u32 v1, v1, 23, v31
	v_or3_b32 v1, v6, v1, v3
.LBB6_4104:                             ;   in Loop: Header=BB6_3902 Depth=3
	s_or_b64 exec, exec, s[66:67]
.LBB6_4105:                             ;   in Loop: Header=BB6_3902 Depth=3
	s_or_b64 exec, exec, s[64:65]
.LBB6_4106:                             ;   in Loop: Header=BB6_3902 Depth=3
	s_or_b64 exec, exec, s[28:29]
	v_add_f32_e32 v2, v2, v1
	v_and_b32_sdwa v1, v2, s91 dst_sel:DWORD dst_unused:UNUSED_PAD src0_sel:BYTE_3 src1_sel:DWORD
	v_and_b32_e32 v16, 0x7f800000, v2
	v_mov_b32_e32 v17, v27
	v_and_b32_e32 v26, 0x7fffff, v2
	v_or_b32_e32 v37, 0x7e, v1
	v_cmp_ne_u64_e32 vcc, s[52:53], v[16:17]
	s_and_saveexec_b64 s[28:29], vcc
	s_xor_b64 s[64:65], exec, s[28:29]
	s_cbranch_execz .LBB6_4116
; %bb.4107:                             ;   in Loop: Header=BB6_3902 Depth=3
	v_and_b32_e32 v16, 0x7fffffff, v2
	v_mov_b32_e32 v17, v27
	v_cmp_gt_u64_e32 vcc, s[54:55], v[16:17]
	s_and_saveexec_b64 s[66:67], vcc
	s_cbranch_execz .LBB6_4115
; %bb.4108:                             ;   in Loop: Header=BB6_3902 Depth=3
	v_cmp_ne_u32_e32 vcc, 0, v2
	v_mov_b32_e32 v37, 0
	s_and_saveexec_b64 s[68:69], vcc
	s_cbranch_execz .LBB6_4114
; %bb.4109:                             ;   in Loop: Header=BB6_3902 Depth=3
	v_bfe_u32 v2, v2, 23, 8
	v_sub_u32_e32 v6, 0x79, v2
	v_cmp_gt_u32_e32 vcc, s93, v2
	v_add_u32_e32 v3, 0xffffff81, v2
	v_cndmask_b32_e32 v6, 0, v6, vcc
	v_cmp_eq_u32_e32 vcc, 0, v2
	v_mov_b32_e32 v0, 0xffffff82
	v_cndmask_b32_e32 v20, v3, v0, vcc
	v_mov_b32_e32 v0, 0x78
	v_cndmask_b32_e32 v6, v6, v0, vcc
	v_add_u32_e32 v2, 20, v6
	v_or_b32_e32 v7, 0x800000, v26
	v_lshlrev_b64 v[2:3], v2, -1
	v_cndmask_b32_e32 v26, v7, v26, vcc
	v_not_b32_e32 v2, v2
	v_and_b32_e32 v16, v26, v2
	v_add_u32_e32 v2, 19, v6
	v_lshrrev_b64 v[52:53], v6, v[26:27]
	v_not_b32_e32 v3, v3
	v_lshlrev_b64 v[50:51], v2, 1
	v_lshrrev_b32_e32 v2, 23, v52
	v_and_b32_e32 v17, 0, v3
	v_add3_u32 v20, v6, v20, v2
	v_bfe_u32 v2, v52, 20, 1
	v_add_u32_e32 v2, -1, v2
	v_cmp_eq_u64_e32 vcc, v[16:17], v[50:51]
	v_cndmask_b32_e32 v2, 0, v2, vcc
	v_add_u32_e32 v2, v2, v52
	v_and_b32_e32 v2, 0xfffff, v2
	v_add_co_u32_e32 v16, vcc, v2, v52
	v_add_u32_e32 v3, 6, v20
	v_addc_co_u32_e32 v17, vcc, 0, v53, vcc
	v_cmp_ne_u32_e32 vcc, 0, v3
                                        ; implicit-def: $vgpr2
	s_and_saveexec_b64 s[28:29], vcc
	s_xor_b64 s[28:29], exec, s[28:29]
; %bb.4110:                             ;   in Loop: Header=BB6_3902 Depth=3
	v_add_u32_e32 v2, 7, v20
	v_cmp_lt_u64_e32 vcc, s[56:57], v[16:17]
	v_cndmask_b32_e32 v2, v3, v2, vcc
	v_cndmask_b32_e64 v3, 0, 1, vcc
	v_lshrrev_b64 v[16:17], v3, v[16:17]
; %bb.4111:                             ;   in Loop: Header=BB6_3902 Depth=3
	s_andn2_saveexec_b64 s[28:29], s[28:29]
; %bb.4112:                             ;   in Loop: Header=BB6_3902 Depth=3
	v_bfe_u32 v2, v16, 23, 1
; %bb.4113:                             ;   in Loop: Header=BB6_3902 Depth=3
	s_or_b64 exec, exec, s[28:29]
	v_lshrrev_b64 v[16:17], 20, v[16:17]
	v_cmp_gt_i32_e32 vcc, 16, v2
	v_cndmask_b32_e32 v17, 0, v17, vcc
	v_cndmask_b32_e32 v16, 7, v16, vcc
	v_cmp_eq_u32_e32 vcc, 0, v2
	v_min_i32_e32 v2, 15, v2
	v_cmp_eq_u64_e64 s[28:29], 0, v[16:17]
	v_lshlrev_b32_e32 v2, 3, v2
	v_and_or_b32 v2, v16, 7, v2
	s_and_b64 s[28:29], vcc, s[28:29]
	v_cndmask_b32_e64 v2, v2, 0, s[28:29]
	v_or_b32_e32 v37, v2, v1
.LBB6_4114:                             ;   in Loop: Header=BB6_3902 Depth=3
	s_or_b64 exec, exec, s[68:69]
.LBB6_4115:                             ;   in Loop: Header=BB6_3902 Depth=3
	s_or_b64 exec, exec, s[66:67]
                                        ; implicit-def: $vgpr2
.LBB6_4116:                             ;   in Loop: Header=BB6_3902 Depth=3
	s_andn2_saveexec_b64 s[28:29], s[64:65]
; %bb.4117:                             ;   in Loop: Header=BB6_3902 Depth=3
	v_or_b32_sdwa v1, v2, s92 dst_sel:DWORD dst_unused:UNUSED_PAD src0_sel:BYTE_3 src1_sel:DWORD
	v_cmp_eq_u64_e32 vcc, 0, v[26:27]
	v_cndmask_b32_e32 v37, v1, v37, vcc
; %bb.4118:                             ;   in Loop: Header=BB6_3902 Depth=3
	s_or_b64 exec, exec, s[28:29]
	v_lshrrev_b16_e32 v16, 8, v22
	v_cmp_ne_u16_e32 vcc, 0, v16
	v_mov_b32_e32 v1, 0
	v_mov_b32_e32 v2, 0
	s_and_saveexec_b64 s[28:29], vcc
	s_cbranch_execz .LBB6_4124
; %bb.4119:                             ;   in Loop: Header=BB6_3902 Depth=3
	v_cmp_ne_u16_e32 vcc, s91, v16
	v_bfrev_b32_e32 v2, 1
	s_and_saveexec_b64 s[64:65], vcc
	s_cbranch_execz .LBB6_4123
; %bb.4120:                             ;   in Loop: Header=BB6_3902 Depth=3
	v_and_b32_e32 v3, 0x7f, v16
	v_cmp_ne_u32_e32 vcc, s92, v3
	v_mov_b32_e32 v2, 0x7f800001
	s_and_saveexec_b64 s[66:67], vcc
	s_cbranch_execz .LBB6_4122
; %bb.4121:                             ;   in Loop: Header=BB6_3902 Depth=3
	v_and_b32_e32 v2, 7, v16
	v_ffbh_u32_e32 v7, v2
	v_min_u32_e32 v7, 32, v7
	v_subrev_u32_e32 v17, 28, v7
	v_lshlrev_b64 v[16:17], v17, v[16:17]
	v_lshrrev_b32_e32 v6, 3, v3
	v_sub_u32_e32 v7, 29, v7
	v_and_b32_e32 v16, 7, v16
	v_cmp_gt_u32_e32 vcc, 8, v3
	v_cndmask_b32_e32 v3, v6, v7, vcc
	v_cndmask_b32_e32 v2, v2, v16, vcc
	v_lshlrev_b32_e32 v6, 16, v22
	v_lshlrev_b32_e32 v2, 20, v2
	v_and_b32_e32 v6, 0x80000000, v6
	v_lshl_add_u32 v3, v3, 23, v31
	v_or3_b32 v2, v6, v3, v2
.LBB6_4122:                             ;   in Loop: Header=BB6_3902 Depth=3
	s_or_b64 exec, exec, s[66:67]
.LBB6_4123:                             ;   in Loop: Header=BB6_3902 Depth=3
	s_or_b64 exec, exec, s[64:65]
.LBB6_4124:                             ;   in Loop: Header=BB6_3902 Depth=3
	s_or_b64 exec, exec, s[28:29]
	v_lshrrev_b16_e32 v16, 8, v18
	v_cmp_ne_u16_e32 vcc, 0, v16
	s_and_saveexec_b64 s[28:29], vcc
	s_cbranch_execz .LBB6_4130
; %bb.4125:                             ;   in Loop: Header=BB6_3902 Depth=3
	v_cmp_ne_u16_e32 vcc, s91, v16
	v_bfrev_b32_e32 v1, 1
	s_and_saveexec_b64 s[64:65], vcc
	s_cbranch_execz .LBB6_4129
; %bb.4126:                             ;   in Loop: Header=BB6_3902 Depth=3
	v_and_b32_e32 v3, 0x7f, v16
	v_cmp_ne_u32_e32 vcc, s92, v3
	v_mov_b32_e32 v1, 0x7f800001
	s_and_saveexec_b64 s[66:67], vcc
	s_cbranch_execz .LBB6_4128
; %bb.4127:                             ;   in Loop: Header=BB6_3902 Depth=3
	v_and_b32_e32 v1, 7, v16
	v_ffbh_u32_e32 v7, v1
	v_min_u32_e32 v7, 32, v7
	v_subrev_u32_e32 v17, 28, v7
	v_lshlrev_b64 v[16:17], v17, v[16:17]
	v_lshrrev_b32_e32 v6, 3, v3
	v_sub_u32_e32 v7, 29, v7
	v_and_b32_e32 v16, 7, v16
	v_cmp_gt_u32_e32 vcc, 8, v3
	v_cndmask_b32_e32 v3, v6, v7, vcc
	v_cndmask_b32_e32 v1, v1, v16, vcc
	v_lshlrev_b32_e32 v6, 16, v18
	v_lshlrev_b32_e32 v1, 20, v1
	v_and_b32_e32 v6, 0x80000000, v6
	v_lshl_add_u32 v3, v3, 23, v31
	v_or3_b32 v1, v6, v3, v1
.LBB6_4128:                             ;   in Loop: Header=BB6_3902 Depth=3
	s_or_b64 exec, exec, s[66:67]
.LBB6_4129:                             ;   in Loop: Header=BB6_3902 Depth=3
	s_or_b64 exec, exec, s[64:65]
.LBB6_4130:                             ;   in Loop: Header=BB6_3902 Depth=3
	s_or_b64 exec, exec, s[28:29]
	v_add_f32_e32 v2, v2, v1
	v_and_b32_sdwa v1, v2, s91 dst_sel:DWORD dst_unused:UNUSED_PAD src0_sel:BYTE_3 src1_sel:DWORD
	v_and_b32_e32 v16, 0x7f800000, v2
	v_mov_b32_e32 v17, v27
	v_and_b32_e32 v26, 0x7fffff, v2
	v_or_b32_e32 v52, 0x7e, v1
	v_cmp_ne_u64_e32 vcc, s[52:53], v[16:17]
	s_and_saveexec_b64 s[28:29], vcc
	s_xor_b64 s[64:65], exec, s[28:29]
	s_cbranch_execz .LBB6_4140
; %bb.4131:                             ;   in Loop: Header=BB6_3902 Depth=3
	v_and_b32_e32 v16, 0x7fffffff, v2
	v_mov_b32_e32 v17, v27
	v_cmp_gt_u64_e32 vcc, s[54:55], v[16:17]
	s_and_saveexec_b64 s[66:67], vcc
	s_cbranch_execz .LBB6_4139
; %bb.4132:                             ;   in Loop: Header=BB6_3902 Depth=3
	v_cmp_ne_u32_e32 vcc, 0, v2
	v_mov_b32_e32 v52, 0
	s_and_saveexec_b64 s[68:69], vcc
	s_cbranch_execz .LBB6_4138
; %bb.4133:                             ;   in Loop: Header=BB6_3902 Depth=3
	v_bfe_u32 v2, v2, 23, 8
	v_sub_u32_e32 v6, 0x79, v2
	v_cmp_gt_u32_e32 vcc, s93, v2
	v_add_u32_e32 v3, 0xffffff81, v2
	v_cndmask_b32_e32 v6, 0, v6, vcc
	v_cmp_eq_u32_e32 vcc, 0, v2
	v_mov_b32_e32 v0, 0xffffff82
	v_cndmask_b32_e32 v20, v3, v0, vcc
	v_mov_b32_e32 v0, 0x78
	v_cndmask_b32_e32 v6, v6, v0, vcc
	v_add_u32_e32 v2, 20, v6
	v_or_b32_e32 v7, 0x800000, v26
	v_lshlrev_b64 v[2:3], v2, -1
	v_cndmask_b32_e32 v26, v7, v26, vcc
	v_not_b32_e32 v2, v2
	v_and_b32_e32 v16, v26, v2
	v_add_u32_e32 v2, 19, v6
	v_lshrrev_b64 v[52:53], v6, v[26:27]
	v_not_b32_e32 v3, v3
	v_lshlrev_b64 v[50:51], v2, 1
	v_lshrrev_b32_e32 v2, 23, v52
	v_and_b32_e32 v17, 0, v3
	v_add3_u32 v20, v6, v20, v2
	v_bfe_u32 v2, v52, 20, 1
	v_add_u32_e32 v2, -1, v2
	v_cmp_eq_u64_e32 vcc, v[16:17], v[50:51]
	v_cndmask_b32_e32 v2, 0, v2, vcc
	v_add_u32_e32 v2, v2, v52
	v_and_b32_e32 v2, 0xfffff, v2
	v_add_co_u32_e32 v16, vcc, v2, v52
	v_add_u32_e32 v3, 6, v20
	v_addc_co_u32_e32 v17, vcc, 0, v53, vcc
	v_cmp_ne_u32_e32 vcc, 0, v3
                                        ; implicit-def: $vgpr2
	s_and_saveexec_b64 s[28:29], vcc
	s_xor_b64 s[28:29], exec, s[28:29]
; %bb.4134:                             ;   in Loop: Header=BB6_3902 Depth=3
	v_add_u32_e32 v2, 7, v20
	v_cmp_lt_u64_e32 vcc, s[56:57], v[16:17]
	v_cndmask_b32_e32 v2, v3, v2, vcc
	v_cndmask_b32_e64 v3, 0, 1, vcc
	v_lshrrev_b64 v[16:17], v3, v[16:17]
; %bb.4135:                             ;   in Loop: Header=BB6_3902 Depth=3
	s_andn2_saveexec_b64 s[28:29], s[28:29]
; %bb.4136:                             ;   in Loop: Header=BB6_3902 Depth=3
	v_bfe_u32 v2, v16, 23, 1
; %bb.4137:                             ;   in Loop: Header=BB6_3902 Depth=3
	s_or_b64 exec, exec, s[28:29]
	v_lshrrev_b64 v[16:17], 20, v[16:17]
	v_cmp_gt_i32_e32 vcc, 16, v2
	v_cndmask_b32_e32 v17, 0, v17, vcc
	v_cndmask_b32_e32 v16, 7, v16, vcc
	v_cmp_eq_u32_e32 vcc, 0, v2
	v_min_i32_e32 v2, 15, v2
	v_cmp_eq_u64_e64 s[28:29], 0, v[16:17]
	v_lshlrev_b32_e32 v2, 3, v2
	v_and_or_b32 v2, v16, 7, v2
	s_and_b64 s[28:29], vcc, s[28:29]
	v_cndmask_b32_e64 v2, v2, 0, s[28:29]
	v_or_b32_e32 v52, v2, v1
.LBB6_4138:                             ;   in Loop: Header=BB6_3902 Depth=3
	s_or_b64 exec, exec, s[68:69]
.LBB6_4139:                             ;   in Loop: Header=BB6_3902 Depth=3
	s_or_b64 exec, exec, s[66:67]
                                        ; implicit-def: $vgpr2
.LBB6_4140:                             ;   in Loop: Header=BB6_3902 Depth=3
	s_andn2_saveexec_b64 s[28:29], s[64:65]
; %bb.4141:                             ;   in Loop: Header=BB6_3902 Depth=3
	v_or_b32_sdwa v1, v2, s92 dst_sel:DWORD dst_unused:UNUSED_PAD src0_sel:BYTE_3 src1_sel:DWORD
	v_cmp_eq_u64_e32 vcc, 0, v[26:27]
	v_cndmask_b32_e32 v52, v1, v52, vcc
; %bb.4142:                             ;   in Loop: Header=BB6_3902 Depth=3
	s_or_b64 exec, exec, s[28:29]
	v_lshrrev_b32_e32 v16, 16, v22
	v_cmp_ne_u16_sdwa vcc, v16, v27 src0_sel:BYTE_0 src1_sel:DWORD
	v_mov_b32_e32 v1, 0
	v_mov_b32_e32 v2, 0
	s_and_saveexec_b64 s[28:29], vcc
	s_cbranch_execz .LBB6_4148
; %bb.4143:                             ;   in Loop: Header=BB6_3902 Depth=3
	v_cmp_ne_u16_sdwa vcc, v16, s91 src0_sel:BYTE_0 src1_sel:DWORD
	v_bfrev_b32_e32 v2, 1
	s_and_saveexec_b64 s[64:65], vcc
	s_cbranch_execz .LBB6_4147
; %bb.4144:                             ;   in Loop: Header=BB6_3902 Depth=3
	v_bfe_u32 v3, v22, 16, 7
	v_cmp_ne_u32_e32 vcc, s92, v3
	v_mov_b32_e32 v2, 0x7f800001
	s_and_saveexec_b64 s[66:67], vcc
	s_cbranch_execz .LBB6_4146
; %bb.4145:                             ;   in Loop: Header=BB6_3902 Depth=3
	v_and_b32_e32 v2, 7, v16
	v_ffbh_u32_e32 v7, v2
	v_min_u32_e32 v7, 32, v7
	v_subrev_u32_e32 v17, 28, v7
	v_lshlrev_b64 v[50:51], v17, v[16:17]
	v_lshrrev_b32_e32 v6, 3, v3
	v_sub_u32_e32 v7, 29, v7
	v_and_b32_e32 v17, 7, v50
	v_cmp_gt_u32_e32 vcc, 8, v3
	v_cndmask_b32_e32 v3, v6, v7, vcc
	v_cndmask_b32_e32 v2, v2, v17, vcc
	v_lshlrev_b32_e32 v6, 24, v16
	v_lshlrev_b32_e32 v2, 20, v2
	v_and_b32_e32 v6, 0x80000000, v6
	v_lshl_add_u32 v3, v3, 23, v31
	v_or3_b32 v2, v6, v3, v2
.LBB6_4146:                             ;   in Loop: Header=BB6_3902 Depth=3
	s_or_b64 exec, exec, s[66:67]
.LBB6_4147:                             ;   in Loop: Header=BB6_3902 Depth=3
	s_or_b64 exec, exec, s[64:65]
.LBB6_4148:                             ;   in Loop: Header=BB6_3902 Depth=3
	s_or_b64 exec, exec, s[28:29]
	v_lshrrev_b32_e32 v16, 16, v18
	v_cmp_ne_u16_sdwa vcc, v16, v27 src0_sel:BYTE_0 src1_sel:DWORD
	s_and_saveexec_b64 s[28:29], vcc
	s_cbranch_execz .LBB6_4154
; %bb.4149:                             ;   in Loop: Header=BB6_3902 Depth=3
	v_cmp_ne_u16_sdwa vcc, v16, s91 src0_sel:BYTE_0 src1_sel:DWORD
	v_bfrev_b32_e32 v1, 1
	s_and_saveexec_b64 s[64:65], vcc
	s_cbranch_execz .LBB6_4153
; %bb.4150:                             ;   in Loop: Header=BB6_3902 Depth=3
	v_bfe_u32 v3, v18, 16, 7
	v_cmp_ne_u32_e32 vcc, s92, v3
	v_mov_b32_e32 v1, 0x7f800001
	s_and_saveexec_b64 s[66:67], vcc
	s_cbranch_execz .LBB6_4152
; %bb.4151:                             ;   in Loop: Header=BB6_3902 Depth=3
	v_and_b32_e32 v1, 7, v16
	v_ffbh_u32_e32 v7, v1
	v_min_u32_e32 v7, 32, v7
	v_subrev_u32_e32 v17, 28, v7
	v_lshlrev_b64 v[16:17], v17, v[16:17]
	v_lshrrev_b32_e32 v6, 3, v3
	v_sub_u32_e32 v7, 29, v7
	v_and_b32_e32 v16, 7, v16
	v_cmp_gt_u32_e32 vcc, 8, v3
	v_cndmask_b32_e32 v3, v6, v7, vcc
	v_cndmask_b32_e32 v1, v1, v16, vcc
	v_lshlrev_b32_e32 v6, 8, v18
	v_lshlrev_b32_e32 v1, 20, v1
	v_and_b32_e32 v6, 0x80000000, v6
	v_lshl_add_u32 v3, v3, 23, v31
	v_or3_b32 v1, v6, v3, v1
.LBB6_4152:                             ;   in Loop: Header=BB6_3902 Depth=3
	s_or_b64 exec, exec, s[66:67]
.LBB6_4153:                             ;   in Loop: Header=BB6_3902 Depth=3
	s_or_b64 exec, exec, s[64:65]
.LBB6_4154:                             ;   in Loop: Header=BB6_3902 Depth=3
	s_or_b64 exec, exec, s[28:29]
	v_add_f32_e32 v2, v2, v1
	v_and_b32_sdwa v1, v2, s91 dst_sel:DWORD dst_unused:UNUSED_PAD src0_sel:BYTE_3 src1_sel:DWORD
	v_and_b32_e32 v16, 0x7f800000, v2
	v_mov_b32_e32 v17, v27
	v_and_b32_e32 v26, 0x7fffff, v2
	v_or_b32_e32 v53, 0x7e, v1
	v_cmp_ne_u64_e32 vcc, s[52:53], v[16:17]
	s_and_saveexec_b64 s[28:29], vcc
	s_xor_b64 s[64:65], exec, s[28:29]
	s_cbranch_execz .LBB6_4164
; %bb.4155:                             ;   in Loop: Header=BB6_3902 Depth=3
	v_and_b32_e32 v16, 0x7fffffff, v2
	v_mov_b32_e32 v17, v27
	v_cmp_gt_u64_e32 vcc, s[54:55], v[16:17]
	s_and_saveexec_b64 s[66:67], vcc
	s_cbranch_execz .LBB6_4163
; %bb.4156:                             ;   in Loop: Header=BB6_3902 Depth=3
	v_cmp_ne_u32_e32 vcc, 0, v2
	v_mov_b32_e32 v53, 0
	s_and_saveexec_b64 s[68:69], vcc
	s_cbranch_execz .LBB6_4162
; %bb.4157:                             ;   in Loop: Header=BB6_3902 Depth=3
	v_bfe_u32 v2, v2, 23, 8
	v_sub_u32_e32 v6, 0x79, v2
	v_cmp_gt_u32_e32 vcc, s93, v2
	v_add_u32_e32 v3, 0xffffff81, v2
	v_cndmask_b32_e32 v6, 0, v6, vcc
	v_cmp_eq_u32_e32 vcc, 0, v2
	v_mov_b32_e32 v0, 0xffffff82
	v_cndmask_b32_e32 v20, v3, v0, vcc
	v_mov_b32_e32 v0, 0x78
	v_cndmask_b32_e32 v6, v6, v0, vcc
	v_add_u32_e32 v2, 20, v6
	v_or_b32_e32 v7, 0x800000, v26
	v_lshlrev_b64 v[2:3], v2, -1
	v_cndmask_b32_e32 v26, v7, v26, vcc
	v_not_b32_e32 v2, v2
	v_and_b32_e32 v16, v26, v2
	v_add_u32_e32 v2, 19, v6
	v_lshrrev_b64 v[42:43], v6, v[26:27]
	v_not_b32_e32 v3, v3
	v_lshlrev_b64 v[50:51], v2, 1
	v_lshrrev_b32_e32 v2, 23, v42
	v_and_b32_e32 v17, 0, v3
	v_add3_u32 v20, v6, v20, v2
	v_bfe_u32 v2, v42, 20, 1
	v_add_u32_e32 v2, -1, v2
	v_cmp_eq_u64_e32 vcc, v[16:17], v[50:51]
	v_cndmask_b32_e32 v2, 0, v2, vcc
	v_add_u32_e32 v2, v2, v42
	v_and_b32_e32 v2, 0xfffff, v2
	v_add_co_u32_e32 v16, vcc, v2, v42
	v_add_u32_e32 v3, 6, v20
	v_addc_co_u32_e32 v17, vcc, 0, v43, vcc
	v_cmp_ne_u32_e32 vcc, 0, v3
                                        ; implicit-def: $vgpr2
	s_and_saveexec_b64 s[28:29], vcc
	s_xor_b64 s[28:29], exec, s[28:29]
; %bb.4158:                             ;   in Loop: Header=BB6_3902 Depth=3
	v_add_u32_e32 v2, 7, v20
	v_cmp_lt_u64_e32 vcc, s[56:57], v[16:17]
	v_cndmask_b32_e32 v2, v3, v2, vcc
	v_cndmask_b32_e64 v3, 0, 1, vcc
	v_lshrrev_b64 v[16:17], v3, v[16:17]
; %bb.4159:                             ;   in Loop: Header=BB6_3902 Depth=3
	s_andn2_saveexec_b64 s[28:29], s[28:29]
; %bb.4160:                             ;   in Loop: Header=BB6_3902 Depth=3
	v_bfe_u32 v2, v16, 23, 1
; %bb.4161:                             ;   in Loop: Header=BB6_3902 Depth=3
	s_or_b64 exec, exec, s[28:29]
	v_lshrrev_b64 v[16:17], 20, v[16:17]
	v_cmp_gt_i32_e32 vcc, 16, v2
	v_cndmask_b32_e32 v17, 0, v17, vcc
	v_cndmask_b32_e32 v16, 7, v16, vcc
	v_cmp_eq_u32_e32 vcc, 0, v2
	v_min_i32_e32 v2, 15, v2
	v_cmp_eq_u64_e64 s[28:29], 0, v[16:17]
	v_lshlrev_b32_e32 v2, 3, v2
	v_and_or_b32 v2, v16, 7, v2
	s_and_b64 s[28:29], vcc, s[28:29]
	v_cndmask_b32_e64 v2, v2, 0, s[28:29]
	v_or_b32_e32 v53, v2, v1
.LBB6_4162:                             ;   in Loop: Header=BB6_3902 Depth=3
	s_or_b64 exec, exec, s[68:69]
.LBB6_4163:                             ;   in Loop: Header=BB6_3902 Depth=3
	s_or_b64 exec, exec, s[66:67]
                                        ; implicit-def: $vgpr2
.LBB6_4164:                             ;   in Loop: Header=BB6_3902 Depth=3
	s_andn2_saveexec_b64 s[28:29], s[64:65]
; %bb.4165:                             ;   in Loop: Header=BB6_3902 Depth=3
	v_or_b32_sdwa v1, v2, s92 dst_sel:DWORD dst_unused:UNUSED_PAD src0_sel:BYTE_3 src1_sel:DWORD
	v_cmp_eq_u64_e32 vcc, 0, v[26:27]
	v_cndmask_b32_e32 v53, v1, v53, vcc
; %bb.4166:                             ;   in Loop: Header=BB6_3902 Depth=3
	s_or_b64 exec, exec, s[28:29]
	v_cmp_lt_u32_e32 vcc, s43, v22
	v_mov_b32_e32 v1, 0
	v_mov_b32_e32 v2, 0
	s_and_saveexec_b64 s[28:29], vcc
	s_cbranch_execz .LBB6_4172
; %bb.4167:                             ;   in Loop: Header=BB6_3902 Depth=3
	v_lshrrev_b32_e32 v16, 24, v22
	v_cmp_ne_u32_e32 vcc, s91, v16
	v_bfrev_b32_e32 v2, 1
	s_and_saveexec_b64 s[64:65], vcc
	s_cbranch_execz .LBB6_4171
; %bb.4168:                             ;   in Loop: Header=BB6_3902 Depth=3
	v_bfe_u32 v3, v22, 24, 7
	v_cmp_ne_u32_e32 vcc, s92, v3
	v_mov_b32_e32 v2, 0x7f800001
	s_and_saveexec_b64 s[66:67], vcc
	s_cbranch_execz .LBB6_4170
; %bb.4169:                             ;   in Loop: Header=BB6_3902 Depth=3
	v_and_b32_e32 v2, 7, v16
	v_ffbh_u32_e32 v7, v2
	v_min_u32_e32 v7, 32, v7
	v_subrev_u32_e32 v17, 28, v7
	v_lshlrev_b64 v[50:51], v17, v[16:17]
	v_lshrrev_b32_e32 v6, 3, v3
	v_sub_u32_e32 v7, 29, v7
	v_and_b32_e32 v17, 7, v50
	v_cmp_gt_u32_e32 vcc, 8, v3
	v_cndmask_b32_e32 v3, v6, v7, vcc
	v_cndmask_b32_e32 v2, v2, v17, vcc
	v_lshlrev_b32_e32 v6, 24, v16
	v_lshlrev_b32_e32 v2, 20, v2
	v_and_b32_e32 v6, 0x80000000, v6
	v_lshl_add_u32 v3, v3, 23, v31
	v_or3_b32 v2, v6, v3, v2
.LBB6_4170:                             ;   in Loop: Header=BB6_3902 Depth=3
	s_or_b64 exec, exec, s[66:67]
.LBB6_4171:                             ;   in Loop: Header=BB6_3902 Depth=3
	s_or_b64 exec, exec, s[64:65]
.LBB6_4172:                             ;   in Loop: Header=BB6_3902 Depth=3
	s_or_b64 exec, exec, s[28:29]
	v_cmp_lt_u32_e32 vcc, s43, v18
	s_and_saveexec_b64 s[28:29], vcc
	s_cbranch_execz .LBB6_4178
; %bb.4173:                             ;   in Loop: Header=BB6_3902 Depth=3
	v_lshrrev_b32_e32 v16, 24, v18
	v_cmp_ne_u32_e32 vcc, s91, v16
	v_bfrev_b32_e32 v1, 1
	s_and_saveexec_b64 s[64:65], vcc
	s_cbranch_execz .LBB6_4177
; %bb.4174:                             ;   in Loop: Header=BB6_3902 Depth=3
	v_bfe_u32 v3, v18, 24, 7
	v_cmp_ne_u32_e32 vcc, s92, v3
	v_mov_b32_e32 v1, 0x7f800001
	s_and_saveexec_b64 s[66:67], vcc
	s_cbranch_execz .LBB6_4176
; %bb.4175:                             ;   in Loop: Header=BB6_3902 Depth=3
	v_and_b32_e32 v1, 7, v16
	v_ffbh_u32_e32 v7, v1
	v_min_u32_e32 v7, 32, v7
	v_subrev_u32_e32 v17, 28, v7
	v_lshlrev_b64 v[50:51], v17, v[16:17]
	v_lshrrev_b32_e32 v6, 3, v3
	v_sub_u32_e32 v7, 29, v7
	v_and_b32_e32 v17, 7, v50
	v_cmp_gt_u32_e32 vcc, 8, v3
	v_cndmask_b32_e32 v3, v6, v7, vcc
	v_cndmask_b32_e32 v1, v1, v17, vcc
	v_lshlrev_b32_e32 v6, 24, v16
	v_lshlrev_b32_e32 v1, 20, v1
	v_and_b32_e32 v6, 0x80000000, v6
	v_lshl_add_u32 v3, v3, 23, v31
	v_or3_b32 v1, v6, v3, v1
.LBB6_4176:                             ;   in Loop: Header=BB6_3902 Depth=3
	s_or_b64 exec, exec, s[66:67]
.LBB6_4177:                             ;   in Loop: Header=BB6_3902 Depth=3
	s_or_b64 exec, exec, s[64:65]
.LBB6_4178:                             ;   in Loop: Header=BB6_3902 Depth=3
	s_or_b64 exec, exec, s[28:29]
	v_add_f32_e32 v2, v2, v1
	v_and_b32_sdwa v1, v2, s91 dst_sel:DWORD dst_unused:UNUSED_PAD src0_sel:BYTE_3 src1_sel:DWORD
	v_and_b32_e32 v16, 0x7f800000, v2
	v_mov_b32_e32 v17, v27
	v_and_b32_e32 v26, 0x7fffff, v2
	v_or_b32_e32 v58, 0x7e, v1
	v_cmp_ne_u64_e32 vcc, s[52:53], v[16:17]
	s_and_saveexec_b64 s[28:29], vcc
	s_xor_b64 s[64:65], exec, s[28:29]
	s_cbranch_execz .LBB6_4188
; %bb.4179:                             ;   in Loop: Header=BB6_3902 Depth=3
	v_and_b32_e32 v16, 0x7fffffff, v2
	v_mov_b32_e32 v17, v27
	v_cmp_gt_u64_e32 vcc, s[54:55], v[16:17]
	s_and_saveexec_b64 s[66:67], vcc
	s_cbranch_execz .LBB6_4187
; %bb.4180:                             ;   in Loop: Header=BB6_3902 Depth=3
	v_cmp_ne_u32_e32 vcc, 0, v2
	v_mov_b32_e32 v58, 0
	s_and_saveexec_b64 s[68:69], vcc
	s_cbranch_execz .LBB6_4186
; %bb.4181:                             ;   in Loop: Header=BB6_3902 Depth=3
	v_bfe_u32 v2, v2, 23, 8
	v_sub_u32_e32 v6, 0x79, v2
	v_cmp_gt_u32_e32 vcc, s93, v2
	v_add_u32_e32 v3, 0xffffff81, v2
	v_cndmask_b32_e32 v6, 0, v6, vcc
	v_cmp_eq_u32_e32 vcc, 0, v2
	v_mov_b32_e32 v0, 0xffffff82
	v_cndmask_b32_e32 v20, v3, v0, vcc
	v_mov_b32_e32 v0, 0x78
	v_cndmask_b32_e32 v6, v6, v0, vcc
	v_add_u32_e32 v2, 20, v6
	v_or_b32_e32 v7, 0x800000, v26
	v_lshlrev_b64 v[2:3], v2, -1
	v_cndmask_b32_e32 v26, v7, v26, vcc
	v_not_b32_e32 v2, v2
	v_and_b32_e32 v16, v26, v2
	v_add_u32_e32 v2, 19, v6
	v_lshrrev_b64 v[42:43], v6, v[26:27]
	v_not_b32_e32 v3, v3
	v_lshlrev_b64 v[50:51], v2, 1
	v_lshrrev_b32_e32 v2, 23, v42
	v_and_b32_e32 v17, 0, v3
	v_add3_u32 v20, v6, v20, v2
	v_bfe_u32 v2, v42, 20, 1
	v_add_u32_e32 v2, -1, v2
	v_cmp_eq_u64_e32 vcc, v[16:17], v[50:51]
	v_cndmask_b32_e32 v2, 0, v2, vcc
	v_add_u32_e32 v2, v2, v42
	v_and_b32_e32 v2, 0xfffff, v2
	v_add_co_u32_e32 v16, vcc, v2, v42
	v_add_u32_e32 v3, 6, v20
	v_addc_co_u32_e32 v17, vcc, 0, v43, vcc
	v_cmp_ne_u32_e32 vcc, 0, v3
                                        ; implicit-def: $vgpr2
	s_and_saveexec_b64 s[28:29], vcc
	s_xor_b64 s[28:29], exec, s[28:29]
; %bb.4182:                             ;   in Loop: Header=BB6_3902 Depth=3
	v_add_u32_e32 v2, 7, v20
	v_cmp_lt_u64_e32 vcc, s[56:57], v[16:17]
	v_cndmask_b32_e32 v2, v3, v2, vcc
	v_cndmask_b32_e64 v3, 0, 1, vcc
	v_lshrrev_b64 v[16:17], v3, v[16:17]
; %bb.4183:                             ;   in Loop: Header=BB6_3902 Depth=3
	s_andn2_saveexec_b64 s[28:29], s[28:29]
; %bb.4184:                             ;   in Loop: Header=BB6_3902 Depth=3
	v_bfe_u32 v2, v16, 23, 1
; %bb.4185:                             ;   in Loop: Header=BB6_3902 Depth=3
	s_or_b64 exec, exec, s[28:29]
	v_lshrrev_b64 v[16:17], 20, v[16:17]
	v_cmp_gt_i32_e32 vcc, 16, v2
	v_cndmask_b32_e32 v17, 0, v17, vcc
	v_cndmask_b32_e32 v16, 7, v16, vcc
	v_cmp_eq_u32_e32 vcc, 0, v2
	v_min_i32_e32 v2, 15, v2
	v_cmp_eq_u64_e64 s[28:29], 0, v[16:17]
	v_lshlrev_b32_e32 v2, 3, v2
	v_and_or_b32 v2, v16, 7, v2
	s_and_b64 s[28:29], vcc, s[28:29]
	v_cndmask_b32_e64 v2, v2, 0, s[28:29]
	v_or_b32_e32 v58, v2, v1
.LBB6_4186:                             ;   in Loop: Header=BB6_3902 Depth=3
	s_or_b64 exec, exec, s[68:69]
.LBB6_4187:                             ;   in Loop: Header=BB6_3902 Depth=3
	s_or_b64 exec, exec, s[66:67]
                                        ; implicit-def: $vgpr2
.LBB6_4188:                             ;   in Loop: Header=BB6_3902 Depth=3
	s_andn2_saveexec_b64 s[28:29], s[64:65]
; %bb.4189:                             ;   in Loop: Header=BB6_3902 Depth=3
	v_or_b32_sdwa v1, v2, s92 dst_sel:DWORD dst_unused:UNUSED_PAD src0_sel:BYTE_3 src1_sel:DWORD
	v_cmp_eq_u64_e32 vcc, 0, v[26:27]
	v_cndmask_b32_e32 v58, v1, v58, vcc
; %bb.4190:                             ;   in Loop: Header=BB6_3902 Depth=3
	s_or_b64 exec, exec, s[28:29]
	v_mov_b32_e32 v26, v23
	v_cmp_ne_u16_sdwa vcc, v23, v27 src0_sel:BYTE_0 src1_sel:DWORD
	v_mov_b32_e32 v2, 0
	v_mov_b32_e32 v1, 0
	s_and_saveexec_b64 s[28:29], vcc
	s_cbranch_execz .LBB6_4196
; %bb.4191:                             ;   in Loop: Header=BB6_3902 Depth=3
	v_cmp_ne_u16_sdwa vcc, v23, s91 src0_sel:BYTE_0 src1_sel:DWORD
	v_bfrev_b32_e32 v1, 1
	s_and_saveexec_b64 s[64:65], vcc
	s_cbranch_execz .LBB6_4195
; %bb.4192:                             ;   in Loop: Header=BB6_3902 Depth=3
	v_and_b32_e32 v3, 0x7f, v23
	v_cmp_ne_u32_e32 vcc, s92, v3
	v_mov_b32_e32 v1, 0x7f800001
	s_and_saveexec_b64 s[66:67], vcc
	s_cbranch_execz .LBB6_4194
; %bb.4193:                             ;   in Loop: Header=BB6_3902 Depth=3
	v_and_b32_e32 v1, 7, v23
	v_ffbh_u32_e32 v1, v1
	v_min_u32_e32 v1, 32, v1
	v_subrev_u32_e32 v7, 28, v1
	v_cmp_gt_u32_e32 vcc, 8, v3
	v_lshrrev_b32_e32 v6, 3, v3
	v_cndmask_b32_e32 v3, 0, v7, vcc
	v_sub_u32_e32 v1, 29, v1
	v_lshlrev_b64 v[16:17], v3, v[26:27]
	v_cndmask_b32_e32 v1, v6, v1, vcc
	v_lshlrev_b32_e32 v3, 20, v16
	v_lshlrev_b32_e32 v6, 24, v26
	v_and_b32_e32 v3, 0x700000, v3
	v_and_b32_e32 v6, 0x80000000, v6
	v_lshl_add_u32 v1, v1, 23, v31
	v_or3_b32 v1, v6, v1, v3
.LBB6_4194:                             ;   in Loop: Header=BB6_3902 Depth=3
	s_or_b64 exec, exec, s[66:67]
.LBB6_4195:                             ;   in Loop: Header=BB6_3902 Depth=3
	s_or_b64 exec, exec, s[64:65]
.LBB6_4196:                             ;   in Loop: Header=BB6_3902 Depth=3
	s_or_b64 exec, exec, s[28:29]
	v_cmp_ne_u16_sdwa vcc, v19, v27 src0_sel:BYTE_0 src1_sel:DWORD
	s_and_saveexec_b64 s[28:29], vcc
	s_cbranch_execz .LBB6_4202
; %bb.4197:                             ;   in Loop: Header=BB6_3902 Depth=3
	v_cmp_ne_u16_sdwa vcc, v19, s91 src0_sel:BYTE_0 src1_sel:DWORD
	v_bfrev_b32_e32 v2, 1
	s_and_saveexec_b64 s[64:65], vcc
	s_cbranch_execz .LBB6_4201
; %bb.4198:                             ;   in Loop: Header=BB6_3902 Depth=3
	v_and_b32_e32 v3, 0x7f, v19
	v_cmp_ne_u32_e32 vcc, s92, v3
	v_mov_b32_e32 v2, 0x7f800001
	s_and_saveexec_b64 s[66:67], vcc
	s_cbranch_execz .LBB6_4200
; %bb.4199:                             ;   in Loop: Header=BB6_3902 Depth=3
	v_and_b32_e32 v2, 7, v19
	v_ffbh_u32_e32 v2, v2
	v_min_u32_e32 v2, 32, v2
	v_lshrrev_b32_e32 v6, 3, v3
	v_subrev_u32_e32 v7, 28, v2
	v_sub_u32_e32 v2, 29, v2
	v_cmp_gt_u32_e32 vcc, 8, v3
	v_mov_b32_e32 v16, v19
	v_mov_b32_e32 v17, v27
	v_cndmask_b32_e32 v6, v6, v2, vcc
	v_cndmask_b32_e32 v2, 0, v7, vcc
	v_lshlrev_b64 v[2:3], v2, v[16:17]
	v_lshlrev_b32_e32 v2, 20, v2
	v_lshlrev_b32_e32 v3, 24, v16
	v_and_b32_e32 v2, 0x700000, v2
	v_and_b32_e32 v3, 0x80000000, v3
	v_lshl_add_u32 v6, v6, 23, v31
	v_or3_b32 v2, v3, v6, v2
.LBB6_4200:                             ;   in Loop: Header=BB6_3902 Depth=3
	s_or_b64 exec, exec, s[66:67]
.LBB6_4201:                             ;   in Loop: Header=BB6_3902 Depth=3
	s_or_b64 exec, exec, s[64:65]
.LBB6_4202:                             ;   in Loop: Header=BB6_3902 Depth=3
	s_or_b64 exec, exec, s[28:29]
	v_add_f32_e32 v2, v1, v2
	v_and_b32_sdwa v1, v2, s91 dst_sel:DWORD dst_unused:UNUSED_PAD src0_sel:BYTE_3 src1_sel:DWORD
	v_and_b32_e32 v50, 0x7f800000, v2
	v_mov_b32_e32 v51, v27
	v_and_b32_e32 v16, 0x7fffff, v2
	v_mov_b32_e32 v17, v27
	v_or_b32_e32 v59, 0x7e, v1
	v_cmp_ne_u64_e32 vcc, s[52:53], v[50:51]
	s_and_saveexec_b64 s[28:29], vcc
	s_xor_b64 s[64:65], exec, s[28:29]
	s_cbranch_execz .LBB6_4212
; %bb.4203:                             ;   in Loop: Header=BB6_3902 Depth=3
	v_and_b32_e32 v50, 0x7fffffff, v2
	v_mov_b32_e32 v51, v27
	v_cmp_gt_u64_e32 vcc, s[54:55], v[50:51]
	s_and_saveexec_b64 s[66:67], vcc
	s_cbranch_execz .LBB6_4211
; %bb.4204:                             ;   in Loop: Header=BB6_3902 Depth=3
	v_cmp_ne_u32_e32 vcc, 0, v2
	v_mov_b32_e32 v59, 0
	s_and_saveexec_b64 s[68:69], vcc
	s_cbranch_execz .LBB6_4210
; %bb.4205:                             ;   in Loop: Header=BB6_3902 Depth=3
	v_bfe_u32 v2, v2, 23, 8
	v_sub_u32_e32 v6, 0x79, v2
	v_cmp_gt_u32_e32 vcc, s93, v2
	v_add_u32_e32 v3, 0xffffff81, v2
	v_cndmask_b32_e32 v6, 0, v6, vcc
	v_cmp_eq_u32_e32 vcc, 0, v2
	v_mov_b32_e32 v0, 0xffffff82
	v_cndmask_b32_e32 v20, v3, v0, vcc
	v_mov_b32_e32 v0, 0x78
	v_cndmask_b32_e32 v6, v6, v0, vcc
	v_add_u32_e32 v2, 20, v6
	v_or_b32_e32 v7, 0x800000, v16
	v_lshlrev_b64 v[2:3], v2, -1
	v_cndmask_b32_e32 v16, v7, v16, vcc
	v_not_b32_e32 v2, v2
	v_and_b32_e32 v50, v16, v2
	v_add_u32_e32 v2, 19, v6
	v_lshrrev_b64 v[16:17], v6, v[16:17]
	v_not_b32_e32 v3, v3
	v_lshlrev_b64 v[42:43], v2, 1
	v_lshrrev_b32_e32 v2, 23, v16
	v_and_b32_e32 v51, 0, v3
	v_add3_u32 v20, v6, v20, v2
	v_bfe_u32 v2, v16, 20, 1
	v_add_u32_e32 v2, -1, v2
	v_cmp_eq_u64_e32 vcc, v[50:51], v[42:43]
	v_cndmask_b32_e32 v2, 0, v2, vcc
	v_add_u32_e32 v2, v2, v16
	v_and_b32_e32 v2, 0xfffff, v2
	v_add_co_u32_e32 v16, vcc, v2, v16
	v_add_u32_e32 v3, 6, v20
	v_addc_co_u32_e32 v17, vcc, 0, v17, vcc
	v_cmp_ne_u32_e32 vcc, 0, v3
                                        ; implicit-def: $vgpr2
	s_and_saveexec_b64 s[28:29], vcc
	s_xor_b64 s[28:29], exec, s[28:29]
; %bb.4206:                             ;   in Loop: Header=BB6_3902 Depth=3
	v_add_u32_e32 v2, 7, v20
	v_cmp_lt_u64_e32 vcc, s[56:57], v[16:17]
	v_cndmask_b32_e32 v2, v3, v2, vcc
	v_cndmask_b32_e64 v3, 0, 1, vcc
	v_lshrrev_b64 v[16:17], v3, v[16:17]
; %bb.4207:                             ;   in Loop: Header=BB6_3902 Depth=3
	s_andn2_saveexec_b64 s[28:29], s[28:29]
; %bb.4208:                             ;   in Loop: Header=BB6_3902 Depth=3
	v_bfe_u32 v2, v16, 23, 1
; %bb.4209:                             ;   in Loop: Header=BB6_3902 Depth=3
	s_or_b64 exec, exec, s[28:29]
	v_lshrrev_b64 v[16:17], 20, v[16:17]
	v_cmp_gt_i32_e32 vcc, 16, v2
	v_cndmask_b32_e32 v17, 0, v17, vcc
	v_cndmask_b32_e32 v16, 7, v16, vcc
	v_cmp_eq_u32_e32 vcc, 0, v2
	v_min_i32_e32 v2, 15, v2
	v_cmp_eq_u64_e64 s[28:29], 0, v[16:17]
	v_lshlrev_b32_e32 v2, 3, v2
	v_and_or_b32 v2, v16, 7, v2
	s_and_b64 s[28:29], vcc, s[28:29]
	v_cndmask_b32_e64 v2, v2, 0, s[28:29]
	v_or_b32_e32 v59, v2, v1
.LBB6_4210:                             ;   in Loop: Header=BB6_3902 Depth=3
	s_or_b64 exec, exec, s[68:69]
.LBB6_4211:                             ;   in Loop: Header=BB6_3902 Depth=3
	s_or_b64 exec, exec, s[66:67]
                                        ; implicit-def: $vgpr2
                                        ; implicit-def: $vgpr16_vgpr17
.LBB6_4212:                             ;   in Loop: Header=BB6_3902 Depth=3
	s_andn2_saveexec_b64 s[28:29], s[64:65]
; %bb.4213:                             ;   in Loop: Header=BB6_3902 Depth=3
	v_or_b32_sdwa v1, v2, s92 dst_sel:DWORD dst_unused:UNUSED_PAD src0_sel:BYTE_3 src1_sel:DWORD
	v_cmp_eq_u64_e32 vcc, 0, v[16:17]
	v_cndmask_b32_e32 v59, v1, v59, vcc
; %bb.4214:                             ;   in Loop: Header=BB6_3902 Depth=3
	s_or_b64 exec, exec, s[28:29]
	v_lshrrev_b16_e32 v16, 8, v26
	v_cmp_ne_u16_e32 vcc, 0, v16
	v_mov_b32_e32 v1, 0
	v_mov_b32_e32 v2, 0
	s_and_saveexec_b64 s[28:29], vcc
	s_cbranch_execz .LBB6_4220
; %bb.4215:                             ;   in Loop: Header=BB6_3902 Depth=3
	v_cmp_ne_u16_e32 vcc, s91, v16
	v_bfrev_b32_e32 v2, 1
	s_and_saveexec_b64 s[64:65], vcc
	s_cbranch_execz .LBB6_4219
; %bb.4216:                             ;   in Loop: Header=BB6_3902 Depth=3
	v_and_b32_e32 v3, 0x7f, v16
	v_cmp_ne_u32_e32 vcc, s92, v3
	v_mov_b32_e32 v2, 0x7f800001
	s_and_saveexec_b64 s[66:67], vcc
	s_cbranch_execz .LBB6_4218
; %bb.4217:                             ;   in Loop: Header=BB6_3902 Depth=3
	v_and_b32_e32 v2, 7, v16
	v_ffbh_u32_e32 v7, v2
	v_min_u32_e32 v7, 32, v7
	v_subrev_u32_e32 v17, 28, v7
	v_lshlrev_b64 v[16:17], v17, v[16:17]
	v_lshrrev_b32_e32 v6, 3, v3
	v_sub_u32_e32 v7, 29, v7
	v_and_b32_e32 v16, 7, v16
	v_cmp_gt_u32_e32 vcc, 8, v3
	v_cndmask_b32_e32 v3, v6, v7, vcc
	v_cndmask_b32_e32 v2, v2, v16, vcc
	v_lshlrev_b32_e32 v6, 16, v26
	v_lshlrev_b32_e32 v2, 20, v2
	v_and_b32_e32 v6, 0x80000000, v6
	v_lshl_add_u32 v3, v3, 23, v31
	v_or3_b32 v2, v6, v3, v2
.LBB6_4218:                             ;   in Loop: Header=BB6_3902 Depth=3
	s_or_b64 exec, exec, s[66:67]
.LBB6_4219:                             ;   in Loop: Header=BB6_3902 Depth=3
	s_or_b64 exec, exec, s[64:65]
.LBB6_4220:                             ;   in Loop: Header=BB6_3902 Depth=3
	s_or_b64 exec, exec, s[28:29]
	v_mov_b32_e32 v16, v19
	v_lshrrev_b16_e32 v20, 8, v16
	v_cmp_ne_u16_e32 vcc, 0, v20
	s_and_saveexec_b64 s[28:29], vcc
	s_cbranch_execz .LBB6_4226
; %bb.4221:                             ;   in Loop: Header=BB6_3902 Depth=3
	v_cmp_ne_u16_e32 vcc, s91, v20
	v_bfrev_b32_e32 v1, 1
	s_and_saveexec_b64 s[64:65], vcc
	s_cbranch_execz .LBB6_4225
; %bb.4222:                             ;   in Loop: Header=BB6_3902 Depth=3
	v_and_b32_e32 v3, 0x7f, v20
	v_cmp_ne_u32_e32 vcc, s92, v3
	v_mov_b32_e32 v1, 0x7f800001
	s_and_saveexec_b64 s[66:67], vcc
	s_cbranch_execz .LBB6_4224
; %bb.4223:                             ;   in Loop: Header=BB6_3902 Depth=3
	v_and_b32_e32 v1, 7, v20
	v_ffbh_u32_e32 v7, v1
	v_min_u32_e32 v7, 32, v7
	v_subrev_u32_e32 v17, 28, v7
	v_lshlrev_b64 v[50:51], v17, v[20:21]
	v_lshrrev_b32_e32 v6, 3, v3
	v_sub_u32_e32 v7, 29, v7
	v_and_b32_e32 v17, 7, v50
	v_cmp_gt_u32_e32 vcc, 8, v3
	v_cndmask_b32_e32 v3, v6, v7, vcc
	v_cndmask_b32_e32 v1, v1, v17, vcc
	v_lshlrev_b32_e32 v6, 16, v16
	v_lshlrev_b32_e32 v1, 20, v1
	v_and_b32_e32 v6, 0x80000000, v6
	v_lshl_add_u32 v3, v3, 23, v31
	v_or3_b32 v1, v6, v3, v1
.LBB6_4224:                             ;   in Loop: Header=BB6_3902 Depth=3
	s_or_b64 exec, exec, s[66:67]
.LBB6_4225:                             ;   in Loop: Header=BB6_3902 Depth=3
	s_or_b64 exec, exec, s[64:65]
.LBB6_4226:                             ;   in Loop: Header=BB6_3902 Depth=3
	s_or_b64 exec, exec, s[28:29]
	v_add_f32_e32 v2, v2, v1
	v_and_b32_sdwa v1, v2, s91 dst_sel:DWORD dst_unused:UNUSED_PAD src0_sel:BYTE_3 src1_sel:DWORD
	v_and_b32_e32 v16, 0x7f800000, v2
	v_mov_b32_e32 v17, v27
	v_and_b32_e32 v26, 0x7fffff, v2
	v_or_b32_e32 v3, 0x7e, v1
	v_cmp_ne_u64_e32 vcc, s[52:53], v[16:17]
	s_and_saveexec_b64 s[28:29], vcc
	s_xor_b64 s[64:65], exec, s[28:29]
	s_cbranch_execz .LBB6_4236
; %bb.4227:                             ;   in Loop: Header=BB6_3902 Depth=3
	v_and_b32_e32 v16, 0x7fffffff, v2
	v_mov_b32_e32 v17, v27
	v_cmp_gt_u64_e32 vcc, s[54:55], v[16:17]
	s_and_saveexec_b64 s[66:67], vcc
	s_cbranch_execz .LBB6_4235
; %bb.4228:                             ;   in Loop: Header=BB6_3902 Depth=3
	v_cmp_ne_u32_e32 vcc, 0, v2
	v_mov_b32_e32 v3, 0
	s_and_saveexec_b64 s[68:69], vcc
	s_cbranch_execz .LBB6_4234
; %bb.4229:                             ;   in Loop: Header=BB6_3902 Depth=3
	v_bfe_u32 v2, v2, 23, 8
	v_sub_u32_e32 v6, 0x79, v2
	v_cmp_gt_u32_e32 vcc, s93, v2
	v_add_u32_e32 v3, 0xffffff81, v2
	v_cndmask_b32_e32 v6, 0, v6, vcc
	v_cmp_eq_u32_e32 vcc, 0, v2
	v_mov_b32_e32 v0, 0xffffff82
	v_cndmask_b32_e32 v20, v3, v0, vcc
	v_mov_b32_e32 v0, 0x78
	v_cndmask_b32_e32 v6, v6, v0, vcc
	v_add_u32_e32 v2, 20, v6
	v_or_b32_e32 v7, 0x800000, v26
	v_lshlrev_b64 v[2:3], v2, -1
	v_cndmask_b32_e32 v26, v7, v26, vcc
	v_not_b32_e32 v2, v2
	v_and_b32_e32 v16, v26, v2
	v_add_u32_e32 v2, 19, v6
	v_lshrrev_b64 v[42:43], v6, v[26:27]
	v_not_b32_e32 v3, v3
	v_lshlrev_b64 v[50:51], v2, 1
	v_lshrrev_b32_e32 v2, 23, v42
	v_and_b32_e32 v17, 0, v3
	v_add3_u32 v20, v6, v20, v2
	v_bfe_u32 v2, v42, 20, 1
	v_add_u32_e32 v2, -1, v2
	v_cmp_eq_u64_e32 vcc, v[16:17], v[50:51]
	v_cndmask_b32_e32 v2, 0, v2, vcc
	v_add_u32_e32 v2, v2, v42
	v_and_b32_e32 v2, 0xfffff, v2
	v_add_co_u32_e32 v16, vcc, v2, v42
	v_add_u32_e32 v3, 6, v20
	v_addc_co_u32_e32 v17, vcc, 0, v43, vcc
	v_cmp_ne_u32_e32 vcc, 0, v3
                                        ; implicit-def: $vgpr2
	s_and_saveexec_b64 s[28:29], vcc
	s_xor_b64 s[28:29], exec, s[28:29]
; %bb.4230:                             ;   in Loop: Header=BB6_3902 Depth=3
	v_add_u32_e32 v2, 7, v20
	v_cmp_lt_u64_e32 vcc, s[56:57], v[16:17]
	v_cndmask_b32_e32 v2, v3, v2, vcc
	v_cndmask_b32_e64 v3, 0, 1, vcc
	v_lshrrev_b64 v[16:17], v3, v[16:17]
; %bb.4231:                             ;   in Loop: Header=BB6_3902 Depth=3
	s_andn2_saveexec_b64 s[28:29], s[28:29]
; %bb.4232:                             ;   in Loop: Header=BB6_3902 Depth=3
	v_bfe_u32 v2, v16, 23, 1
; %bb.4233:                             ;   in Loop: Header=BB6_3902 Depth=3
	s_or_b64 exec, exec, s[28:29]
	v_lshrrev_b64 v[16:17], 20, v[16:17]
	v_cmp_gt_i32_e32 vcc, 16, v2
	v_cndmask_b32_e32 v17, 0, v17, vcc
	v_cndmask_b32_e32 v16, 7, v16, vcc
	v_cmp_eq_u32_e32 vcc, 0, v2
	v_min_i32_e32 v2, 15, v2
	v_cmp_eq_u64_e64 s[28:29], 0, v[16:17]
	v_lshlrev_b32_e32 v2, 3, v2
	v_and_or_b32 v2, v16, 7, v2
	s_and_b64 s[28:29], vcc, s[28:29]
	v_cndmask_b32_e64 v2, v2, 0, s[28:29]
	v_or_b32_e32 v3, v2, v1
.LBB6_4234:                             ;   in Loop: Header=BB6_3902 Depth=3
	s_or_b64 exec, exec, s[68:69]
.LBB6_4235:                             ;   in Loop: Header=BB6_3902 Depth=3
	s_or_b64 exec, exec, s[66:67]
                                        ; implicit-def: $vgpr2
.LBB6_4236:                             ;   in Loop: Header=BB6_3902 Depth=3
	s_andn2_saveexec_b64 s[28:29], s[64:65]
; %bb.4237:                             ;   in Loop: Header=BB6_3902 Depth=3
	v_or_b32_sdwa v1, v2, s92 dst_sel:DWORD dst_unused:UNUSED_PAD src0_sel:BYTE_3 src1_sel:DWORD
	v_cmp_eq_u64_e32 vcc, 0, v[26:27]
	v_cndmask_b32_e32 v3, v1, v3, vcc
; %bb.4238:                             ;   in Loop: Header=BB6_3902 Depth=3
	s_or_b64 exec, exec, s[28:29]
	v_lshrrev_b32_e32 v16, 16, v23
	v_cmp_ne_u16_sdwa vcc, v16, v27 src0_sel:BYTE_0 src1_sel:DWORD
	v_mov_b32_e32 v1, 0
	v_mov_b32_e32 v2, 0
	s_and_saveexec_b64 s[28:29], vcc
	s_cbranch_execz .LBB6_4244
; %bb.4239:                             ;   in Loop: Header=BB6_3902 Depth=3
	v_cmp_ne_u16_sdwa vcc, v16, s91 src0_sel:BYTE_0 src1_sel:DWORD
	v_bfrev_b32_e32 v2, 1
	s_and_saveexec_b64 s[64:65], vcc
	s_cbranch_execz .LBB6_4243
; %bb.4240:                             ;   in Loop: Header=BB6_3902 Depth=3
	v_bfe_u32 v17, v23, 16, 7
	v_cmp_ne_u32_e32 vcc, s92, v17
	v_mov_b32_e32 v2, 0x7f800001
	s_and_saveexec_b64 s[66:67], vcc
	s_cbranch_execz .LBB6_4242
; %bb.4241:                             ;   in Loop: Header=BB6_3902 Depth=3
	v_and_b32_e32 v2, 7, v16
	v_ffbh_u32_e32 v7, v2
	v_min_u32_e32 v7, 32, v7
	v_subrev_u32_e32 v20, 28, v7
	v_lshlrev_b64 v[50:51], v20, v[16:17]
	v_lshrrev_b32_e32 v6, 3, v17
	v_sub_u32_e32 v7, 29, v7
	v_and_b32_e32 v20, 7, v50
	v_cmp_gt_u32_e32 vcc, 8, v17
	v_cndmask_b32_e32 v6, v6, v7, vcc
	v_cndmask_b32_e32 v2, v2, v20, vcc
	v_lshlrev_b32_e32 v7, 24, v16
	v_lshlrev_b32_e32 v2, 20, v2
	v_and_b32_e32 v7, 0x80000000, v7
	v_lshl_add_u32 v6, v6, 23, v31
	v_or3_b32 v2, v7, v6, v2
.LBB6_4242:                             ;   in Loop: Header=BB6_3902 Depth=3
	s_or_b64 exec, exec, s[66:67]
.LBB6_4243:                             ;   in Loop: Header=BB6_3902 Depth=3
	s_or_b64 exec, exec, s[64:65]
.LBB6_4244:                             ;   in Loop: Header=BB6_3902 Depth=3
	s_or_b64 exec, exec, s[28:29]
	v_lshrrev_b32_e32 v16, 16, v19
	v_cmp_ne_u16_sdwa vcc, v16, v27 src0_sel:BYTE_0 src1_sel:DWORD
	s_and_saveexec_b64 s[28:29], vcc
	s_cbranch_execz .LBB6_4250
; %bb.4245:                             ;   in Loop: Header=BB6_3902 Depth=3
	v_cmp_ne_u16_sdwa vcc, v16, s91 src0_sel:BYTE_0 src1_sel:DWORD
	v_bfrev_b32_e32 v1, 1
	s_and_saveexec_b64 s[64:65], vcc
	s_cbranch_execz .LBB6_4249
; %bb.4246:                             ;   in Loop: Header=BB6_3902 Depth=3
	v_bfe_u32 v17, v19, 16, 7
	v_cmp_ne_u32_e32 vcc, s92, v17
	v_mov_b32_e32 v1, 0x7f800001
	s_and_saveexec_b64 s[66:67], vcc
	s_cbranch_execz .LBB6_4248
; %bb.4247:                             ;   in Loop: Header=BB6_3902 Depth=3
	v_and_b32_e32 v1, 7, v16
	v_ffbh_u32_e32 v7, v1
	v_min_u32_e32 v7, 32, v7
	v_subrev_u32_e32 v20, 28, v7
	v_lshlrev_b64 v[50:51], v20, v[16:17]
	v_lshrrev_b32_e32 v6, 3, v17
	v_sub_u32_e32 v7, 29, v7
	v_and_b32_e32 v16, 7, v50
	v_cmp_gt_u32_e32 vcc, 8, v17
	v_cndmask_b32_e32 v6, v6, v7, vcc
	v_cndmask_b32_e32 v1, v1, v16, vcc
	v_lshlrev_b32_e32 v7, 8, v19
	v_lshlrev_b32_e32 v1, 20, v1
	v_and_b32_e32 v7, 0x80000000, v7
	v_lshl_add_u32 v6, v6, 23, v31
	v_or3_b32 v1, v7, v6, v1
.LBB6_4248:                             ;   in Loop: Header=BB6_3902 Depth=3
	s_or_b64 exec, exec, s[66:67]
.LBB6_4249:                             ;   in Loop: Header=BB6_3902 Depth=3
	s_or_b64 exec, exec, s[64:65]
.LBB6_4250:                             ;   in Loop: Header=BB6_3902 Depth=3
	s_or_b64 exec, exec, s[28:29]
	v_add_f32_e32 v2, v2, v1
	v_and_b32_sdwa v1, v2, s91 dst_sel:DWORD dst_unused:UNUSED_PAD src0_sel:BYTE_3 src1_sel:DWORD
	v_and_b32_e32 v16, 0x7f800000, v2
	v_mov_b32_e32 v17, v27
	v_and_b32_e32 v26, 0x7fffff, v2
	v_or_b32_e32 v20, 0x7e, v1
	v_cmp_ne_u64_e32 vcc, s[52:53], v[16:17]
	s_and_saveexec_b64 s[28:29], vcc
	s_xor_b64 s[64:65], exec, s[28:29]
	s_cbranch_execz .LBB6_4260
; %bb.4251:                             ;   in Loop: Header=BB6_3902 Depth=3
	v_and_b32_e32 v16, 0x7fffffff, v2
	v_mov_b32_e32 v17, v27
	v_cmp_gt_u64_e32 vcc, s[54:55], v[16:17]
	s_and_saveexec_b64 s[66:67], vcc
	s_cbranch_execz .LBB6_4259
; %bb.4252:                             ;   in Loop: Header=BB6_3902 Depth=3
	v_cmp_ne_u32_e32 vcc, 0, v2
	v_mov_b32_e32 v20, 0
	s_and_saveexec_b64 s[68:69], vcc
	s_cbranch_execz .LBB6_4258
; %bb.4253:                             ;   in Loop: Header=BB6_3902 Depth=3
	v_bfe_u32 v2, v2, 23, 8
	v_sub_u32_e32 v7, 0x79, v2
	v_cmp_gt_u32_e32 vcc, s93, v2
	v_add_u32_e32 v6, 0xffffff81, v2
	v_cndmask_b32_e32 v7, 0, v7, vcc
	v_cmp_eq_u32_e32 vcc, 0, v2
	v_mov_b32_e32 v0, 0xffffff82
	v_cndmask_b32_e32 v2, v6, v0, vcc
	v_mov_b32_e32 v0, 0x78
	v_cndmask_b32_e32 v6, v7, v0, vcc
	v_or_b32_e32 v16, 0x800000, v26
	v_add_u32_e32 v7, 20, v6
	v_cndmask_b32_e32 v26, v16, v26, vcc
	v_lshlrev_b64 v[16:17], v7, -1
	v_not_b32_e32 v7, v17
	v_and_b32_e32 v17, 0, v7
	v_add_u32_e32 v7, 19, v6
	v_lshrrev_b64 v[42:43], v6, v[26:27]
	v_not_b32_e32 v16, v16
	v_lshlrev_b64 v[50:51], v7, 1
	v_lshrrev_b32_e32 v7, 23, v42
	v_and_b32_e32 v16, v26, v16
	v_add3_u32 v26, v6, v2, v7
	v_bfe_u32 v2, v42, 20, 1
	v_add_u32_e32 v2, -1, v2
	v_cmp_eq_u64_e32 vcc, v[16:17], v[50:51]
	v_cndmask_b32_e32 v2, 0, v2, vcc
	v_add_u32_e32 v2, v2, v42
	v_and_b32_e32 v2, 0xfffff, v2
	v_add_co_u32_e32 v16, vcc, v2, v42
	v_add_u32_e32 v20, 6, v26
	v_addc_co_u32_e32 v17, vcc, 0, v43, vcc
	v_cmp_ne_u32_e32 vcc, 0, v20
                                        ; implicit-def: $vgpr2
	s_and_saveexec_b64 s[28:29], vcc
	s_xor_b64 s[28:29], exec, s[28:29]
; %bb.4254:                             ;   in Loop: Header=BB6_3902 Depth=3
	v_cmp_lt_u64_e32 vcc, s[56:57], v[16:17]
	v_add_u32_e32 v2, 7, v26
	v_cndmask_b32_e64 v6, 0, 1, vcc
	v_cndmask_b32_e32 v2, v20, v2, vcc
	v_lshrrev_b64 v[16:17], v6, v[16:17]
; %bb.4255:                             ;   in Loop: Header=BB6_3902 Depth=3
	s_andn2_saveexec_b64 s[28:29], s[28:29]
; %bb.4256:                             ;   in Loop: Header=BB6_3902 Depth=3
	v_bfe_u32 v2, v16, 23, 1
; %bb.4257:                             ;   in Loop: Header=BB6_3902 Depth=3
	s_or_b64 exec, exec, s[28:29]
	v_lshrrev_b64 v[16:17], 20, v[16:17]
	v_cmp_gt_i32_e32 vcc, 16, v2
	v_cndmask_b32_e32 v17, 0, v17, vcc
	v_cndmask_b32_e32 v16, 7, v16, vcc
	v_cmp_eq_u32_e32 vcc, 0, v2
	v_min_i32_e32 v2, 15, v2
	v_lshlrev_b32_e32 v2, 3, v2
	v_cmp_eq_u64_e64 s[28:29], 0, v[16:17]
	v_and_b32_e32 v2, 0xf8, v2
	v_and_or_b32 v2, v16, 7, v2
	s_and_b64 s[28:29], vcc, s[28:29]
	v_cndmask_b32_e64 v2, v2, 0, s[28:29]
	v_or_b32_e32 v20, v2, v1
.LBB6_4258:                             ;   in Loop: Header=BB6_3902 Depth=3
	s_or_b64 exec, exec, s[68:69]
.LBB6_4259:                             ;   in Loop: Header=BB6_3902 Depth=3
	s_or_b64 exec, exec, s[66:67]
                                        ; implicit-def: $vgpr2
.LBB6_4260:                             ;   in Loop: Header=BB6_3902 Depth=3
	s_andn2_saveexec_b64 s[28:29], s[64:65]
; %bb.4261:                             ;   in Loop: Header=BB6_3902 Depth=3
	v_or_b32_sdwa v1, v2, s92 dst_sel:DWORD dst_unused:UNUSED_PAD src0_sel:BYTE_3 src1_sel:DWORD
	v_cmp_eq_u64_e32 vcc, 0, v[26:27]
	v_cndmask_b32_e32 v20, v1, v20, vcc
; %bb.4262:                             ;   in Loop: Header=BB6_3902 Depth=3
	s_or_b64 exec, exec, s[28:29]
	v_cmp_lt_u64_e32 vcc, s[42:43], v[22:23]
	v_mov_b32_e32 v1, 0
	v_mov_b32_e32 v2, 0
	s_and_saveexec_b64 s[28:29], vcc
	s_cbranch_execz .LBB6_4268
; %bb.4263:                             ;   in Loop: Header=BB6_3902 Depth=3
	v_lshrrev_b32_e32 v16, 24, v23
	v_cmp_ne_u32_e32 vcc, s91, v16
	v_bfrev_b32_e32 v2, 1
	s_and_saveexec_b64 s[64:65], vcc
	s_cbranch_execz .LBB6_4267
; %bb.4264:                             ;   in Loop: Header=BB6_3902 Depth=3
	v_bfe_u32 v17, v23, 24, 7
	v_cmp_ne_u32_e32 vcc, s92, v17
	v_mov_b32_e32 v2, 0x7f800001
	s_and_saveexec_b64 s[66:67], vcc
	s_cbranch_execz .LBB6_4266
; %bb.4265:                             ;   in Loop: Header=BB6_3902 Depth=3
	v_and_b32_e32 v2, 7, v16
	v_ffbh_u32_e32 v7, v2
	v_min_u32_e32 v7, 32, v7
	v_subrev_u32_e32 v22, 28, v7
	v_lshlrev_b64 v[22:23], v22, v[16:17]
	v_lshrrev_b32_e32 v6, 3, v17
	v_sub_u32_e32 v7, 29, v7
	v_and_b32_e32 v22, 7, v22
	v_cmp_gt_u32_e32 vcc, 8, v17
	v_cndmask_b32_e32 v6, v6, v7, vcc
	v_cndmask_b32_e32 v2, v2, v22, vcc
	v_lshlrev_b32_e32 v7, 24, v16
	v_lshlrev_b32_e32 v2, 20, v2
	v_and_b32_e32 v7, 0x80000000, v7
	v_lshl_add_u32 v6, v6, 23, v31
	v_or3_b32 v2, v7, v6, v2
.LBB6_4266:                             ;   in Loop: Header=BB6_3902 Depth=3
	s_or_b64 exec, exec, s[66:67]
.LBB6_4267:                             ;   in Loop: Header=BB6_3902 Depth=3
	s_or_b64 exec, exec, s[64:65]
.LBB6_4268:                             ;   in Loop: Header=BB6_3902 Depth=3
	s_or_b64 exec, exec, s[28:29]
	v_cmp_lt_u64_e32 vcc, s[42:43], v[18:19]
	s_and_saveexec_b64 s[28:29], vcc
	s_cbranch_execz .LBB6_4274
; %bb.4269:                             ;   in Loop: Header=BB6_3902 Depth=3
	v_lshrrev_b32_e32 v16, 24, v19
	v_cmp_ne_u32_e32 vcc, s91, v16
	v_bfrev_b32_e32 v1, 1
	s_and_saveexec_b64 s[64:65], vcc
	s_cbranch_execz .LBB6_4273
; %bb.4270:                             ;   in Loop: Header=BB6_3902 Depth=3
	v_bfe_u32 v17, v19, 24, 7
	v_cmp_ne_u32_e32 vcc, s92, v17
	v_mov_b32_e32 v1, 0x7f800001
	s_and_saveexec_b64 s[66:67], vcc
	s_cbranch_execz .LBB6_4272
; %bb.4271:                             ;   in Loop: Header=BB6_3902 Depth=3
	v_and_b32_e32 v1, 7, v16
	v_ffbh_u32_e32 v7, v1
	v_min_u32_e32 v7, 32, v7
	v_subrev_u32_e32 v18, 28, v7
	v_lshlrev_b64 v[18:19], v18, v[16:17]
	v_lshrrev_b32_e32 v6, 3, v17
	v_sub_u32_e32 v7, 29, v7
	v_and_b32_e32 v18, 7, v18
	v_cmp_gt_u32_e32 vcc, 8, v17
	v_cndmask_b32_e32 v6, v6, v7, vcc
	v_cndmask_b32_e32 v1, v1, v18, vcc
	v_lshlrev_b32_e32 v7, 24, v16
	v_lshlrev_b32_e32 v1, 20, v1
	v_and_b32_e32 v7, 0x80000000, v7
	v_lshl_add_u32 v6, v6, 23, v31
	v_or3_b32 v1, v7, v6, v1
.LBB6_4272:                             ;   in Loop: Header=BB6_3902 Depth=3
	s_or_b64 exec, exec, s[66:67]
.LBB6_4273:                             ;   in Loop: Header=BB6_3902 Depth=3
	s_or_b64 exec, exec, s[64:65]
.LBB6_4274:                             ;   in Loop: Header=BB6_3902 Depth=3
	s_or_b64 exec, exec, s[28:29]
	v_add_f32_e32 v16, v2, v1
	v_and_b32_sdwa v2, v16, s91 dst_sel:DWORD dst_unused:UNUSED_PAD src0_sel:BYTE_3 src1_sel:DWORD
	v_and_b32_e32 v18, 0x7f800000, v16
	v_mov_b32_e32 v19, v27
	v_and_b32_e32 v26, 0x7fffff, v16
	v_or_b32_e32 v1, 0x7e, v2
	v_cmp_ne_u64_e32 vcc, s[52:53], v[18:19]
	s_and_saveexec_b64 s[28:29], vcc
	s_xor_b64 s[64:65], exec, s[28:29]
	s_cbranch_execz .LBB6_4284
; %bb.4275:                             ;   in Loop: Header=BB6_3902 Depth=3
	v_and_b32_e32 v18, 0x7fffffff, v16
	v_mov_b32_e32 v19, v27
	v_cmp_gt_u64_e32 vcc, s[54:55], v[18:19]
	s_and_saveexec_b64 s[66:67], vcc
	s_cbranch_execz .LBB6_4283
; %bb.4276:                             ;   in Loop: Header=BB6_3902 Depth=3
	v_cmp_ne_u32_e32 vcc, 0, v16
	v_mov_b32_e32 v1, 0
	s_and_saveexec_b64 s[68:69], vcc
	s_cbranch_execz .LBB6_4282
; %bb.4277:                             ;   in Loop: Header=BB6_3902 Depth=3
	v_bfe_u32 v1, v16, 23, 8
	v_sub_u32_e32 v7, 0x79, v1
	v_cmp_gt_u32_e32 vcc, s93, v1
	v_add_u32_e32 v6, 0xffffff81, v1
	v_cndmask_b32_e32 v7, 0, v7, vcc
	v_cmp_eq_u32_e32 vcc, 0, v1
	v_mov_b32_e32 v0, 0xffffff82
	v_cndmask_b32_e32 v1, v6, v0, vcc
	v_mov_b32_e32 v0, 0x78
	v_cndmask_b32_e32 v6, v7, v0, vcc
	v_or_b32_e32 v16, 0x800000, v26
	v_add_u32_e32 v7, 20, v6
	v_cndmask_b32_e32 v26, v16, v26, vcc
	v_lshlrev_b64 v[16:17], v7, -1
	v_not_b32_e32 v7, v17
	v_and_b32_e32 v17, 0, v7
	v_add_u32_e32 v7, 19, v6
	v_lshrrev_b64 v[50:51], v6, v[26:27]
	v_not_b32_e32 v16, v16
	v_lshlrev_b64 v[22:23], v7, 1
	v_lshrrev_b32_e32 v7, 23, v50
	v_and_b32_e32 v16, v26, v16
	v_add3_u32 v19, v6, v1, v7
	v_bfe_u32 v1, v50, 20, 1
	v_add_u32_e32 v1, -1, v1
	v_cmp_eq_u64_e32 vcc, v[16:17], v[22:23]
	v_cndmask_b32_e32 v1, 0, v1, vcc
	v_add_u32_e32 v1, v1, v50
	v_and_b32_e32 v1, 0xfffff, v1
	v_add_co_u32_e32 v16, vcc, v1, v50
	v_add_u32_e32 v18, 6, v19
	v_addc_co_u32_e32 v17, vcc, 0, v51, vcc
	v_cmp_ne_u32_e32 vcc, 0, v18
                                        ; implicit-def: $vgpr1
	s_and_saveexec_b64 s[28:29], vcc
	s_xor_b64 s[28:29], exec, s[28:29]
; %bb.4278:                             ;   in Loop: Header=BB6_3902 Depth=3
	v_cmp_lt_u64_e32 vcc, s[56:57], v[16:17]
	v_add_u32_e32 v1, 7, v19
	v_cndmask_b32_e64 v6, 0, 1, vcc
	v_cndmask_b32_e32 v1, v18, v1, vcc
	v_lshrrev_b64 v[16:17], v6, v[16:17]
; %bb.4279:                             ;   in Loop: Header=BB6_3902 Depth=3
	s_andn2_saveexec_b64 s[28:29], s[28:29]
; %bb.4280:                             ;   in Loop: Header=BB6_3902 Depth=3
	v_bfe_u32 v1, v16, 23, 1
; %bb.4281:                             ;   in Loop: Header=BB6_3902 Depth=3
	s_or_b64 exec, exec, s[28:29]
	v_lshrrev_b64 v[16:17], 20, v[16:17]
	v_cmp_gt_i32_e32 vcc, 16, v1
	v_cndmask_b32_e32 v17, 0, v17, vcc
	v_cndmask_b32_e32 v16, 7, v16, vcc
	v_cmp_eq_u32_e32 vcc, 0, v1
	v_min_i32_e32 v1, 15, v1
	v_lshlrev_b32_e32 v1, 3, v1
	v_cmp_eq_u64_e64 s[28:29], 0, v[16:17]
	v_and_b32_e32 v1, 0xf8, v1
	v_and_or_b32 v1, v16, 7, v1
	s_and_b64 s[28:29], vcc, s[28:29]
	v_cndmask_b32_e64 v1, v1, 0, s[28:29]
	v_or_b32_e32 v1, v1, v2
.LBB6_4282:                             ;   in Loop: Header=BB6_3902 Depth=3
	s_or_b64 exec, exec, s[68:69]
.LBB6_4283:                             ;   in Loop: Header=BB6_3902 Depth=3
	s_or_b64 exec, exec, s[66:67]
                                        ; implicit-def: $vgpr16
.LBB6_4284:                             ;   in Loop: Header=BB6_3902 Depth=3
	s_andn2_saveexec_b64 s[28:29], s[64:65]
; %bb.4285:                             ;   in Loop: Header=BB6_3902 Depth=3
	v_or_b32_sdwa v2, v16, s92 dst_sel:DWORD dst_unused:UNUSED_PAD src0_sel:BYTE_3 src1_sel:DWORD
	v_cmp_eq_u64_e32 vcc, 0, v[26:27]
	v_cndmask_b32_e32 v1, v2, v1, vcc
; %bb.4286:                             ;   in Loop: Header=BB6_3902 Depth=3
	s_or_b64 exec, exec, s[28:29]
	v_cmp_ne_u16_sdwa vcc, v12, v27 src0_sel:BYTE_0 src1_sel:DWORD
	v_mov_b32_e32 v2, 0
	v_mov_b32_e32 v16, 0
	s_and_saveexec_b64 s[28:29], vcc
	s_cbranch_execz .LBB6_4292
; %bb.4287:                             ;   in Loop: Header=BB6_3902 Depth=3
	v_cmp_ne_u16_sdwa vcc, v12, s91 src0_sel:BYTE_0 src1_sel:DWORD
	v_bfrev_b32_e32 v16, 1
	s_and_saveexec_b64 s[64:65], vcc
	s_cbranch_execz .LBB6_4291
; %bb.4288:                             ;   in Loop: Header=BB6_3902 Depth=3
	v_and_b32_e32 v17, 0x7f, v12
	v_cmp_ne_u32_e32 vcc, s92, v17
	v_mov_b32_e32 v16, 0x7f800001
	s_and_saveexec_b64 s[66:67], vcc
	s_cbranch_execz .LBB6_4290
; %bb.4289:                             ;   in Loop: Header=BB6_3902 Depth=3
	v_and_b32_e32 v6, 7, v12
	v_ffbh_u32_e32 v6, v6
	v_min_u32_e32 v6, 32, v6
	v_lshrrev_b32_e32 v7, 3, v17
	v_subrev_u32_e32 v16, 28, v6
	v_sub_u32_e32 v6, 29, v6
	v_cmp_gt_u32_e32 vcc, 8, v17
	v_cndmask_b32_e32 v6, v7, v6, vcc
	v_cndmask_b32_e32 v7, 0, v16, vcc
	v_lshlrev_b64 v[16:17], v7, v[12:13]
	v_lshlrev_b32_e32 v7, 20, v16
	v_lshlrev_b32_e32 v16, 24, v12
	v_and_b32_e32 v7, 0x700000, v7
	v_and_b32_e32 v16, 0x80000000, v16
	v_lshl_add_u32 v6, v6, 23, v31
	v_or3_b32 v16, v16, v6, v7
.LBB6_4290:                             ;   in Loop: Header=BB6_3902 Depth=3
	s_or_b64 exec, exec, s[66:67]
.LBB6_4291:                             ;   in Loop: Header=BB6_3902 Depth=3
	s_or_b64 exec, exec, s[64:65]
.LBB6_4292:                             ;   in Loop: Header=BB6_3902 Depth=3
	s_or_b64 exec, exec, s[28:29]
	v_cmp_ne_u16_sdwa vcc, v8, v27 src0_sel:BYTE_0 src1_sel:DWORD
	s_and_saveexec_b64 s[28:29], vcc
	s_cbranch_execz .LBB6_4298
; %bb.4293:                             ;   in Loop: Header=BB6_3902 Depth=3
	v_cmp_ne_u16_sdwa vcc, v8, s91 src0_sel:BYTE_0 src1_sel:DWORD
	v_bfrev_b32_e32 v2, 1
	s_and_saveexec_b64 s[64:65], vcc
	s_cbranch_execz .LBB6_4297
; %bb.4294:                             ;   in Loop: Header=BB6_3902 Depth=3
	v_and_b32_e32 v17, 0x7f, v8
	v_cmp_ne_u32_e32 vcc, s92, v17
	v_mov_b32_e32 v2, 0x7f800001
	s_and_saveexec_b64 s[66:67], vcc
	s_cbranch_execz .LBB6_4296
; %bb.4295:                             ;   in Loop: Header=BB6_3902 Depth=3
	v_and_b32_e32 v2, 7, v8
	v_ffbh_u32_e32 v2, v2
	v_min_u32_e32 v2, 32, v2
	v_lshrrev_b32_e32 v6, 3, v17
	v_subrev_u32_e32 v7, 28, v2
	v_sub_u32_e32 v2, 29, v2
	v_cmp_gt_u32_e32 vcc, 8, v17
	v_cndmask_b32_e32 v2, v6, v2, vcc
	v_cndmask_b32_e32 v6, 0, v7, vcc
	v_lshlrev_b64 v[18:19], v6, v[8:9]
	v_lshlrev_b32_e32 v6, 20, v18
	v_lshlrev_b32_e32 v7, 24, v8
	v_and_b32_e32 v6, 0x700000, v6
	v_and_b32_e32 v7, 0x80000000, v7
	v_lshl_add_u32 v2, v2, 23, v31
	v_or3_b32 v2, v7, v2, v6
.LBB6_4296:                             ;   in Loop: Header=BB6_3902 Depth=3
	s_or_b64 exec, exec, s[66:67]
.LBB6_4297:                             ;   in Loop: Header=BB6_3902 Depth=3
	s_or_b64 exec, exec, s[64:65]
.LBB6_4298:                             ;   in Loop: Header=BB6_3902 Depth=3
	s_or_b64 exec, exec, s[28:29]
	v_add_f32_e32 v16, v16, v2
	v_and_b32_sdwa v18, v16, s91 dst_sel:DWORD dst_unused:UNUSED_PAD src0_sel:BYTE_3 src1_sel:DWORD
	v_and_b32_e32 v22, 0x7f800000, v16
	v_mov_b32_e32 v23, v27
	v_and_b32_e32 v26, 0x7fffff, v16
	v_or_b32_e32 v2, 0x7e, v18
	v_cmp_ne_u64_e32 vcc, s[52:53], v[22:23]
	s_and_saveexec_b64 s[28:29], vcc
	s_xor_b64 s[64:65], exec, s[28:29]
	s_cbranch_execz .LBB6_4308
; %bb.4299:                             ;   in Loop: Header=BB6_3902 Depth=3
	v_and_b32_e32 v22, 0x7fffffff, v16
	v_mov_b32_e32 v23, v27
	v_cmp_gt_u64_e32 vcc, s[54:55], v[22:23]
	s_and_saveexec_b64 s[66:67], vcc
	s_cbranch_execz .LBB6_4307
; %bb.4300:                             ;   in Loop: Header=BB6_3902 Depth=3
	v_cmp_ne_u32_e32 vcc, 0, v16
	v_mov_b32_e32 v2, 0
	s_and_saveexec_b64 s[68:69], vcc
	s_cbranch_execz .LBB6_4306
; %bb.4301:                             ;   in Loop: Header=BB6_3902 Depth=3
	v_bfe_u32 v2, v16, 23, 8
	v_sub_u32_e32 v7, 0x79, v2
	v_cmp_gt_u32_e32 vcc, s93, v2
	v_add_u32_e32 v6, 0xffffff81, v2
	v_cndmask_b32_e32 v7, 0, v7, vcc
	v_cmp_eq_u32_e32 vcc, 0, v2
	v_mov_b32_e32 v0, 0xffffff82
	v_cndmask_b32_e32 v2, v6, v0, vcc
	v_mov_b32_e32 v0, 0x78
	v_cndmask_b32_e32 v6, v7, v0, vcc
	v_or_b32_e32 v16, 0x800000, v26
	v_add_u32_e32 v7, 20, v6
	v_cndmask_b32_e32 v26, v16, v26, vcc
	v_lshlrev_b64 v[16:17], v7, -1
	v_not_b32_e32 v7, v17
	v_and_b32_e32 v17, 0, v7
	v_add_u32_e32 v7, 19, v6
	v_lshrrev_b64 v[42:43], v6, v[26:27]
	v_not_b32_e32 v16, v16
	v_lshlrev_b64 v[50:51], v7, 1
	v_lshrrev_b32_e32 v7, 23, v42
	v_and_b32_e32 v16, v26, v16
	v_add3_u32 v22, v6, v2, v7
	v_bfe_u32 v2, v42, 20, 1
	v_add_u32_e32 v2, -1, v2
	v_cmp_eq_u64_e32 vcc, v[16:17], v[50:51]
	v_cndmask_b32_e32 v2, 0, v2, vcc
	v_add_u32_e32 v2, v2, v42
	v_and_b32_e32 v2, 0xfffff, v2
	v_add_co_u32_e32 v16, vcc, v2, v42
	v_add_u32_e32 v19, 6, v22
	v_addc_co_u32_e32 v17, vcc, 0, v43, vcc
	v_cmp_ne_u32_e32 vcc, 0, v19
                                        ; implicit-def: $vgpr2
	s_and_saveexec_b64 s[28:29], vcc
	s_xor_b64 s[28:29], exec, s[28:29]
; %bb.4302:                             ;   in Loop: Header=BB6_3902 Depth=3
	v_cmp_lt_u64_e32 vcc, s[56:57], v[16:17]
	v_add_u32_e32 v2, 7, v22
	v_cndmask_b32_e64 v6, 0, 1, vcc
	v_cndmask_b32_e32 v2, v19, v2, vcc
	v_lshrrev_b64 v[16:17], v6, v[16:17]
; %bb.4303:                             ;   in Loop: Header=BB6_3902 Depth=3
	s_andn2_saveexec_b64 s[28:29], s[28:29]
; %bb.4304:                             ;   in Loop: Header=BB6_3902 Depth=3
	v_bfe_u32 v2, v16, 23, 1
; %bb.4305:                             ;   in Loop: Header=BB6_3902 Depth=3
	s_or_b64 exec, exec, s[28:29]
	v_lshrrev_b64 v[16:17], 20, v[16:17]
	v_cmp_gt_i32_e32 vcc, 16, v2
	v_cndmask_b32_e32 v17, 0, v17, vcc
	v_cndmask_b32_e32 v16, 7, v16, vcc
	v_cmp_eq_u32_e32 vcc, 0, v2
	v_min_i32_e32 v2, 15, v2
	v_cmp_eq_u64_e64 s[28:29], 0, v[16:17]
	v_lshlrev_b32_e32 v2, 3, v2
	v_and_or_b32 v2, v16, 7, v2
	s_and_b64 s[28:29], vcc, s[28:29]
	v_cndmask_b32_e64 v2, v2, 0, s[28:29]
	v_or_b32_e32 v2, v2, v18
.LBB6_4306:                             ;   in Loop: Header=BB6_3902 Depth=3
	s_or_b64 exec, exec, s[68:69]
.LBB6_4307:                             ;   in Loop: Header=BB6_3902 Depth=3
	s_or_b64 exec, exec, s[66:67]
                                        ; implicit-def: $vgpr16
.LBB6_4308:                             ;   in Loop: Header=BB6_3902 Depth=3
	s_andn2_saveexec_b64 s[28:29], s[64:65]
; %bb.4309:                             ;   in Loop: Header=BB6_3902 Depth=3
	v_or_b32_sdwa v6, v16, s92 dst_sel:DWORD dst_unused:UNUSED_PAD src0_sel:BYTE_3 src1_sel:DWORD
	v_cmp_eq_u64_e32 vcc, 0, v[26:27]
	v_cndmask_b32_e32 v2, v6, v2, vcc
; %bb.4310:                             ;   in Loop: Header=BB6_3902 Depth=3
	s_or_b64 exec, exec, s[28:29]
	v_lshrrev_b16_e32 v16, 8, v12
	v_cmp_ne_u16_e32 vcc, 0, v16
	v_mov_b32_e32 v17, 0
	v_mov_b32_e32 v18, 0
	s_and_saveexec_b64 s[28:29], vcc
	s_cbranch_execz .LBB6_4316
; %bb.4311:                             ;   in Loop: Header=BB6_3902 Depth=3
	v_cmp_ne_u16_e32 vcc, s91, v16
	v_bfrev_b32_e32 v18, 1
	s_and_saveexec_b64 s[64:65], vcc
	s_cbranch_execz .LBB6_4315
; %bb.4312:                             ;   in Loop: Header=BB6_3902 Depth=3
	v_and_b32_e32 v19, 0x7f, v16
	v_cmp_ne_u32_e32 vcc, s92, v19
	v_mov_b32_e32 v18, 0x7f800001
	s_and_saveexec_b64 s[66:67], vcc
	s_cbranch_execz .LBB6_4314
; %bb.4313:                             ;   in Loop: Header=BB6_3902 Depth=3
	v_and_b32_e32 v6, 7, v16
	v_ffbh_u32_e32 v18, v6
	v_min_u32_e32 v18, 32, v18
	v_subrev_u32_e32 v22, 28, v18
	v_lshlrev_b64 v[22:23], v22, v[16:17]
	v_lshrrev_b32_e32 v7, 3, v19
	v_sub_u32_e32 v16, 29, v18
	v_and_b32_e32 v18, 7, v22
	v_cmp_gt_u32_e32 vcc, 8, v19
	v_cndmask_b32_e32 v7, v7, v16, vcc
	v_cndmask_b32_e32 v6, v6, v18, vcc
	v_lshlrev_b32_e32 v16, 16, v12
	v_lshlrev_b32_e32 v6, 20, v6
	v_and_b32_e32 v16, 0x80000000, v16
	v_lshl_add_u32 v7, v7, 23, v31
	v_or3_b32 v18, v16, v7, v6
.LBB6_4314:                             ;   in Loop: Header=BB6_3902 Depth=3
	s_or_b64 exec, exec, s[66:67]
.LBB6_4315:                             ;   in Loop: Header=BB6_3902 Depth=3
	s_or_b64 exec, exec, s[64:65]
.LBB6_4316:                             ;   in Loop: Header=BB6_3902 Depth=3
	s_or_b64 exec, exec, s[28:29]
	v_lshrrev_b16_e32 v16, 8, v8
	v_cmp_ne_u16_e32 vcc, 0, v16
	s_and_saveexec_b64 s[28:29], vcc
	s_cbranch_execz .LBB6_4322
; %bb.4317:                             ;   in Loop: Header=BB6_3902 Depth=3
	v_cmp_ne_u16_e32 vcc, s91, v16
	v_bfrev_b32_e32 v17, 1
	s_and_saveexec_b64 s[64:65], vcc
	s_cbranch_execz .LBB6_4321
; %bb.4318:                             ;   in Loop: Header=BB6_3902 Depth=3
	v_and_b32_e32 v19, 0x7f, v16
	v_cmp_ne_u32_e32 vcc, s92, v19
	v_mov_b32_e32 v17, 0x7f800001
	s_and_saveexec_b64 s[66:67], vcc
	s_cbranch_execz .LBB6_4320
; %bb.4319:                             ;   in Loop: Header=BB6_3902 Depth=3
	v_and_b32_e32 v6, 7, v16
	v_ffbh_u32_e32 v17, v6
	v_min_u32_e32 v22, 32, v17
	v_subrev_u32_e32 v17, 28, v22
	v_lshlrev_b64 v[16:17], v17, v[16:17]
	v_lshrrev_b32_e32 v7, 3, v19
	v_sub_u32_e32 v17, 29, v22
	v_and_b32_e32 v16, 7, v16
	v_cmp_gt_u32_e32 vcc, 8, v19
	v_cndmask_b32_e32 v7, v7, v17, vcc
	v_cndmask_b32_e32 v6, v6, v16, vcc
	v_lshlrev_b32_e32 v16, 16, v8
	v_lshlrev_b32_e32 v6, 20, v6
	v_and_b32_e32 v16, 0x80000000, v16
	v_lshl_add_u32 v7, v7, 23, v31
	v_or3_b32 v17, v16, v7, v6
.LBB6_4320:                             ;   in Loop: Header=BB6_3902 Depth=3
	s_or_b64 exec, exec, s[66:67]
.LBB6_4321:                             ;   in Loop: Header=BB6_3902 Depth=3
	s_or_b64 exec, exec, s[64:65]
.LBB6_4322:                             ;   in Loop: Header=BB6_3902 Depth=3
	s_or_b64 exec, exec, s[28:29]
	v_add_f32_e32 v16, v18, v17
	v_and_b32_sdwa v18, v16, s91 dst_sel:DWORD dst_unused:UNUSED_PAD src0_sel:BYTE_3 src1_sel:DWORD
	v_and_b32_e32 v22, 0x7f800000, v16
	v_mov_b32_e32 v23, v27
	v_and_b32_e32 v26, 0x7fffff, v16
	v_or_b32_e32 v19, 0x7e, v18
	v_cmp_ne_u64_e32 vcc, s[52:53], v[22:23]
	s_and_saveexec_b64 s[28:29], vcc
	s_xor_b64 s[64:65], exec, s[28:29]
	s_cbranch_execz .LBB6_4332
; %bb.4323:                             ;   in Loop: Header=BB6_3902 Depth=3
	v_and_b32_e32 v22, 0x7fffffff, v16
	v_mov_b32_e32 v23, v27
	v_cmp_gt_u64_e32 vcc, s[54:55], v[22:23]
	s_and_saveexec_b64 s[66:67], vcc
	s_cbranch_execz .LBB6_4331
; %bb.4324:                             ;   in Loop: Header=BB6_3902 Depth=3
	v_cmp_ne_u32_e32 vcc, 0, v16
	v_mov_b32_e32 v19, 0
	s_and_saveexec_b64 s[68:69], vcc
	s_cbranch_execz .LBB6_4330
; %bb.4325:                             ;   in Loop: Header=BB6_3902 Depth=3
	v_bfe_u32 v6, v16, 23, 8
	v_sub_u32_e32 v16, 0x79, v6
	v_cmp_gt_u32_e32 vcc, s93, v6
	v_add_u32_e32 v7, 0xffffff81, v6
	v_cndmask_b32_e32 v16, 0, v16, vcc
	v_cmp_eq_u32_e32 vcc, 0, v6
	v_mov_b32_e32 v0, 0xffffff82
	v_cndmask_b32_e32 v6, v7, v0, vcc
	v_mov_b32_e32 v0, 0x78
	v_or_b32_e32 v17, 0x800000, v26
	v_cndmask_b32_e32 v7, v16, v0, vcc
	v_cndmask_b32_e32 v26, v17, v26, vcc
	v_add_u32_e32 v16, 20, v7
	v_lshlrev_b64 v[16:17], v16, -1
	v_add_u32_e32 v19, 19, v7
	v_lshrrev_b64 v[42:43], v7, v[26:27]
	v_not_b32_e32 v17, v17
	v_not_b32_e32 v16, v16
	v_lshlrev_b64 v[50:51], v19, 1
	v_lshrrev_b32_e32 v19, 23, v42
	v_and_b32_e32 v17, 0, v17
	v_and_b32_e32 v16, v26, v16
	v_add3_u32 v23, v7, v6, v19
	v_bfe_u32 v6, v42, 20, 1
	v_add_u32_e32 v6, -1, v6
	v_cmp_eq_u64_e32 vcc, v[16:17], v[50:51]
	v_cndmask_b32_e32 v6, 0, v6, vcc
	v_add_u32_e32 v6, v6, v42
	v_and_b32_e32 v6, 0xfffff, v6
	v_add_co_u32_e32 v16, vcc, v6, v42
	v_add_u32_e32 v22, 6, v23
	v_addc_co_u32_e32 v17, vcc, 0, v43, vcc
	v_cmp_ne_u32_e32 vcc, 0, v22
                                        ; implicit-def: $vgpr19
	s_and_saveexec_b64 s[28:29], vcc
	s_xor_b64 s[28:29], exec, s[28:29]
; %bb.4326:                             ;   in Loop: Header=BB6_3902 Depth=3
	v_add_u32_e32 v6, 7, v23
	v_cmp_lt_u64_e32 vcc, s[56:57], v[16:17]
	v_cndmask_b32_e32 v19, v22, v6, vcc
	v_cndmask_b32_e64 v6, 0, 1, vcc
	v_lshrrev_b64 v[16:17], v6, v[16:17]
; %bb.4327:                             ;   in Loop: Header=BB6_3902 Depth=3
	s_andn2_saveexec_b64 s[28:29], s[28:29]
; %bb.4328:                             ;   in Loop: Header=BB6_3902 Depth=3
	v_bfe_u32 v19, v16, 23, 1
; %bb.4329:                             ;   in Loop: Header=BB6_3902 Depth=3
	s_or_b64 exec, exec, s[28:29]
	v_lshrrev_b64 v[16:17], 20, v[16:17]
	v_cmp_gt_i32_e32 vcc, 16, v19
	v_cndmask_b32_e32 v17, 0, v17, vcc
	v_cndmask_b32_e32 v16, 7, v16, vcc
	v_min_i32_e32 v6, 15, v19
	v_cmp_eq_u32_e32 vcc, 0, v19
	v_cmp_eq_u64_e64 s[28:29], 0, v[16:17]
	v_lshlrev_b32_e32 v6, 3, v6
	v_and_or_b32 v6, v16, 7, v6
	s_and_b64 s[28:29], vcc, s[28:29]
	v_cndmask_b32_e64 v6, v6, 0, s[28:29]
	v_or_b32_e32 v19, v6, v18
.LBB6_4330:                             ;   in Loop: Header=BB6_3902 Depth=3
	s_or_b64 exec, exec, s[68:69]
.LBB6_4331:                             ;   in Loop: Header=BB6_3902 Depth=3
	s_or_b64 exec, exec, s[66:67]
                                        ; implicit-def: $vgpr16
.LBB6_4332:                             ;   in Loop: Header=BB6_3902 Depth=3
	s_andn2_saveexec_b64 s[28:29], s[64:65]
; %bb.4333:                             ;   in Loop: Header=BB6_3902 Depth=3
	v_or_b32_sdwa v6, v16, s92 dst_sel:DWORD dst_unused:UNUSED_PAD src0_sel:BYTE_3 src1_sel:DWORD
	v_cmp_eq_u64_e32 vcc, 0, v[26:27]
	v_cndmask_b32_e32 v19, v6, v19, vcc
; %bb.4334:                             ;   in Loop: Header=BB6_3902 Depth=3
	s_or_b64 exec, exec, s[28:29]
	v_lshrrev_b32_e32 v16, 16, v12
	v_cmp_ne_u16_sdwa vcc, v16, v27 src0_sel:BYTE_0 src1_sel:DWORD
	v_mov_b32_e32 v17, 0
	v_mov_b32_e32 v18, 0
	s_and_saveexec_b64 s[28:29], vcc
	s_cbranch_execz .LBB6_4340
; %bb.4335:                             ;   in Loop: Header=BB6_3902 Depth=3
	v_cmp_ne_u16_sdwa vcc, v16, s91 src0_sel:BYTE_0 src1_sel:DWORD
	v_bfrev_b32_e32 v18, 1
	s_and_saveexec_b64 s[64:65], vcc
	s_cbranch_execz .LBB6_4339
; %bb.4336:                             ;   in Loop: Header=BB6_3902 Depth=3
	v_bfe_u32 v22, v12, 16, 7
	v_cmp_ne_u32_e32 vcc, s92, v22
	v_mov_b32_e32 v18, 0x7f800001
	s_and_saveexec_b64 s[66:67], vcc
	s_cbranch_execz .LBB6_4338
; %bb.4337:                             ;   in Loop: Header=BB6_3902 Depth=3
	v_and_b32_e32 v6, 7, v16
	v_ffbh_u32_e32 v18, v6
	v_min_u32_e32 v18, 32, v18
	v_subrev_u32_e32 v23, 28, v18
	v_lshlrev_b64 v[50:51], v23, v[16:17]
	v_lshrrev_b32_e32 v7, 3, v22
	v_sub_u32_e32 v18, 29, v18
	v_and_b32_e32 v23, 7, v50
	v_cmp_gt_u32_e32 vcc, 8, v22
	v_cndmask_b32_e32 v7, v7, v18, vcc
	v_cndmask_b32_e32 v6, v6, v23, vcc
	v_lshlrev_b32_e32 v16, 24, v16
	v_lshlrev_b32_e32 v6, 20, v6
	v_and_b32_e32 v16, 0x80000000, v16
	v_lshl_add_u32 v7, v7, 23, v31
	v_or3_b32 v18, v16, v7, v6
.LBB6_4338:                             ;   in Loop: Header=BB6_3902 Depth=3
	s_or_b64 exec, exec, s[66:67]
.LBB6_4339:                             ;   in Loop: Header=BB6_3902 Depth=3
	s_or_b64 exec, exec, s[64:65]
.LBB6_4340:                             ;   in Loop: Header=BB6_3902 Depth=3
	s_or_b64 exec, exec, s[28:29]
	v_lshrrev_b32_e32 v16, 16, v8
	v_cmp_ne_u16_sdwa vcc, v16, v27 src0_sel:BYTE_0 src1_sel:DWORD
	s_and_saveexec_b64 s[28:29], vcc
	s_cbranch_execz .LBB6_4346
; %bb.4341:                             ;   in Loop: Header=BB6_3902 Depth=3
	v_cmp_ne_u16_sdwa vcc, v16, s91 src0_sel:BYTE_0 src1_sel:DWORD
	v_bfrev_b32_e32 v17, 1
	s_and_saveexec_b64 s[64:65], vcc
	s_cbranch_execz .LBB6_4345
; %bb.4342:                             ;   in Loop: Header=BB6_3902 Depth=3
	v_bfe_u32 v22, v8, 16, 7
	v_cmp_ne_u32_e32 vcc, s92, v22
	v_mov_b32_e32 v17, 0x7f800001
	s_and_saveexec_b64 s[66:67], vcc
	s_cbranch_execz .LBB6_4344
; %bb.4343:                             ;   in Loop: Header=BB6_3902 Depth=3
	v_and_b32_e32 v6, 7, v16
	v_ffbh_u32_e32 v17, v6
	v_min_u32_e32 v23, 32, v17
	v_subrev_u32_e32 v17, 28, v23
	v_lshlrev_b64 v[16:17], v17, v[16:17]
	v_lshrrev_b32_e32 v7, 3, v22
	v_sub_u32_e32 v17, 29, v23
	v_and_b32_e32 v16, 7, v16
	v_cmp_gt_u32_e32 vcc, 8, v22
	v_cndmask_b32_e32 v7, v7, v17, vcc
	v_cndmask_b32_e32 v6, v6, v16, vcc
	v_lshlrev_b32_e32 v16, 8, v8
	v_lshlrev_b32_e32 v6, 20, v6
	v_and_b32_e32 v16, 0x80000000, v16
	v_lshl_add_u32 v7, v7, 23, v31
	v_or3_b32 v17, v16, v7, v6
.LBB6_4344:                             ;   in Loop: Header=BB6_3902 Depth=3
	s_or_b64 exec, exec, s[66:67]
.LBB6_4345:                             ;   in Loop: Header=BB6_3902 Depth=3
	s_or_b64 exec, exec, s[64:65]
.LBB6_4346:                             ;   in Loop: Header=BB6_3902 Depth=3
	s_or_b64 exec, exec, s[28:29]
	v_add_f32_e32 v16, v18, v17
	v_and_b32_sdwa v18, v16, s91 dst_sel:DWORD dst_unused:UNUSED_PAD src0_sel:BYTE_3 src1_sel:DWORD
	v_and_b32_e32 v50, 0x7f800000, v16
	v_mov_b32_e32 v51, v27
	v_and_b32_e32 v26, 0x7fffff, v16
	v_or_b32_e32 v22, 0x7e, v18
	v_cmp_ne_u64_e32 vcc, s[52:53], v[50:51]
	s_and_saveexec_b64 s[28:29], vcc
	s_xor_b64 s[64:65], exec, s[28:29]
	s_cbranch_execz .LBB6_4356
; %bb.4347:                             ;   in Loop: Header=BB6_3902 Depth=3
	v_and_b32_e32 v50, 0x7fffffff, v16
	v_mov_b32_e32 v51, v27
	v_cmp_gt_u64_e32 vcc, s[54:55], v[50:51]
	s_and_saveexec_b64 s[66:67], vcc
	s_cbranch_execz .LBB6_4355
; %bb.4348:                             ;   in Loop: Header=BB6_3902 Depth=3
	v_cmp_ne_u32_e32 vcc, 0, v16
	v_mov_b32_e32 v22, 0
	s_and_saveexec_b64 s[68:69], vcc
	s_cbranch_execz .LBB6_4354
; %bb.4349:                             ;   in Loop: Header=BB6_3902 Depth=3
	v_bfe_u32 v6, v16, 23, 8
	v_sub_u32_e32 v16, 0x79, v6
	v_cmp_gt_u32_e32 vcc, s93, v6
	v_add_u32_e32 v7, 0xffffff81, v6
	v_cndmask_b32_e32 v16, 0, v16, vcc
	v_cmp_eq_u32_e32 vcc, 0, v6
	v_mov_b32_e32 v0, 0xffffff82
	v_cndmask_b32_e32 v6, v7, v0, vcc
	v_mov_b32_e32 v0, 0x78
	v_or_b32_e32 v17, 0x800000, v26
	v_cndmask_b32_e32 v7, v16, v0, vcc
	v_cndmask_b32_e32 v26, v17, v26, vcc
	v_add_u32_e32 v16, 20, v7
	v_lshlrev_b64 v[16:17], v16, -1
	v_add_u32_e32 v22, 19, v7
	v_lshrrev_b64 v[42:43], v7, v[26:27]
	v_not_b32_e32 v17, v17
	v_not_b32_e32 v16, v16
	v_lshlrev_b64 v[50:51], v22, 1
	v_lshrrev_b32_e32 v22, 23, v42
	v_and_b32_e32 v17, 0, v17
	v_and_b32_e32 v16, v26, v16
	v_add3_u32 v26, v7, v6, v22
	v_bfe_u32 v6, v42, 20, 1
	v_add_u32_e32 v6, -1, v6
	v_cmp_eq_u64_e32 vcc, v[16:17], v[50:51]
	v_cndmask_b32_e32 v6, 0, v6, vcc
	v_add_u32_e32 v6, v6, v42
	v_and_b32_e32 v6, 0xfffff, v6
	v_add_co_u32_e32 v16, vcc, v6, v42
	v_add_u32_e32 v23, 6, v26
	v_addc_co_u32_e32 v17, vcc, 0, v43, vcc
	v_cmp_ne_u32_e32 vcc, 0, v23
                                        ; implicit-def: $vgpr22
	s_and_saveexec_b64 s[28:29], vcc
	s_xor_b64 s[28:29], exec, s[28:29]
; %bb.4350:                             ;   in Loop: Header=BB6_3902 Depth=3
	v_add_u32_e32 v6, 7, v26
	v_cmp_lt_u64_e32 vcc, s[56:57], v[16:17]
	v_cndmask_b32_e32 v22, v23, v6, vcc
	v_cndmask_b32_e64 v6, 0, 1, vcc
	v_lshrrev_b64 v[16:17], v6, v[16:17]
; %bb.4351:                             ;   in Loop: Header=BB6_3902 Depth=3
	s_andn2_saveexec_b64 s[28:29], s[28:29]
; %bb.4352:                             ;   in Loop: Header=BB6_3902 Depth=3
	v_bfe_u32 v22, v16, 23, 1
; %bb.4353:                             ;   in Loop: Header=BB6_3902 Depth=3
	s_or_b64 exec, exec, s[28:29]
	v_lshrrev_b64 v[16:17], 20, v[16:17]
	v_cmp_gt_i32_e32 vcc, 16, v22
	v_cndmask_b32_e32 v17, 0, v17, vcc
	v_cndmask_b32_e32 v16, 7, v16, vcc
	v_min_i32_e32 v6, 15, v22
	v_cmp_eq_u32_e32 vcc, 0, v22
	v_cmp_eq_u64_e64 s[28:29], 0, v[16:17]
	v_lshlrev_b32_e32 v6, 3, v6
	v_and_or_b32 v6, v16, 7, v6
	s_and_b64 s[28:29], vcc, s[28:29]
	v_cndmask_b32_e64 v6, v6, 0, s[28:29]
	v_or_b32_e32 v22, v6, v18
.LBB6_4354:                             ;   in Loop: Header=BB6_3902 Depth=3
	s_or_b64 exec, exec, s[68:69]
.LBB6_4355:                             ;   in Loop: Header=BB6_3902 Depth=3
	s_or_b64 exec, exec, s[66:67]
                                        ; implicit-def: $vgpr16
.LBB6_4356:                             ;   in Loop: Header=BB6_3902 Depth=3
	s_andn2_saveexec_b64 s[28:29], s[64:65]
; %bb.4357:                             ;   in Loop: Header=BB6_3902 Depth=3
	v_or_b32_sdwa v6, v16, s92 dst_sel:DWORD dst_unused:UNUSED_PAD src0_sel:BYTE_3 src1_sel:DWORD
	v_cmp_eq_u64_e32 vcc, 0, v[26:27]
	v_cndmask_b32_e32 v22, v6, v22, vcc
; %bb.4358:                             ;   in Loop: Header=BB6_3902 Depth=3
	s_or_b64 exec, exec, s[28:29]
	v_cmp_lt_u32_e32 vcc, s43, v12
	v_mov_b32_e32 v17, 0
	v_mov_b32_e32 v18, 0
	s_and_saveexec_b64 s[28:29], vcc
	s_cbranch_execz .LBB6_4364
; %bb.4359:                             ;   in Loop: Header=BB6_3902 Depth=3
	v_lshrrev_b32_e32 v16, 24, v12
	v_cmp_ne_u32_e32 vcc, s91, v16
	v_bfrev_b32_e32 v18, 1
	s_and_saveexec_b64 s[64:65], vcc
	s_cbranch_execz .LBB6_4363
; %bb.4360:                             ;   in Loop: Header=BB6_3902 Depth=3
	v_bfe_u32 v23, v12, 24, 7
	v_cmp_ne_u32_e32 vcc, s92, v23
	v_mov_b32_e32 v18, 0x7f800001
	s_and_saveexec_b64 s[66:67], vcc
	s_cbranch_execz .LBB6_4362
; %bb.4361:                             ;   in Loop: Header=BB6_3902 Depth=3
	v_and_b32_e32 v6, 7, v16
	v_ffbh_u32_e32 v18, v6
	v_min_u32_e32 v18, 32, v18
	v_subrev_u32_e32 v26, 28, v18
	v_lshlrev_b64 v[50:51], v26, v[16:17]
	v_lshrrev_b32_e32 v7, 3, v23
	v_sub_u32_e32 v18, 29, v18
	v_and_b32_e32 v26, 7, v50
	v_cmp_gt_u32_e32 vcc, 8, v23
	v_cndmask_b32_e32 v7, v7, v18, vcc
	v_cndmask_b32_e32 v6, v6, v26, vcc
	v_lshlrev_b32_e32 v16, 24, v16
	v_lshlrev_b32_e32 v6, 20, v6
	v_and_b32_e32 v16, 0x80000000, v16
	v_lshl_add_u32 v7, v7, 23, v31
	v_or3_b32 v18, v16, v7, v6
.LBB6_4362:                             ;   in Loop: Header=BB6_3902 Depth=3
	s_or_b64 exec, exec, s[66:67]
.LBB6_4363:                             ;   in Loop: Header=BB6_3902 Depth=3
	s_or_b64 exec, exec, s[64:65]
.LBB6_4364:                             ;   in Loop: Header=BB6_3902 Depth=3
	s_or_b64 exec, exec, s[28:29]
	v_cmp_lt_u32_e32 vcc, s43, v8
	s_and_saveexec_b64 s[28:29], vcc
	s_cbranch_execz .LBB6_4370
; %bb.4365:                             ;   in Loop: Header=BB6_3902 Depth=3
	v_lshrrev_b32_e32 v16, 24, v8
	v_cmp_ne_u32_e32 vcc, s91, v16
	v_bfrev_b32_e32 v17, 1
	s_and_saveexec_b64 s[64:65], vcc
	s_cbranch_execz .LBB6_4369
; %bb.4366:                             ;   in Loop: Header=BB6_3902 Depth=3
	v_bfe_u32 v23, v8, 24, 7
	v_cmp_ne_u32_e32 vcc, s92, v23
	v_mov_b32_e32 v17, 0x7f800001
	s_and_saveexec_b64 s[66:67], vcc
	s_cbranch_execz .LBB6_4368
; %bb.4367:                             ;   in Loop: Header=BB6_3902 Depth=3
	v_and_b32_e32 v6, 7, v16
	v_ffbh_u32_e32 v17, v6
	v_min_u32_e32 v17, 32, v17
	v_subrev_u32_e32 v26, 28, v17
	v_lshlrev_b64 v[50:51], v26, v[16:17]
	v_lshrrev_b32_e32 v7, 3, v23
	v_sub_u32_e32 v17, 29, v17
	v_and_b32_e32 v26, 7, v50
	v_cmp_gt_u32_e32 vcc, 8, v23
	v_cndmask_b32_e32 v7, v7, v17, vcc
	v_cndmask_b32_e32 v6, v6, v26, vcc
	v_lshlrev_b32_e32 v16, 24, v16
	v_lshlrev_b32_e32 v6, 20, v6
	v_and_b32_e32 v16, 0x80000000, v16
	v_lshl_add_u32 v7, v7, 23, v31
	v_or3_b32 v17, v16, v7, v6
.LBB6_4368:                             ;   in Loop: Header=BB6_3902 Depth=3
	s_or_b64 exec, exec, s[66:67]
.LBB6_4369:                             ;   in Loop: Header=BB6_3902 Depth=3
	s_or_b64 exec, exec, s[64:65]
.LBB6_4370:                             ;   in Loop: Header=BB6_3902 Depth=3
	s_or_b64 exec, exec, s[28:29]
	v_add_f32_e32 v16, v18, v17
	v_and_b32_sdwa v18, v16, s91 dst_sel:DWORD dst_unused:UNUSED_PAD src0_sel:BYTE_3 src1_sel:DWORD
	v_and_b32_e32 v50, 0x7f800000, v16
	v_mov_b32_e32 v51, v27
	v_and_b32_e32 v26, 0x7fffff, v16
	v_or_b32_e32 v23, 0x7e, v18
	v_cmp_ne_u64_e32 vcc, s[52:53], v[50:51]
	s_and_saveexec_b64 s[28:29], vcc
	s_xor_b64 s[64:65], exec, s[28:29]
	s_cbranch_execz .LBB6_4380
; %bb.4371:                             ;   in Loop: Header=BB6_3902 Depth=3
	v_and_b32_e32 v50, 0x7fffffff, v16
	v_mov_b32_e32 v51, v27
	v_cmp_gt_u64_e32 vcc, s[54:55], v[50:51]
	s_and_saveexec_b64 s[66:67], vcc
	s_cbranch_execz .LBB6_4379
; %bb.4372:                             ;   in Loop: Header=BB6_3902 Depth=3
	v_cmp_ne_u32_e32 vcc, 0, v16
	v_mov_b32_e32 v23, 0
	s_and_saveexec_b64 s[68:69], vcc
	s_cbranch_execz .LBB6_4378
; %bb.4373:                             ;   in Loop: Header=BB6_3902 Depth=3
	v_bfe_u32 v6, v16, 23, 8
	v_sub_u32_e32 v16, 0x79, v6
	v_cmp_gt_u32_e32 vcc, s93, v6
	v_add_u32_e32 v7, 0xffffff81, v6
	v_cndmask_b32_e32 v16, 0, v16, vcc
	v_cmp_eq_u32_e32 vcc, 0, v6
	v_mov_b32_e32 v0, 0xffffff82
	v_cndmask_b32_e32 v6, v7, v0, vcc
	v_mov_b32_e32 v0, 0x78
	v_or_b32_e32 v17, 0x800000, v26
	v_cndmask_b32_e32 v7, v16, v0, vcc
	v_cndmask_b32_e32 v26, v17, v26, vcc
	v_add_u32_e32 v16, 20, v7
	v_lshlrev_b64 v[16:17], v16, -1
	v_add_u32_e32 v23, 19, v7
	v_lshrrev_b64 v[42:43], v7, v[26:27]
	v_not_b32_e32 v17, v17
	v_not_b32_e32 v16, v16
	v_lshlrev_b64 v[50:51], v23, 1
	v_lshrrev_b32_e32 v23, 23, v42
	v_and_b32_e32 v17, 0, v17
	v_and_b32_e32 v16, v26, v16
	v_add3_u32 v29, v7, v6, v23
	v_bfe_u32 v6, v42, 20, 1
	v_add_u32_e32 v6, -1, v6
	v_cmp_eq_u64_e32 vcc, v[16:17], v[50:51]
	v_cndmask_b32_e32 v6, 0, v6, vcc
	v_add_u32_e32 v6, v6, v42
	v_and_b32_e32 v6, 0xfffff, v6
	v_add_co_u32_e32 v16, vcc, v6, v42
	v_add_u32_e32 v26, 6, v29
	v_addc_co_u32_e32 v17, vcc, 0, v43, vcc
	v_cmp_ne_u32_e32 vcc, 0, v26
                                        ; implicit-def: $vgpr23
	s_and_saveexec_b64 s[28:29], vcc
	s_xor_b64 s[28:29], exec, s[28:29]
; %bb.4374:                             ;   in Loop: Header=BB6_3902 Depth=3
	v_add_u32_e32 v6, 7, v29
	v_cmp_lt_u64_e32 vcc, s[56:57], v[16:17]
	v_cndmask_b32_e32 v23, v26, v6, vcc
	v_cndmask_b32_e64 v6, 0, 1, vcc
	v_lshrrev_b64 v[16:17], v6, v[16:17]
; %bb.4375:                             ;   in Loop: Header=BB6_3902 Depth=3
	s_andn2_saveexec_b64 s[28:29], s[28:29]
; %bb.4376:                             ;   in Loop: Header=BB6_3902 Depth=3
	v_bfe_u32 v23, v16, 23, 1
; %bb.4377:                             ;   in Loop: Header=BB6_3902 Depth=3
	s_or_b64 exec, exec, s[28:29]
	v_lshrrev_b64 v[16:17], 20, v[16:17]
	v_cmp_gt_i32_e32 vcc, 16, v23
	v_cndmask_b32_e32 v17, 0, v17, vcc
	v_cndmask_b32_e32 v16, 7, v16, vcc
	v_min_i32_e32 v6, 15, v23
	v_cmp_eq_u32_e32 vcc, 0, v23
	v_cmp_eq_u64_e64 s[28:29], 0, v[16:17]
	v_lshlrev_b32_e32 v6, 3, v6
	v_and_or_b32 v6, v16, 7, v6
	s_and_b64 s[28:29], vcc, s[28:29]
	v_cndmask_b32_e64 v6, v6, 0, s[28:29]
	v_or_b32_e32 v23, v6, v18
.LBB6_4378:                             ;   in Loop: Header=BB6_3902 Depth=3
	s_or_b64 exec, exec, s[68:69]
.LBB6_4379:                             ;   in Loop: Header=BB6_3902 Depth=3
	s_or_b64 exec, exec, s[66:67]
                                        ; implicit-def: $vgpr16
.LBB6_4380:                             ;   in Loop: Header=BB6_3902 Depth=3
	s_andn2_saveexec_b64 s[28:29], s[64:65]
; %bb.4381:                             ;   in Loop: Header=BB6_3902 Depth=3
	v_or_b32_sdwa v6, v16, s92 dst_sel:DWORD dst_unused:UNUSED_PAD src0_sel:BYTE_3 src1_sel:DWORD
	v_cmp_eq_u64_e32 vcc, 0, v[26:27]
	v_cndmask_b32_e32 v23, v6, v23, vcc
; %bb.4382:                             ;   in Loop: Header=BB6_3902 Depth=3
	s_or_b64 exec, exec, s[28:29]
	v_mov_b32_e32 v26, v13
	v_cmp_ne_u16_sdwa vcc, v13, v27 src0_sel:BYTE_0 src1_sel:DWORD
	v_mov_b32_e32 v17, 0
	v_mov_b32_e32 v16, 0
	s_and_saveexec_b64 s[28:29], vcc
	s_cbranch_execz .LBB6_4388
; %bb.4383:                             ;   in Loop: Header=BB6_3902 Depth=3
	v_cmp_ne_u16_sdwa vcc, v13, s91 src0_sel:BYTE_0 src1_sel:DWORD
	v_bfrev_b32_e32 v16, 1
	s_and_saveexec_b64 s[64:65], vcc
	s_cbranch_execz .LBB6_4387
; %bb.4384:                             ;   in Loop: Header=BB6_3902 Depth=3
	v_and_b32_e32 v18, 0x7f, v13
	v_cmp_ne_u32_e32 vcc, s92, v18
	v_mov_b32_e32 v16, 0x7f800001
	s_and_saveexec_b64 s[66:67], vcc
	s_cbranch_execz .LBB6_4386
; %bb.4385:                             ;   in Loop: Header=BB6_3902 Depth=3
	v_and_b32_e32 v6, 7, v13
	v_ffbh_u32_e32 v6, v6
	v_min_u32_e32 v6, 32, v6
	v_lshrrev_b32_e32 v7, 3, v18
	v_subrev_u32_e32 v16, 28, v6
	v_sub_u32_e32 v6, 29, v6
	v_cmp_gt_u32_e32 vcc, 8, v18
	v_cndmask_b32_e32 v6, v7, v6, vcc
	v_cndmask_b32_e32 v7, 0, v16, vcc
	v_lshlrev_b64 v[50:51], v7, v[26:27]
	v_lshlrev_b32_e32 v7, 20, v50
	v_lshlrev_b32_e32 v16, 24, v26
	v_and_b32_e32 v7, 0x700000, v7
	v_and_b32_e32 v16, 0x80000000, v16
	v_lshl_add_u32 v6, v6, 23, v31
	v_or3_b32 v16, v16, v6, v7
.LBB6_4386:                             ;   in Loop: Header=BB6_3902 Depth=3
	s_or_b64 exec, exec, s[66:67]
.LBB6_4387:                             ;   in Loop: Header=BB6_3902 Depth=3
	s_or_b64 exec, exec, s[64:65]
.LBB6_4388:                             ;   in Loop: Header=BB6_3902 Depth=3
	s_or_b64 exec, exec, s[28:29]
	v_cmp_ne_u16_sdwa vcc, v9, v27 src0_sel:BYTE_0 src1_sel:DWORD
	s_and_saveexec_b64 s[28:29], vcc
	s_cbranch_execz .LBB6_4394
; %bb.4389:                             ;   in Loop: Header=BB6_3902 Depth=3
	v_cmp_ne_u16_sdwa vcc, v9, s91 src0_sel:BYTE_0 src1_sel:DWORD
	v_bfrev_b32_e32 v17, 1
	s_and_saveexec_b64 s[64:65], vcc
	s_cbranch_execz .LBB6_4393
; %bb.4390:                             ;   in Loop: Header=BB6_3902 Depth=3
	v_and_b32_e32 v18, 0x7f, v9
	v_cmp_ne_u32_e32 vcc, s92, v18
	v_mov_b32_e32 v17, 0x7f800001
	s_and_saveexec_b64 s[66:67], vcc
	s_cbranch_execz .LBB6_4392
; %bb.4391:                             ;   in Loop: Header=BB6_3902 Depth=3
	v_and_b32_e32 v6, 7, v9
	v_ffbh_u32_e32 v6, v6
	v_min_u32_e32 v6, 32, v6
	v_lshrrev_b32_e32 v7, 3, v18
	v_subrev_u32_e32 v17, 28, v6
	v_sub_u32_e32 v6, 29, v6
	v_cmp_gt_u32_e32 vcc, 8, v18
	v_mov_b32_e32 v50, v9
	v_mov_b32_e32 v51, v27
	v_cndmask_b32_e32 v6, v7, v6, vcc
	v_cndmask_b32_e32 v7, 0, v17, vcc
	v_lshlrev_b64 v[42:43], v7, v[50:51]
	v_lshlrev_b32_e32 v7, 20, v42
	v_lshlrev_b32_e32 v17, 24, v50
	v_and_b32_e32 v7, 0x700000, v7
	v_and_b32_e32 v17, 0x80000000, v17
	v_lshl_add_u32 v6, v6, 23, v31
	v_or3_b32 v17, v17, v6, v7
.LBB6_4392:                             ;   in Loop: Header=BB6_3902 Depth=3
	s_or_b64 exec, exec, s[66:67]
.LBB6_4393:                             ;   in Loop: Header=BB6_3902 Depth=3
	s_or_b64 exec, exec, s[64:65]
.LBB6_4394:                             ;   in Loop: Header=BB6_3902 Depth=3
	s_or_b64 exec, exec, s[28:29]
	v_add_f32_e32 v29, v16, v17
	v_and_b32_sdwa v18, v29, s91 dst_sel:DWORD dst_unused:UNUSED_PAD src0_sel:BYTE_3 src1_sel:DWORD
	v_and_b32_e32 v50, 0x7f800000, v29
	v_mov_b32_e32 v51, v27
	v_and_b32_e32 v16, 0x7fffff, v29
	v_mov_b32_e32 v17, v27
	v_or_b32_e32 v44, 0x7e, v18
	v_cmp_ne_u64_e32 vcc, s[52:53], v[50:51]
	s_and_saveexec_b64 s[28:29], vcc
	s_xor_b64 s[64:65], exec, s[28:29]
	s_cbranch_execz .LBB6_4404
; %bb.4395:                             ;   in Loop: Header=BB6_3902 Depth=3
	v_and_b32_e32 v50, 0x7fffffff, v29
	v_mov_b32_e32 v51, v27
	v_cmp_gt_u64_e32 vcc, s[54:55], v[50:51]
	s_and_saveexec_b64 s[66:67], vcc
	s_cbranch_execz .LBB6_4403
; %bb.4396:                             ;   in Loop: Header=BB6_3902 Depth=3
	v_cmp_ne_u32_e32 vcc, 0, v29
	v_mov_b32_e32 v44, 0
	s_and_saveexec_b64 s[68:69], vcc
	s_cbranch_execz .LBB6_4402
; %bb.4397:                             ;   in Loop: Header=BB6_3902 Depth=3
	v_bfe_u32 v6, v29, 23, 8
	v_sub_u32_e32 v29, 0x79, v6
	v_cmp_gt_u32_e32 vcc, s93, v6
	v_add_u32_e32 v7, 0xffffff81, v6
	v_cndmask_b32_e32 v29, 0, v29, vcc
	v_cmp_eq_u32_e32 vcc, 0, v6
	v_mov_b32_e32 v0, 0xffffff82
	v_cndmask_b32_e32 v6, v7, v0, vcc
	v_mov_b32_e32 v0, 0x78
	v_cndmask_b32_e32 v7, v29, v0, vcc
	v_add_u32_e32 v29, 20, v7
	v_or_b32_e32 v32, 0x800000, v16
	v_lshlrev_b64 v[50:51], v29, -1
	v_cndmask_b32_e32 v16, v32, v16, vcc
	v_not_b32_e32 v29, v51
	v_not_b32_e32 v32, v50
	v_and_b32_e32 v43, 0, v29
	v_and_b32_e32 v42, v16, v32
	v_add_u32_e32 v29, 19, v7
	v_lshrrev_b64 v[16:17], v7, v[16:17]
	v_mov_b32_e32 v33, v45
	v_lshlrev_b64 v[44:45], v29, 1
	v_lshrrev_b32_e32 v29, 23, v16
	v_add3_u32 v51, v7, v6, v29
	v_bfe_u32 v6, v16, 20, 1
	v_add_u32_e32 v6, -1, v6
	v_cmp_eq_u64_e32 vcc, v[42:43], v[44:45]
	v_cndmask_b32_e32 v6, 0, v6, vcc
	v_add_u32_e32 v6, v6, v16
	v_and_b32_e32 v6, 0xfffff, v6
	v_add_co_u32_e32 v16, vcc, v6, v16
	v_add_u32_e32 v50, 6, v51
	v_addc_co_u32_e32 v17, vcc, 0, v17, vcc
	v_cmp_ne_u32_e32 vcc, 0, v50
                                        ; implicit-def: $vgpr29
	s_and_saveexec_b64 s[28:29], vcc
	s_xor_b64 s[28:29], exec, s[28:29]
; %bb.4398:                             ;   in Loop: Header=BB6_3902 Depth=3
	v_add_u32_e32 v6, 7, v51
	v_cmp_lt_u64_e32 vcc, s[56:57], v[16:17]
	v_cndmask_b32_e32 v29, v50, v6, vcc
	v_cndmask_b32_e64 v6, 0, 1, vcc
	v_lshrrev_b64 v[16:17], v6, v[16:17]
; %bb.4399:                             ;   in Loop: Header=BB6_3902 Depth=3
	s_andn2_saveexec_b64 s[28:29], s[28:29]
; %bb.4400:                             ;   in Loop: Header=BB6_3902 Depth=3
	v_bfe_u32 v29, v16, 23, 1
; %bb.4401:                             ;   in Loop: Header=BB6_3902 Depth=3
	s_or_b64 exec, exec, s[28:29]
	v_lshrrev_b64 v[16:17], 20, v[16:17]
	v_cmp_gt_i32_e32 vcc, 16, v29
	v_cndmask_b32_e32 v17, 0, v17, vcc
	v_cndmask_b32_e32 v16, 7, v16, vcc
	v_min_i32_e32 v6, 15, v29
	v_cmp_eq_u32_e32 vcc, 0, v29
	v_cmp_eq_u64_e64 s[28:29], 0, v[16:17]
	v_lshlrev_b32_e32 v6, 3, v6
	v_and_or_b32 v6, v16, 7, v6
	s_and_b64 s[28:29], vcc, s[28:29]
	v_cndmask_b32_e64 v6, v6, 0, s[28:29]
	v_or_b32_e32 v44, v6, v18
	v_mov_b32_e32 v45, v33
.LBB6_4402:                             ;   in Loop: Header=BB6_3902 Depth=3
	s_or_b64 exec, exec, s[68:69]
.LBB6_4403:                             ;   in Loop: Header=BB6_3902 Depth=3
	s_or_b64 exec, exec, s[66:67]
                                        ; implicit-def: $vgpr29
                                        ; implicit-def: $vgpr16_vgpr17
.LBB6_4404:                             ;   in Loop: Header=BB6_3902 Depth=3
	s_andn2_saveexec_b64 s[28:29], s[64:65]
; %bb.4405:                             ;   in Loop: Header=BB6_3902 Depth=3
	v_or_b32_sdwa v6, v29, s92 dst_sel:DWORD dst_unused:UNUSED_PAD src0_sel:BYTE_3 src1_sel:DWORD
	v_cmp_eq_u64_e32 vcc, 0, v[16:17]
	v_cndmask_b32_e32 v44, v6, v44, vcc
; %bb.4406:                             ;   in Loop: Header=BB6_3902 Depth=3
	s_or_b64 exec, exec, s[28:29]
	v_lshrrev_b16_e32 v16, 8, v26
	v_cmp_ne_u16_e32 vcc, 0, v16
	v_mov_b32_e32 v17, 0
	v_mov_b32_e32 v29, 0
	s_and_saveexec_b64 s[28:29], vcc
	s_cbranch_execz .LBB6_4412
; %bb.4407:                             ;   in Loop: Header=BB6_3902 Depth=3
	v_cmp_ne_u16_e32 vcc, s91, v16
	v_bfrev_b32_e32 v29, 1
	s_and_saveexec_b64 s[64:65], vcc
	s_cbranch_execz .LBB6_4411
; %bb.4408:                             ;   in Loop: Header=BB6_3902 Depth=3
	v_and_b32_e32 v18, 0x7f, v16
	v_cmp_ne_u32_e32 vcc, s92, v18
	v_mov_b32_e32 v29, 0x7f800001
	s_and_saveexec_b64 s[66:67], vcc
	s_cbranch_execz .LBB6_4410
; %bb.4409:                             ;   in Loop: Header=BB6_3902 Depth=3
	v_and_b32_e32 v6, 7, v16
	v_ffbh_u32_e32 v29, v6
	v_min_u32_e32 v29, 32, v29
	v_subrev_u32_e32 v32, 28, v29
	v_lshlrev_b64 v[50:51], v32, v[16:17]
	v_lshrrev_b32_e32 v7, 3, v18
	v_sub_u32_e32 v16, 29, v29
	v_and_b32_e32 v29, 7, v50
	v_cmp_gt_u32_e32 vcc, 8, v18
	v_cndmask_b32_e32 v7, v7, v16, vcc
	v_cndmask_b32_e32 v6, v6, v29, vcc
	v_lshlrev_b32_e32 v16, 16, v26
	v_lshlrev_b32_e32 v6, 20, v6
	v_and_b32_e32 v16, 0x80000000, v16
	v_lshl_add_u32 v7, v7, 23, v31
	v_or3_b32 v29, v16, v7, v6
.LBB6_4410:                             ;   in Loop: Header=BB6_3902 Depth=3
	s_or_b64 exec, exec, s[66:67]
.LBB6_4411:                             ;   in Loop: Header=BB6_3902 Depth=3
	s_or_b64 exec, exec, s[64:65]
.LBB6_4412:                             ;   in Loop: Header=BB6_3902 Depth=3
	s_or_b64 exec, exec, s[28:29]
	v_mov_b32_e32 v16, v9
	v_lshrrev_b16_e32 v18, 8, v16
	v_cmp_ne_u16_e32 vcc, 0, v18
	s_and_saveexec_b64 s[28:29], vcc
	s_cbranch_execz .LBB6_4418
; %bb.4413:                             ;   in Loop: Header=BB6_3902 Depth=3
	v_cmp_ne_u16_e32 vcc, s91, v18
	v_bfrev_b32_e32 v17, 1
	s_and_saveexec_b64 s[64:65], vcc
	s_cbranch_execz .LBB6_4417
; %bb.4414:                             ;   in Loop: Header=BB6_3902 Depth=3
	v_and_b32_e32 v26, 0x7f, v18
	v_cmp_ne_u32_e32 vcc, s92, v26
	v_mov_b32_e32 v17, 0x7f800001
	s_and_saveexec_b64 s[66:67], vcc
	s_cbranch_execz .LBB6_4416
; %bb.4415:                             ;   in Loop: Header=BB6_3902 Depth=3
	v_and_b32_e32 v6, 7, v18
	v_ffbh_u32_e32 v17, v6
	v_min_u32_e32 v17, 32, v17
	v_subrev_u32_e32 v32, 28, v17
	v_lshlrev_b64 v[50:51], v32, v[18:19]
	v_lshrrev_b32_e32 v7, 3, v26
	v_sub_u32_e32 v17, 29, v17
	v_and_b32_e32 v18, 7, v50
	v_cmp_gt_u32_e32 vcc, 8, v26
	v_cndmask_b32_e32 v7, v7, v17, vcc
	v_cndmask_b32_e32 v6, v6, v18, vcc
	v_lshlrev_b32_e32 v16, 16, v16
	v_lshlrev_b32_e32 v6, 20, v6
	v_and_b32_e32 v16, 0x80000000, v16
	v_lshl_add_u32 v7, v7, 23, v31
	v_or3_b32 v17, v16, v7, v6
.LBB6_4416:                             ;   in Loop: Header=BB6_3902 Depth=3
	s_or_b64 exec, exec, s[66:67]
.LBB6_4417:                             ;   in Loop: Header=BB6_3902 Depth=3
	s_or_b64 exec, exec, s[64:65]
.LBB6_4418:                             ;   in Loop: Header=BB6_3902 Depth=3
	s_or_b64 exec, exec, s[28:29]
	v_add_f32_e32 v16, v29, v17
	v_and_b32_sdwa v29, v16, s91 dst_sel:DWORD dst_unused:UNUSED_PAD src0_sel:BYTE_3 src1_sel:DWORD
	v_and_b32_e32 v50, 0x7f800000, v16
	v_mov_b32_e32 v51, v27
	v_and_b32_e32 v26, 0x7fffff, v16
	v_or_b32_e32 v18, 0x7e, v29
	v_cmp_ne_u64_e32 vcc, s[52:53], v[50:51]
	s_and_saveexec_b64 s[28:29], vcc
	s_xor_b64 s[64:65], exec, s[28:29]
	s_cbranch_execz .LBB6_4428
; %bb.4419:                             ;   in Loop: Header=BB6_3902 Depth=3
	v_and_b32_e32 v50, 0x7fffffff, v16
	v_mov_b32_e32 v51, v27
	v_cmp_gt_u64_e32 vcc, s[54:55], v[50:51]
	s_and_saveexec_b64 s[66:67], vcc
	s_cbranch_execz .LBB6_4427
; %bb.4420:                             ;   in Loop: Header=BB6_3902 Depth=3
	v_cmp_ne_u32_e32 vcc, 0, v16
	v_mov_b32_e32 v18, 0
	s_and_saveexec_b64 s[68:69], vcc
	s_cbranch_execz .LBB6_4426
; %bb.4421:                             ;   in Loop: Header=BB6_3902 Depth=3
	v_bfe_u32 v6, v16, 23, 8
	v_sub_u32_e32 v16, 0x79, v6
	v_cmp_gt_u32_e32 vcc, s93, v6
	v_add_u32_e32 v7, 0xffffff81, v6
	v_cndmask_b32_e32 v16, 0, v16, vcc
	v_cmp_eq_u32_e32 vcc, 0, v6
	v_mov_b32_e32 v0, 0xffffff82
	v_cndmask_b32_e32 v6, v7, v0, vcc
	v_mov_b32_e32 v0, 0x78
	v_or_b32_e32 v17, 0x800000, v26
	v_cndmask_b32_e32 v7, v16, v0, vcc
	v_cndmask_b32_e32 v26, v17, v26, vcc
	v_add_u32_e32 v16, 20, v7
	v_lshlrev_b64 v[16:17], v16, -1
	v_add_u32_e32 v18, 19, v7
	v_lshrrev_b64 v[56:57], v7, v[26:27]
	v_not_b32_e32 v17, v17
	v_not_b32_e32 v16, v16
	v_lshlrev_b64 v[42:43], v18, 1
	v_lshrrev_b32_e32 v18, 23, v56
	v_and_b32_e32 v17, 0, v17
	v_and_b32_e32 v16, v26, v16
	v_add3_u32 v50, v7, v6, v18
	v_bfe_u32 v6, v56, 20, 1
	v_add_u32_e32 v6, -1, v6
	v_cmp_eq_u64_e32 vcc, v[16:17], v[42:43]
	v_cndmask_b32_e32 v6, 0, v6, vcc
	v_add_u32_e32 v6, v6, v56
	v_and_b32_e32 v6, 0xfffff, v6
	v_add_co_u32_e32 v16, vcc, v6, v56
	v_add_u32_e32 v26, 6, v50
	v_addc_co_u32_e32 v17, vcc, 0, v57, vcc
	v_cmp_ne_u32_e32 vcc, 0, v26
                                        ; implicit-def: $vgpr18
	s_and_saveexec_b64 s[28:29], vcc
	s_xor_b64 s[28:29], exec, s[28:29]
; %bb.4422:                             ;   in Loop: Header=BB6_3902 Depth=3
	v_add_u32_e32 v6, 7, v50
	v_cmp_lt_u64_e32 vcc, s[56:57], v[16:17]
	v_cndmask_b32_e32 v18, v26, v6, vcc
	v_cndmask_b32_e64 v6, 0, 1, vcc
	v_lshrrev_b64 v[16:17], v6, v[16:17]
; %bb.4423:                             ;   in Loop: Header=BB6_3902 Depth=3
	s_andn2_saveexec_b64 s[28:29], s[28:29]
; %bb.4424:                             ;   in Loop: Header=BB6_3902 Depth=3
	v_bfe_u32 v18, v16, 23, 1
; %bb.4425:                             ;   in Loop: Header=BB6_3902 Depth=3
	s_or_b64 exec, exec, s[28:29]
	v_lshrrev_b64 v[16:17], 20, v[16:17]
	v_cmp_gt_i32_e32 vcc, 16, v18
	v_cndmask_b32_e32 v17, 0, v17, vcc
	v_cndmask_b32_e32 v16, 7, v16, vcc
	v_min_i32_e32 v6, 15, v18
	v_cmp_eq_u32_e32 vcc, 0, v18
	v_cmp_eq_u64_e64 s[28:29], 0, v[16:17]
	v_lshlrev_b32_e32 v6, 3, v6
	v_and_or_b32 v6, v16, 7, v6
	s_and_b64 s[28:29], vcc, s[28:29]
	v_cndmask_b32_e64 v6, v6, 0, s[28:29]
	v_or_b32_e32 v18, v6, v29
.LBB6_4426:                             ;   in Loop: Header=BB6_3902 Depth=3
	s_or_b64 exec, exec, s[68:69]
.LBB6_4427:                             ;   in Loop: Header=BB6_3902 Depth=3
	s_or_b64 exec, exec, s[66:67]
                                        ; implicit-def: $vgpr16
.LBB6_4428:                             ;   in Loop: Header=BB6_3902 Depth=3
	s_andn2_saveexec_b64 s[28:29], s[64:65]
; %bb.4429:                             ;   in Loop: Header=BB6_3902 Depth=3
	v_or_b32_sdwa v6, v16, s92 dst_sel:DWORD dst_unused:UNUSED_PAD src0_sel:BYTE_3 src1_sel:DWORD
	v_cmp_eq_u64_e32 vcc, 0, v[26:27]
	v_cndmask_b32_e32 v18, v6, v18, vcc
; %bb.4430:                             ;   in Loop: Header=BB6_3902 Depth=3
	s_or_b64 exec, exec, s[28:29]
	v_lshrrev_b32_e32 v16, 16, v13
	v_cmp_ne_u16_sdwa vcc, v16, v27 src0_sel:BYTE_0 src1_sel:DWORD
	v_mov_b32_e32 v17, 0
	v_mov_b32_e32 v26, 0
	s_and_saveexec_b64 s[28:29], vcc
	s_cbranch_execz .LBB6_4436
; %bb.4431:                             ;   in Loop: Header=BB6_3902 Depth=3
	v_cmp_ne_u16_sdwa vcc, v16, s91 src0_sel:BYTE_0 src1_sel:DWORD
	v_bfrev_b32_e32 v26, 1
	s_and_saveexec_b64 s[64:65], vcc
	s_cbranch_execz .LBB6_4435
; %bb.4432:                             ;   in Loop: Header=BB6_3902 Depth=3
	v_bfe_u32 v29, v13, 16, 7
	v_cmp_ne_u32_e32 vcc, s92, v29
	v_mov_b32_e32 v26, 0x7f800001
	s_and_saveexec_b64 s[66:67], vcc
	s_cbranch_execz .LBB6_4434
; %bb.4433:                             ;   in Loop: Header=BB6_3902 Depth=3
	v_and_b32_e32 v6, 7, v16
	v_ffbh_u32_e32 v26, v6
	v_min_u32_e32 v26, 32, v26
	v_subrev_u32_e32 v32, 28, v26
	v_lshlrev_b64 v[50:51], v32, v[16:17]
	v_lshrrev_b32_e32 v7, 3, v29
	v_sub_u32_e32 v26, 29, v26
	v_and_b32_e32 v32, 7, v50
	v_cmp_gt_u32_e32 vcc, 8, v29
	v_cndmask_b32_e32 v7, v7, v26, vcc
	v_cndmask_b32_e32 v6, v6, v32, vcc
	v_lshlrev_b32_e32 v16, 24, v16
	v_lshlrev_b32_e32 v6, 20, v6
	v_and_b32_e32 v16, 0x80000000, v16
	v_lshl_add_u32 v7, v7, 23, v31
	v_or3_b32 v26, v16, v7, v6
.LBB6_4434:                             ;   in Loop: Header=BB6_3902 Depth=3
	s_or_b64 exec, exec, s[66:67]
.LBB6_4435:                             ;   in Loop: Header=BB6_3902 Depth=3
	s_or_b64 exec, exec, s[64:65]
.LBB6_4436:                             ;   in Loop: Header=BB6_3902 Depth=3
	s_or_b64 exec, exec, s[28:29]
	v_lshrrev_b32_e32 v16, 16, v9
	v_cmp_ne_u16_sdwa vcc, v16, v27 src0_sel:BYTE_0 src1_sel:DWORD
	s_and_saveexec_b64 s[28:29], vcc
	s_cbranch_execz .LBB6_4442
; %bb.4437:                             ;   in Loop: Header=BB6_3902 Depth=3
	v_cmp_ne_u16_sdwa vcc, v16, s91 src0_sel:BYTE_0 src1_sel:DWORD
	v_bfrev_b32_e32 v17, 1
	s_and_saveexec_b64 s[64:65], vcc
	s_cbranch_execz .LBB6_4441
; %bb.4438:                             ;   in Loop: Header=BB6_3902 Depth=3
	v_bfe_u32 v29, v9, 16, 7
	v_cmp_ne_u32_e32 vcc, s92, v29
	v_mov_b32_e32 v17, 0x7f800001
	s_and_saveexec_b64 s[66:67], vcc
	s_cbranch_execz .LBB6_4440
; %bb.4439:                             ;   in Loop: Header=BB6_3902 Depth=3
	v_and_b32_e32 v6, 7, v16
	v_ffbh_u32_e32 v17, v6
	v_min_u32_e32 v32, 32, v17
	v_subrev_u32_e32 v17, 28, v32
	v_lshlrev_b64 v[16:17], v17, v[16:17]
	v_lshrrev_b32_e32 v7, 3, v29
	v_sub_u32_e32 v17, 29, v32
	v_and_b32_e32 v16, 7, v16
	v_cmp_gt_u32_e32 vcc, 8, v29
	v_cndmask_b32_e32 v7, v7, v17, vcc
	v_cndmask_b32_e32 v6, v6, v16, vcc
	v_lshlrev_b32_e32 v16, 8, v9
	v_lshlrev_b32_e32 v6, 20, v6
	v_and_b32_e32 v16, 0x80000000, v16
	v_lshl_add_u32 v7, v7, 23, v31
	v_or3_b32 v17, v16, v7, v6
.LBB6_4440:                             ;   in Loop: Header=BB6_3902 Depth=3
	s_or_b64 exec, exec, s[66:67]
.LBB6_4441:                             ;   in Loop: Header=BB6_3902 Depth=3
	s_or_b64 exec, exec, s[64:65]
.LBB6_4442:                             ;   in Loop: Header=BB6_3902 Depth=3
	s_or_b64 exec, exec, s[28:29]
	v_add_f32_e32 v17, v26, v17
	v_and_b32_sdwa v29, v17, s91 dst_sel:DWORD dst_unused:UNUSED_PAD src0_sel:BYTE_3 src1_sel:DWORD
	v_and_b32_e32 v50, 0x7f800000, v17
	v_mov_b32_e32 v51, v27
	v_and_b32_e32 v26, 0x7fffff, v17
	v_or_b32_e32 v16, 0x7e, v29
	v_cmp_ne_u64_e32 vcc, s[52:53], v[50:51]
	s_and_saveexec_b64 s[28:29], vcc
	s_xor_b64 s[64:65], exec, s[28:29]
	s_cbranch_execz .LBB6_4452
; %bb.4443:                             ;   in Loop: Header=BB6_3902 Depth=3
	v_and_b32_e32 v50, 0x7fffffff, v17
	v_mov_b32_e32 v51, v27
	v_cmp_gt_u64_e32 vcc, s[54:55], v[50:51]
	s_and_saveexec_b64 s[66:67], vcc
	s_cbranch_execz .LBB6_4451
; %bb.4444:                             ;   in Loop: Header=BB6_3902 Depth=3
	v_cmp_ne_u32_e32 vcc, 0, v17
	v_mov_b32_e32 v16, 0
	s_and_saveexec_b64 s[68:69], vcc
	s_cbranch_execz .LBB6_4450
; %bb.4445:                             ;   in Loop: Header=BB6_3902 Depth=3
	v_bfe_u32 v6, v17, 23, 8
	v_sub_u32_e32 v16, 0x79, v6
	v_cmp_gt_u32_e32 vcc, s93, v6
	v_add_u32_e32 v7, 0xffffff81, v6
	v_cndmask_b32_e32 v16, 0, v16, vcc
	v_cmp_eq_u32_e32 vcc, 0, v6
	v_mov_b32_e32 v0, 0xffffff82
	v_cndmask_b32_e32 v6, v7, v0, vcc
	v_mov_b32_e32 v0, 0x78
	v_cndmask_b32_e32 v7, v16, v0, vcc
	v_or_b32_e32 v17, 0x800000, v26
	v_add_u32_e32 v16, 20, v7
	v_cndmask_b32_e32 v26, v17, v26, vcc
	v_lshlrev_b64 v[16:17], v16, -1
	v_not_b32_e32 v16, v16
	v_lshrrev_b64 v[56:57], v7, v[26:27]
	v_not_b32_e32 v17, v17
	v_and_b32_e32 v16, v26, v16
	v_add_u32_e32 v32, 19, v7
	v_lshrrev_b32_e32 v26, 23, v56
	v_and_b32_e32 v17, 0, v17
	v_lshlrev_b64 v[42:43], v32, 1
	v_add3_u32 v51, v7, v6, v26
	v_bfe_u32 v6, v56, 20, 1
	v_add_u32_e32 v6, -1, v6
	v_cmp_eq_u64_e32 vcc, v[16:17], v[42:43]
	v_cndmask_b32_e32 v6, 0, v6, vcc
	v_add_u32_e32 v6, v6, v56
	v_and_b32_e32 v6, 0xfffff, v6
	v_add_co_u32_e32 v16, vcc, v6, v56
	v_add_u32_e32 v50, 6, v51
	v_addc_co_u32_e32 v17, vcc, 0, v57, vcc
	v_cmp_ne_u32_e32 vcc, 0, v50
                                        ; implicit-def: $vgpr26
	s_and_saveexec_b64 s[28:29], vcc
	s_xor_b64 s[28:29], exec, s[28:29]
; %bb.4446:                             ;   in Loop: Header=BB6_3902 Depth=3
	v_add_u32_e32 v6, 7, v51
	v_cmp_lt_u64_e32 vcc, s[56:57], v[16:17]
	v_cndmask_b32_e32 v26, v50, v6, vcc
	v_cndmask_b32_e64 v6, 0, 1, vcc
	v_lshrrev_b64 v[16:17], v6, v[16:17]
; %bb.4447:                             ;   in Loop: Header=BB6_3902 Depth=3
	s_andn2_saveexec_b64 s[28:29], s[28:29]
; %bb.4448:                             ;   in Loop: Header=BB6_3902 Depth=3
	v_bfe_u32 v26, v16, 23, 1
; %bb.4449:                             ;   in Loop: Header=BB6_3902 Depth=3
	s_or_b64 exec, exec, s[28:29]
	v_lshrrev_b64 v[16:17], 20, v[16:17]
	v_cmp_gt_i32_e32 vcc, 16, v26
	v_min_i32_e32 v6, 15, v26
	v_cndmask_b32_e32 v17, 0, v17, vcc
	v_cndmask_b32_e32 v16, 7, v16, vcc
	v_lshlrev_b32_e32 v6, 3, v6
	v_cmp_eq_u32_e32 vcc, 0, v26
	v_cmp_eq_u64_e64 s[28:29], 0, v[16:17]
	v_and_b32_e32 v6, 0xf8, v6
	v_and_or_b32 v6, v16, 7, v6
	s_and_b64 s[28:29], vcc, s[28:29]
	v_cndmask_b32_e64 v6, v6, 0, s[28:29]
	v_or_b32_e32 v16, v6, v29
.LBB6_4450:                             ;   in Loop: Header=BB6_3902 Depth=3
	s_or_b64 exec, exec, s[68:69]
.LBB6_4451:                             ;   in Loop: Header=BB6_3902 Depth=3
	s_or_b64 exec, exec, s[66:67]
                                        ; implicit-def: $vgpr17
.LBB6_4452:                             ;   in Loop: Header=BB6_3902 Depth=3
	s_andn2_saveexec_b64 s[28:29], s[64:65]
; %bb.4453:                             ;   in Loop: Header=BB6_3902 Depth=3
	v_or_b32_sdwa v6, v17, s92 dst_sel:DWORD dst_unused:UNUSED_PAD src0_sel:BYTE_3 src1_sel:DWORD
	v_cmp_eq_u64_e32 vcc, 0, v[26:27]
	v_cndmask_b32_e32 v16, v6, v16, vcc
; %bb.4454:                             ;   in Loop: Header=BB6_3902 Depth=3
	s_or_b64 exec, exec, s[28:29]
	v_cmp_lt_u64_e32 vcc, s[42:43], v[12:13]
	v_mov_b32_e32 v17, 0
	v_mov_b32_e32 v26, 0
	s_and_saveexec_b64 s[28:29], vcc
	s_cbranch_execz .LBB6_4460
; %bb.4455:                             ;   in Loop: Header=BB6_3902 Depth=3
	v_lshrrev_b32_e32 v12, 24, v13
	v_cmp_ne_u32_e32 vcc, s91, v12
	v_bfrev_b32_e32 v26, 1
	s_and_saveexec_b64 s[64:65], vcc
	s_cbranch_execz .LBB6_4459
; %bb.4456:                             ;   in Loop: Header=BB6_3902 Depth=3
	v_bfe_u32 v13, v13, 24, 7
	v_cmp_ne_u32_e32 vcc, s92, v13
	v_mov_b32_e32 v26, 0x7f800001
	s_and_saveexec_b64 s[66:67], vcc
	s_cbranch_execz .LBB6_4458
; %bb.4457:                             ;   in Loop: Header=BB6_3902 Depth=3
	v_and_b32_e32 v6, 7, v12
	v_ffbh_u32_e32 v26, v6
	v_min_u32_e32 v26, 32, v26
	v_subrev_u32_e32 v29, 28, v26
	v_lshlrev_b64 v[50:51], v29, v[12:13]
	v_lshrrev_b32_e32 v7, 3, v13
	v_sub_u32_e32 v26, 29, v26
	v_and_b32_e32 v29, 7, v50
	v_cmp_gt_u32_e32 vcc, 8, v13
	v_cndmask_b32_e32 v7, v7, v26, vcc
	v_cndmask_b32_e32 v6, v6, v29, vcc
	v_lshlrev_b32_e32 v12, 24, v12
	v_lshlrev_b32_e32 v6, 20, v6
	v_and_b32_e32 v12, 0x80000000, v12
	v_lshl_add_u32 v7, v7, 23, v31
	v_or3_b32 v26, v12, v7, v6
.LBB6_4458:                             ;   in Loop: Header=BB6_3902 Depth=3
	s_or_b64 exec, exec, s[66:67]
.LBB6_4459:                             ;   in Loop: Header=BB6_3902 Depth=3
	s_or_b64 exec, exec, s[64:65]
.LBB6_4460:                             ;   in Loop: Header=BB6_3902 Depth=3
	s_or_b64 exec, exec, s[28:29]
	v_cmp_lt_u64_e32 vcc, s[42:43], v[8:9]
	s_and_saveexec_b64 s[28:29], vcc
	s_cbranch_execz .LBB6_4466
; %bb.4461:                             ;   in Loop: Header=BB6_3902 Depth=3
	v_lshrrev_b32_e32 v8, 24, v9
	v_cmp_ne_u32_e32 vcc, s91, v8
	v_bfrev_b32_e32 v17, 1
	s_and_saveexec_b64 s[64:65], vcc
	s_cbranch_execz .LBB6_4465
; %bb.4462:                             ;   in Loop: Header=BB6_3902 Depth=3
	v_bfe_u32 v9, v9, 24, 7
	v_cmp_ne_u32_e32 vcc, s92, v9
	v_mov_b32_e32 v17, 0x7f800001
	s_and_saveexec_b64 s[66:67], vcc
	s_cbranch_execz .LBB6_4464
; %bb.4463:                             ;   in Loop: Header=BB6_3902 Depth=3
	v_and_b32_e32 v6, 7, v8
	v_ffbh_u32_e32 v12, v6
	v_min_u32_e32 v17, 32, v12
	v_subrev_u32_e32 v12, 28, v17
	v_lshlrev_b64 v[12:13], v12, v[8:9]
	v_lshrrev_b32_e32 v7, 3, v9
	v_sub_u32_e32 v13, 29, v17
	v_and_b32_e32 v12, 7, v12
	v_cmp_gt_u32_e32 vcc, 8, v9
	v_cndmask_b32_e32 v7, v7, v13, vcc
	v_cndmask_b32_e32 v6, v6, v12, vcc
	v_lshlrev_b32_e32 v8, 24, v8
	v_lshlrev_b32_e32 v6, 20, v6
	v_and_b32_e32 v8, 0x80000000, v8
	v_lshl_add_u32 v7, v7, 23, v31
	v_or3_b32 v17, v8, v7, v6
.LBB6_4464:                             ;   in Loop: Header=BB6_3902 Depth=3
	s_or_b64 exec, exec, s[66:67]
.LBB6_4465:                             ;   in Loop: Header=BB6_3902 Depth=3
	s_or_b64 exec, exec, s[64:65]
.LBB6_4466:                             ;   in Loop: Header=BB6_3902 Depth=3
	s_or_b64 exec, exec, s[28:29]
	v_add_f32_e32 v8, v26, v17
	v_and_b32_sdwa v12, v8, s91 dst_sel:DWORD dst_unused:UNUSED_PAD src0_sel:BYTE_3 src1_sel:DWORD
	v_and_b32_e32 v50, 0x7f800000, v8
	v_mov_b32_e32 v51, v27
	v_and_b32_e32 v26, 0x7fffff, v8
	v_or_b32_e32 v13, 0x7e, v12
	v_cmp_ne_u64_e32 vcc, s[52:53], v[50:51]
	s_and_saveexec_b64 s[28:29], vcc
	s_xor_b64 s[64:65], exec, s[28:29]
	s_cbranch_execz .LBB6_4476
; %bb.4467:                             ;   in Loop: Header=BB6_3902 Depth=3
	v_and_b32_e32 v50, 0x7fffffff, v8
	v_mov_b32_e32 v51, v27
	v_cmp_gt_u64_e32 vcc, s[54:55], v[50:51]
	s_and_saveexec_b64 s[66:67], vcc
	s_cbranch_execz .LBB6_4475
; %bb.4468:                             ;   in Loop: Header=BB6_3902 Depth=3
	v_cmp_ne_u32_e32 vcc, 0, v8
	v_mov_b32_e32 v13, 0
	s_and_saveexec_b64 s[68:69], vcc
	s_cbranch_execz .LBB6_4474
; %bb.4469:                             ;   in Loop: Header=BB6_3902 Depth=3
	v_bfe_u32 v6, v8, 23, 8
	v_sub_u32_e32 v8, 0x79, v6
	v_cmp_gt_u32_e32 vcc, s93, v6
	v_add_u32_e32 v7, 0xffffff81, v6
	v_cndmask_b32_e32 v8, 0, v8, vcc
	v_cmp_eq_u32_e32 vcc, 0, v6
	v_mov_b32_e32 v0, 0xffffff82
	v_cndmask_b32_e32 v6, v7, v0, vcc
	v_mov_b32_e32 v0, 0x78
	v_or_b32_e32 v9, 0x800000, v26
	v_cndmask_b32_e32 v7, v8, v0, vcc
	v_cndmask_b32_e32 v26, v9, v26, vcc
	v_add_u32_e32 v8, 20, v7
	v_lshlrev_b64 v[8:9], v8, -1
	v_add_u32_e32 v13, 19, v7
	v_lshrrev_b64 v[42:43], v7, v[26:27]
	v_not_b32_e32 v9, v9
	v_not_b32_e32 v8, v8
	v_lshlrev_b64 v[50:51], v13, 1
	v_lshrrev_b32_e32 v13, 23, v42
	v_and_b32_e32 v9, 0, v9
	v_and_b32_e32 v8, v26, v8
	v_add3_u32 v26, v7, v6, v13
	v_bfe_u32 v6, v42, 20, 1
	v_add_u32_e32 v6, -1, v6
	v_cmp_eq_u64_e32 vcc, v[8:9], v[50:51]
	v_cndmask_b32_e32 v6, 0, v6, vcc
	v_add_u32_e32 v6, v6, v42
	v_and_b32_e32 v6, 0xfffff, v6
	v_add_co_u32_e32 v8, vcc, v6, v42
	v_add_u32_e32 v17, 6, v26
	v_addc_co_u32_e32 v9, vcc, 0, v43, vcc
	v_cmp_ne_u32_e32 vcc, 0, v17
                                        ; implicit-def: $vgpr13
	s_and_saveexec_b64 s[28:29], vcc
	s_xor_b64 s[28:29], exec, s[28:29]
; %bb.4470:                             ;   in Loop: Header=BB6_3902 Depth=3
	v_add_u32_e32 v6, 7, v26
	v_cmp_lt_u64_e32 vcc, s[56:57], v[8:9]
	v_cndmask_b32_e32 v13, v17, v6, vcc
	v_cndmask_b32_e64 v6, 0, 1, vcc
	v_lshrrev_b64 v[8:9], v6, v[8:9]
; %bb.4471:                             ;   in Loop: Header=BB6_3902 Depth=3
	s_andn2_saveexec_b64 s[28:29], s[28:29]
; %bb.4472:                             ;   in Loop: Header=BB6_3902 Depth=3
	v_bfe_u32 v13, v8, 23, 1
; %bb.4473:                             ;   in Loop: Header=BB6_3902 Depth=3
	s_or_b64 exec, exec, s[28:29]
	v_lshrrev_b64 v[8:9], 20, v[8:9]
	v_cmp_gt_i32_e32 vcc, 16, v13
	v_min_i32_e32 v6, 15, v13
	v_cndmask_b32_e32 v9, 0, v9, vcc
	v_cndmask_b32_e32 v8, 7, v8, vcc
	v_lshlrev_b32_e32 v6, 3, v6
	v_cmp_eq_u32_e32 vcc, 0, v13
	v_cmp_eq_u64_e64 s[28:29], 0, v[8:9]
	v_and_b32_e32 v6, 0xf8, v6
	v_and_or_b32 v6, v8, 7, v6
	s_and_b64 s[28:29], vcc, s[28:29]
	v_cndmask_b32_e64 v6, v6, 0, s[28:29]
	v_or_b32_e32 v13, v6, v12
.LBB6_4474:                             ;   in Loop: Header=BB6_3902 Depth=3
	s_or_b64 exec, exec, s[68:69]
.LBB6_4475:                             ;   in Loop: Header=BB6_3902 Depth=3
	s_or_b64 exec, exec, s[66:67]
                                        ; implicit-def: $vgpr8
.LBB6_4476:                             ;   in Loop: Header=BB6_3902 Depth=3
	s_andn2_saveexec_b64 s[28:29], s[64:65]
; %bb.4477:                             ;   in Loop: Header=BB6_3902 Depth=3
	v_or_b32_sdwa v6, v8, s92 dst_sel:DWORD dst_unused:UNUSED_PAD src0_sel:BYTE_3 src1_sel:DWORD
	v_cmp_eq_u64_e32 vcc, 0, v[26:27]
	v_cndmask_b32_e32 v13, v6, v13, vcc
; %bb.4478:                             ;   in Loop: Header=BB6_3902 Depth=3
	s_or_b64 exec, exec, s[28:29]
	v_cmp_ne_u16_sdwa vcc, v14, v27 src0_sel:BYTE_0 src1_sel:DWORD
	v_mov_b32_e32 v8, 0
	v_mov_b32_e32 v9, 0
	s_and_saveexec_b64 s[28:29], vcc
	s_cbranch_execz .LBB6_4484
; %bb.4479:                             ;   in Loop: Header=BB6_3902 Depth=3
	v_cmp_ne_u16_sdwa vcc, v14, s91 src0_sel:BYTE_0 src1_sel:DWORD
	v_bfrev_b32_e32 v9, 1
	s_and_saveexec_b64 s[64:65], vcc
	s_cbranch_execz .LBB6_4483
; %bb.4480:                             ;   in Loop: Header=BB6_3902 Depth=3
	v_and_b32_e32 v12, 0x7f, v14
	v_cmp_ne_u32_e32 vcc, s92, v12
	v_mov_b32_e32 v9, 0x7f800001
	s_and_saveexec_b64 s[66:67], vcc
	s_cbranch_execz .LBB6_4482
; %bb.4481:                             ;   in Loop: Header=BB6_3902 Depth=3
	v_and_b32_e32 v6, 7, v14
	v_ffbh_u32_e32 v6, v6
	v_min_u32_e32 v6, 32, v6
	v_lshrrev_b32_e32 v7, 3, v12
	v_subrev_u32_e32 v9, 28, v6
	v_sub_u32_e32 v6, 29, v6
	v_cmp_gt_u32_e32 vcc, 8, v12
	v_cndmask_b32_e32 v6, v7, v6, vcc
	v_cndmask_b32_e32 v7, 0, v9, vcc
	v_lshlrev_b64 v[50:51], v7, v[14:15]
	v_lshlrev_b32_e32 v7, 20, v50
	v_lshlrev_b32_e32 v9, 24, v14
	v_and_b32_e32 v7, 0x700000, v7
	v_and_b32_e32 v9, 0x80000000, v9
	v_lshl_add_u32 v6, v6, 23, v31
	v_or3_b32 v9, v9, v6, v7
.LBB6_4482:                             ;   in Loop: Header=BB6_3902 Depth=3
	s_or_b64 exec, exec, s[66:67]
.LBB6_4483:                             ;   in Loop: Header=BB6_3902 Depth=3
	s_or_b64 exec, exec, s[64:65]
.LBB6_4484:                             ;   in Loop: Header=BB6_3902 Depth=3
	s_or_b64 exec, exec, s[28:29]
	v_cmp_ne_u16_sdwa vcc, v10, v27 src0_sel:BYTE_0 src1_sel:DWORD
	s_and_saveexec_b64 s[28:29], vcc
	s_cbranch_execz .LBB6_4490
; %bb.4485:                             ;   in Loop: Header=BB6_3902 Depth=3
	v_cmp_ne_u16_sdwa vcc, v10, s91 src0_sel:BYTE_0 src1_sel:DWORD
	v_bfrev_b32_e32 v8, 1
	s_and_saveexec_b64 s[64:65], vcc
	s_cbranch_execz .LBB6_4489
; %bb.4486:                             ;   in Loop: Header=BB6_3902 Depth=3
	v_and_b32_e32 v12, 0x7f, v10
	v_cmp_ne_u32_e32 vcc, s92, v12
	v_mov_b32_e32 v8, 0x7f800001
	s_and_saveexec_b64 s[66:67], vcc
	s_cbranch_execz .LBB6_4488
; %bb.4487:                             ;   in Loop: Header=BB6_3902 Depth=3
	v_and_b32_e32 v6, 7, v10
	v_ffbh_u32_e32 v6, v6
	v_min_u32_e32 v6, 32, v6
	v_lshrrev_b32_e32 v7, 3, v12
	v_subrev_u32_e32 v8, 28, v6
	v_sub_u32_e32 v6, 29, v6
	v_cmp_gt_u32_e32 vcc, 8, v12
	v_cndmask_b32_e32 v6, v7, v6, vcc
	v_cndmask_b32_e32 v7, 0, v8, vcc
	v_lshlrev_b64 v[50:51], v7, v[10:11]
	v_lshlrev_b32_e32 v7, 20, v50
	v_lshlrev_b32_e32 v8, 24, v10
	v_and_b32_e32 v7, 0x700000, v7
	v_and_b32_e32 v8, 0x80000000, v8
	v_lshl_add_u32 v6, v6, 23, v31
	v_or3_b32 v8, v8, v6, v7
.LBB6_4488:                             ;   in Loop: Header=BB6_3902 Depth=3
	s_or_b64 exec, exec, s[66:67]
.LBB6_4489:                             ;   in Loop: Header=BB6_3902 Depth=3
	s_or_b64 exec, exec, s[64:65]
.LBB6_4490:                             ;   in Loop: Header=BB6_3902 Depth=3
	s_or_b64 exec, exec, s[28:29]
	v_add_f32_e32 v8, v9, v8
	v_and_b32_sdwa v12, v8, s91 dst_sel:DWORD dst_unused:UNUSED_PAD src0_sel:BYTE_3 src1_sel:DWORD
	v_and_b32_e32 v50, 0x7f800000, v8
	v_mov_b32_e32 v51, v27
	v_and_b32_e32 v26, 0x7fffff, v8
	v_or_b32_e32 v17, 0x7e, v12
	v_cmp_ne_u64_e32 vcc, s[52:53], v[50:51]
	s_and_saveexec_b64 s[28:29], vcc
	s_xor_b64 s[64:65], exec, s[28:29]
	s_cbranch_execz .LBB6_4500
; %bb.4491:                             ;   in Loop: Header=BB6_3902 Depth=3
	v_and_b32_e32 v50, 0x7fffffff, v8
	v_mov_b32_e32 v51, v27
	v_cmp_gt_u64_e32 vcc, s[54:55], v[50:51]
	s_and_saveexec_b64 s[66:67], vcc
	s_cbranch_execz .LBB6_4499
; %bb.4492:                             ;   in Loop: Header=BB6_3902 Depth=3
	v_cmp_ne_u32_e32 vcc, 0, v8
	v_mov_b32_e32 v17, 0
	s_and_saveexec_b64 s[68:69], vcc
	s_cbranch_execz .LBB6_4498
; %bb.4493:                             ;   in Loop: Header=BB6_3902 Depth=3
	v_bfe_u32 v6, v8, 23, 8
	v_sub_u32_e32 v8, 0x79, v6
	v_cmp_gt_u32_e32 vcc, s93, v6
	v_add_u32_e32 v7, 0xffffff81, v6
	v_cndmask_b32_e32 v8, 0, v8, vcc
	v_cmp_eq_u32_e32 vcc, 0, v6
	v_mov_b32_e32 v0, 0xffffff82
	v_cndmask_b32_e32 v6, v7, v0, vcc
	v_mov_b32_e32 v0, 0x78
	v_or_b32_e32 v9, 0x800000, v26
	v_cndmask_b32_e32 v7, v8, v0, vcc
	v_cndmask_b32_e32 v26, v9, v26, vcc
	v_add_u32_e32 v8, 20, v7
	v_lshlrev_b64 v[8:9], v8, -1
	v_add_u32_e32 v17, 19, v7
	v_lshrrev_b64 v[42:43], v7, v[26:27]
	v_not_b32_e32 v9, v9
	v_not_b32_e32 v8, v8
	v_lshlrev_b64 v[50:51], v17, 1
	v_lshrrev_b32_e32 v17, 23, v42
	v_and_b32_e32 v9, 0, v9
	v_and_b32_e32 v8, v26, v8
	v_add3_u32 v29, v7, v6, v17
	v_bfe_u32 v6, v42, 20, 1
	v_add_u32_e32 v6, -1, v6
	v_cmp_eq_u64_e32 vcc, v[8:9], v[50:51]
	v_cndmask_b32_e32 v6, 0, v6, vcc
	v_add_u32_e32 v6, v6, v42
	v_and_b32_e32 v6, 0xfffff, v6
	v_add_co_u32_e32 v8, vcc, v6, v42
	v_add_u32_e32 v26, 6, v29
	v_addc_co_u32_e32 v9, vcc, 0, v43, vcc
	v_cmp_ne_u32_e32 vcc, 0, v26
                                        ; implicit-def: $vgpr17
	s_and_saveexec_b64 s[28:29], vcc
	s_xor_b64 s[28:29], exec, s[28:29]
; %bb.4494:                             ;   in Loop: Header=BB6_3902 Depth=3
	v_add_u32_e32 v6, 7, v29
	v_cmp_lt_u64_e32 vcc, s[56:57], v[8:9]
	v_cndmask_b32_e32 v17, v26, v6, vcc
	v_cndmask_b32_e64 v6, 0, 1, vcc
	v_lshrrev_b64 v[8:9], v6, v[8:9]
; %bb.4495:                             ;   in Loop: Header=BB6_3902 Depth=3
	s_andn2_saveexec_b64 s[28:29], s[28:29]
; %bb.4496:                             ;   in Loop: Header=BB6_3902 Depth=3
	v_bfe_u32 v17, v8, 23, 1
; %bb.4497:                             ;   in Loop: Header=BB6_3902 Depth=3
	s_or_b64 exec, exec, s[28:29]
	v_lshrrev_b64 v[8:9], 20, v[8:9]
	v_cmp_gt_i32_e32 vcc, 16, v17
	v_cndmask_b32_e32 v9, 0, v9, vcc
	v_cndmask_b32_e32 v8, 7, v8, vcc
	v_min_i32_e32 v6, 15, v17
	v_cmp_eq_u32_e32 vcc, 0, v17
	v_cmp_eq_u64_e64 s[28:29], 0, v[8:9]
	v_lshlrev_b32_e32 v6, 3, v6
	v_and_or_b32 v6, v8, 7, v6
	s_and_b64 s[28:29], vcc, s[28:29]
	v_cndmask_b32_e64 v6, v6, 0, s[28:29]
	v_or_b32_e32 v17, v6, v12
.LBB6_4498:                             ;   in Loop: Header=BB6_3902 Depth=3
	s_or_b64 exec, exec, s[68:69]
.LBB6_4499:                             ;   in Loop: Header=BB6_3902 Depth=3
	s_or_b64 exec, exec, s[66:67]
                                        ; implicit-def: $vgpr8
.LBB6_4500:                             ;   in Loop: Header=BB6_3902 Depth=3
	s_andn2_saveexec_b64 s[28:29], s[64:65]
; %bb.4501:                             ;   in Loop: Header=BB6_3902 Depth=3
	v_or_b32_sdwa v6, v8, s92 dst_sel:DWORD dst_unused:UNUSED_PAD src0_sel:BYTE_3 src1_sel:DWORD
	v_cmp_eq_u64_e32 vcc, 0, v[26:27]
	v_cndmask_b32_e32 v17, v6, v17, vcc
; %bb.4502:                             ;   in Loop: Header=BB6_3902 Depth=3
	s_or_b64 exec, exec, s[28:29]
	v_lshrrev_b16_e32 v8, 8, v14
	v_cmp_ne_u16_e32 vcc, 0, v8
	v_mov_b32_e32 v9, 0
	v_mov_b32_e32 v12, 0
	s_and_saveexec_b64 s[28:29], vcc
	s_cbranch_execz .LBB6_4508
; %bb.4503:                             ;   in Loop: Header=BB6_3902 Depth=3
	v_cmp_ne_u16_e32 vcc, s91, v8
	v_bfrev_b32_e32 v12, 1
	s_and_saveexec_b64 s[64:65], vcc
	s_cbranch_execz .LBB6_4507
; %bb.4504:                             ;   in Loop: Header=BB6_3902 Depth=3
	v_and_b32_e32 v26, 0x7f, v8
	v_cmp_ne_u32_e32 vcc, s92, v26
	v_mov_b32_e32 v12, 0x7f800001
	s_and_saveexec_b64 s[66:67], vcc
	s_cbranch_execz .LBB6_4506
; %bb.4505:                             ;   in Loop: Header=BB6_3902 Depth=3
	v_and_b32_e32 v6, 7, v8
	v_ffbh_u32_e32 v12, v6
	v_min_u32_e32 v12, 32, v12
	v_subrev_u32_e32 v29, 28, v12
	v_lshlrev_b64 v[50:51], v29, v[8:9]
	v_lshrrev_b32_e32 v7, 3, v26
	v_sub_u32_e32 v8, 29, v12
	v_and_b32_e32 v12, 7, v50
	v_cmp_gt_u32_e32 vcc, 8, v26
	v_cndmask_b32_e32 v7, v7, v8, vcc
	v_cndmask_b32_e32 v6, v6, v12, vcc
	v_lshlrev_b32_e32 v8, 16, v14
	v_lshlrev_b32_e32 v6, 20, v6
	v_and_b32_e32 v8, 0x80000000, v8
	v_lshl_add_u32 v7, v7, 23, v31
	v_or3_b32 v12, v8, v7, v6
.LBB6_4506:                             ;   in Loop: Header=BB6_3902 Depth=3
	s_or_b64 exec, exec, s[66:67]
.LBB6_4507:                             ;   in Loop: Header=BB6_3902 Depth=3
	s_or_b64 exec, exec, s[64:65]
.LBB6_4508:                             ;   in Loop: Header=BB6_3902 Depth=3
	s_or_b64 exec, exec, s[28:29]
	v_lshrrev_b16_e32 v8, 8, v10
	v_cmp_ne_u16_e32 vcc, 0, v8
	s_and_saveexec_b64 s[28:29], vcc
	s_cbranch_execz .LBB6_4514
; %bb.4509:                             ;   in Loop: Header=BB6_3902 Depth=3
	v_cmp_ne_u16_e32 vcc, s91, v8
	v_bfrev_b32_e32 v9, 1
	s_and_saveexec_b64 s[64:65], vcc
	s_cbranch_execz .LBB6_4513
; %bb.4510:                             ;   in Loop: Header=BB6_3902 Depth=3
	v_and_b32_e32 v26, 0x7f, v8
	v_cmp_ne_u32_e32 vcc, s92, v26
	v_mov_b32_e32 v9, 0x7f800001
	s_and_saveexec_b64 s[66:67], vcc
	s_cbranch_execz .LBB6_4512
; %bb.4511:                             ;   in Loop: Header=BB6_3902 Depth=3
	v_and_b32_e32 v6, 7, v8
	v_ffbh_u32_e32 v9, v6
	v_min_u32_e32 v29, 32, v9
	v_subrev_u32_e32 v9, 28, v29
	v_lshlrev_b64 v[8:9], v9, v[8:9]
	v_lshrrev_b32_e32 v7, 3, v26
	v_sub_u32_e32 v9, 29, v29
	v_and_b32_e32 v8, 7, v8
	v_cmp_gt_u32_e32 vcc, 8, v26
	v_cndmask_b32_e32 v7, v7, v9, vcc
	v_cndmask_b32_e32 v6, v6, v8, vcc
	v_lshlrev_b32_e32 v8, 16, v10
	v_lshlrev_b32_e32 v6, 20, v6
	v_and_b32_e32 v8, 0x80000000, v8
	v_lshl_add_u32 v7, v7, 23, v31
	v_or3_b32 v9, v8, v7, v6
.LBB6_4512:                             ;   in Loop: Header=BB6_3902 Depth=3
	s_or_b64 exec, exec, s[66:67]
.LBB6_4513:                             ;   in Loop: Header=BB6_3902 Depth=3
	s_or_b64 exec, exec, s[64:65]
.LBB6_4514:                             ;   in Loop: Header=BB6_3902 Depth=3
	s_or_b64 exec, exec, s[28:29]
	v_add_f32_e32 v8, v12, v9
	v_and_b32_sdwa v12, v8, s91 dst_sel:DWORD dst_unused:UNUSED_PAD src0_sel:BYTE_3 src1_sel:DWORD
	v_and_b32_e32 v50, 0x7f800000, v8
	v_mov_b32_e32 v51, v27
	v_and_b32_e32 v26, 0x7fffff, v8
	v_or_b32_e32 v56, 0x7e, v12
	v_cmp_ne_u64_e32 vcc, s[52:53], v[50:51]
	s_and_saveexec_b64 s[28:29], vcc
	s_xor_b64 s[64:65], exec, s[28:29]
	s_cbranch_execz .LBB6_4524
; %bb.4515:                             ;   in Loop: Header=BB6_3902 Depth=3
	v_and_b32_e32 v50, 0x7fffffff, v8
	v_mov_b32_e32 v51, v27
	v_cmp_gt_u64_e32 vcc, s[54:55], v[50:51]
	s_and_saveexec_b64 s[66:67], vcc
	s_cbranch_execz .LBB6_4523
; %bb.4516:                             ;   in Loop: Header=BB6_3902 Depth=3
	v_cmp_ne_u32_e32 vcc, 0, v8
	v_mov_b32_e32 v56, 0
	s_and_saveexec_b64 s[68:69], vcc
	s_cbranch_execz .LBB6_4522
; %bb.4517:                             ;   in Loop: Header=BB6_3902 Depth=3
	v_bfe_u32 v6, v8, 23, 8
	v_sub_u32_e32 v8, 0x79, v6
	v_cmp_gt_u32_e32 vcc, s93, v6
	v_add_u32_e32 v7, 0xffffff81, v6
	v_cndmask_b32_e32 v8, 0, v8, vcc
	v_cmp_eq_u32_e32 vcc, 0, v6
	v_mov_b32_e32 v0, 0xffffff82
	v_cndmask_b32_e32 v6, v7, v0, vcc
	v_mov_b32_e32 v0, 0x78
	v_cndmask_b32_e32 v7, v8, v0, vcc
	v_or_b32_e32 v9, 0x800000, v26
	v_add_u32_e32 v8, 20, v7
	v_cndmask_b32_e32 v26, v9, v26, vcc
	v_lshlrev_b64 v[8:9], v8, -1
	v_not_b32_e32 v8, v8
	v_lshrrev_b64 v[56:57], v7, v[26:27]
	v_not_b32_e32 v9, v9
	v_and_b32_e32 v8, v26, v8
	v_add_u32_e32 v29, 19, v7
	v_lshrrev_b32_e32 v26, 23, v56
	v_and_b32_e32 v9, 0, v9
	v_lshlrev_b64 v[42:43], v29, 1
	v_add3_u32 v50, v7, v6, v26
	v_bfe_u32 v6, v56, 20, 1
	v_add_u32_e32 v6, -1, v6
	v_cmp_eq_u64_e32 vcc, v[8:9], v[42:43]
	v_cndmask_b32_e32 v6, 0, v6, vcc
	v_add_u32_e32 v6, v6, v56
	v_and_b32_e32 v6, 0xfffff, v6
	v_add_co_u32_e32 v8, vcc, v6, v56
	v_add_u32_e32 v29, 6, v50
	v_addc_co_u32_e32 v9, vcc, 0, v57, vcc
	v_cmp_ne_u32_e32 vcc, 0, v29
                                        ; implicit-def: $vgpr26
	s_and_saveexec_b64 s[28:29], vcc
	s_xor_b64 s[28:29], exec, s[28:29]
; %bb.4518:                             ;   in Loop: Header=BB6_3902 Depth=3
	v_add_u32_e32 v6, 7, v50
	v_cmp_lt_u64_e32 vcc, s[56:57], v[8:9]
	v_cndmask_b32_e32 v26, v29, v6, vcc
	v_cndmask_b32_e64 v6, 0, 1, vcc
	v_lshrrev_b64 v[8:9], v6, v[8:9]
; %bb.4519:                             ;   in Loop: Header=BB6_3902 Depth=3
	s_andn2_saveexec_b64 s[28:29], s[28:29]
; %bb.4520:                             ;   in Loop: Header=BB6_3902 Depth=3
	v_bfe_u32 v26, v8, 23, 1
; %bb.4521:                             ;   in Loop: Header=BB6_3902 Depth=3
	s_or_b64 exec, exec, s[28:29]
	v_lshrrev_b64 v[8:9], 20, v[8:9]
	v_cmp_gt_i32_e32 vcc, 16, v26
	v_cndmask_b32_e32 v9, 0, v9, vcc
	v_cndmask_b32_e32 v8, 7, v8, vcc
	v_min_i32_e32 v6, 15, v26
	v_cmp_eq_u32_e32 vcc, 0, v26
	v_cmp_eq_u64_e64 s[28:29], 0, v[8:9]
	v_lshlrev_b32_e32 v6, 3, v6
	v_and_or_b32 v6, v8, 7, v6
	s_and_b64 s[28:29], vcc, s[28:29]
	v_cndmask_b32_e64 v6, v6, 0, s[28:29]
	v_or_b32_e32 v56, v6, v12
.LBB6_4522:                             ;   in Loop: Header=BB6_3902 Depth=3
	s_or_b64 exec, exec, s[68:69]
.LBB6_4523:                             ;   in Loop: Header=BB6_3902 Depth=3
	s_or_b64 exec, exec, s[66:67]
                                        ; implicit-def: $vgpr8
.LBB6_4524:                             ;   in Loop: Header=BB6_3902 Depth=3
	s_andn2_saveexec_b64 s[28:29], s[64:65]
; %bb.4525:                             ;   in Loop: Header=BB6_3902 Depth=3
	v_or_b32_sdwa v6, v8, s92 dst_sel:DWORD dst_unused:UNUSED_PAD src0_sel:BYTE_3 src1_sel:DWORD
	v_cmp_eq_u64_e32 vcc, 0, v[26:27]
	v_cndmask_b32_e32 v56, v6, v56, vcc
; %bb.4526:                             ;   in Loop: Header=BB6_3902 Depth=3
	s_or_b64 exec, exec, s[28:29]
	v_lshrrev_b32_e32 v8, 16, v14
	v_cmp_ne_u16_sdwa vcc, v8, v27 src0_sel:BYTE_0 src1_sel:DWORD
	v_mov_b32_e32 v9, 0
	v_mov_b32_e32 v12, 0
	s_and_saveexec_b64 s[28:29], vcc
	s_cbranch_execz .LBB6_4532
; %bb.4527:                             ;   in Loop: Header=BB6_3902 Depth=3
	v_cmp_ne_u16_sdwa vcc, v8, s91 src0_sel:BYTE_0 src1_sel:DWORD
	v_bfrev_b32_e32 v12, 1
	s_and_saveexec_b64 s[64:65], vcc
	s_cbranch_execz .LBB6_4531
; %bb.4528:                             ;   in Loop: Header=BB6_3902 Depth=3
	v_bfe_u32 v26, v14, 16, 7
	v_cmp_ne_u32_e32 vcc, s92, v26
	v_mov_b32_e32 v12, 0x7f800001
	s_and_saveexec_b64 s[66:67], vcc
	s_cbranch_execz .LBB6_4530
; %bb.4529:                             ;   in Loop: Header=BB6_3902 Depth=3
	v_and_b32_e32 v6, 7, v8
	v_ffbh_u32_e32 v12, v6
	v_min_u32_e32 v12, 32, v12
	v_subrev_u32_e32 v29, 28, v12
	v_lshlrev_b64 v[50:51], v29, v[8:9]
	v_lshrrev_b32_e32 v7, 3, v26
	v_sub_u32_e32 v12, 29, v12
	v_and_b32_e32 v29, 7, v50
	v_cmp_gt_u32_e32 vcc, 8, v26
	v_cndmask_b32_e32 v7, v7, v12, vcc
	v_cndmask_b32_e32 v6, v6, v29, vcc
	v_lshlrev_b32_e32 v8, 24, v8
	v_lshlrev_b32_e32 v6, 20, v6
	v_and_b32_e32 v8, 0x80000000, v8
	v_lshl_add_u32 v7, v7, 23, v31
	v_or3_b32 v12, v8, v7, v6
.LBB6_4530:                             ;   in Loop: Header=BB6_3902 Depth=3
	s_or_b64 exec, exec, s[66:67]
.LBB6_4531:                             ;   in Loop: Header=BB6_3902 Depth=3
	s_or_b64 exec, exec, s[64:65]
.LBB6_4532:                             ;   in Loop: Header=BB6_3902 Depth=3
	s_or_b64 exec, exec, s[28:29]
	v_lshrrev_b32_e32 v8, 16, v10
	v_cmp_ne_u16_sdwa vcc, v8, v27 src0_sel:BYTE_0 src1_sel:DWORD
	s_and_saveexec_b64 s[28:29], vcc
	s_cbranch_execz .LBB6_4538
; %bb.4533:                             ;   in Loop: Header=BB6_3902 Depth=3
	v_cmp_ne_u16_sdwa vcc, v8, s91 src0_sel:BYTE_0 src1_sel:DWORD
	v_bfrev_b32_e32 v9, 1
	s_and_saveexec_b64 s[64:65], vcc
	s_cbranch_execz .LBB6_4537
; %bb.4534:                             ;   in Loop: Header=BB6_3902 Depth=3
	v_bfe_u32 v26, v10, 16, 7
	v_cmp_ne_u32_e32 vcc, s92, v26
	v_mov_b32_e32 v9, 0x7f800001
	s_and_saveexec_b64 s[66:67], vcc
	s_cbranch_execz .LBB6_4536
; %bb.4535:                             ;   in Loop: Header=BB6_3902 Depth=3
	v_and_b32_e32 v6, 7, v8
	v_ffbh_u32_e32 v9, v6
	v_min_u32_e32 v29, 32, v9
	v_subrev_u32_e32 v9, 28, v29
	v_lshlrev_b64 v[8:9], v9, v[8:9]
	v_lshrrev_b32_e32 v7, 3, v26
	v_sub_u32_e32 v9, 29, v29
	v_and_b32_e32 v8, 7, v8
	v_cmp_gt_u32_e32 vcc, 8, v26
	v_cndmask_b32_e32 v7, v7, v9, vcc
	v_cndmask_b32_e32 v6, v6, v8, vcc
	v_lshlrev_b32_e32 v8, 8, v10
	v_lshlrev_b32_e32 v6, 20, v6
	v_and_b32_e32 v8, 0x80000000, v8
	v_lshl_add_u32 v7, v7, 23, v31
	v_or3_b32 v9, v8, v7, v6
.LBB6_4536:                             ;   in Loop: Header=BB6_3902 Depth=3
	s_or_b64 exec, exec, s[66:67]
.LBB6_4537:                             ;   in Loop: Header=BB6_3902 Depth=3
	s_or_b64 exec, exec, s[64:65]
.LBB6_4538:                             ;   in Loop: Header=BB6_3902 Depth=3
	s_or_b64 exec, exec, s[28:29]
	v_add_f32_e32 v8, v12, v9
	v_and_b32_sdwa v12, v8, s91 dst_sel:DWORD dst_unused:UNUSED_PAD src0_sel:BYTE_3 src1_sel:DWORD
	v_and_b32_e32 v50, 0x7f800000, v8
	v_mov_b32_e32 v51, v27
	v_and_b32_e32 v26, 0x7fffff, v8
	v_or_b32_e32 v54, 0x7e, v12
	v_cmp_ne_u64_e32 vcc, s[52:53], v[50:51]
	s_and_saveexec_b64 s[28:29], vcc
	s_xor_b64 s[64:65], exec, s[28:29]
	s_cbranch_execz .LBB6_4548
; %bb.4539:                             ;   in Loop: Header=BB6_3902 Depth=3
	v_and_b32_e32 v50, 0x7fffffff, v8
	v_mov_b32_e32 v51, v27
	v_cmp_gt_u64_e32 vcc, s[54:55], v[50:51]
	s_and_saveexec_b64 s[66:67], vcc
	s_cbranch_execz .LBB6_4547
; %bb.4540:                             ;   in Loop: Header=BB6_3902 Depth=3
	v_cmp_ne_u32_e32 vcc, 0, v8
	v_mov_b32_e32 v54, 0
	s_and_saveexec_b64 s[68:69], vcc
	s_cbranch_execz .LBB6_4546
; %bb.4541:                             ;   in Loop: Header=BB6_3902 Depth=3
	v_bfe_u32 v6, v8, 23, 8
	v_sub_u32_e32 v8, 0x79, v6
	v_cmp_gt_u32_e32 vcc, s93, v6
	v_add_u32_e32 v7, 0xffffff81, v6
	v_cndmask_b32_e32 v8, 0, v8, vcc
	v_cmp_eq_u32_e32 vcc, 0, v6
	v_mov_b32_e32 v0, 0xffffff82
	v_cndmask_b32_e32 v6, v7, v0, vcc
	v_mov_b32_e32 v0, 0x78
	v_cndmask_b32_e32 v7, v8, v0, vcc
	v_or_b32_e32 v9, 0x800000, v26
	v_add_u32_e32 v8, 20, v7
	v_cndmask_b32_e32 v26, v9, v26, vcc
	v_lshlrev_b64 v[8:9], v8, -1
	v_not_b32_e32 v8, v8
	v_lshrrev_b64 v[38:39], v7, v[26:27]
	v_not_b32_e32 v9, v9
	v_and_b32_e32 v8, v26, v8
	v_add_u32_e32 v29, 19, v7
	v_lshrrev_b32_e32 v26, 23, v38
	v_and_b32_e32 v9, 0, v9
	v_lshlrev_b64 v[42:43], v29, 1
	v_add3_u32 v50, v7, v6, v26
	v_bfe_u32 v6, v38, 20, 1
	v_add_u32_e32 v6, -1, v6
	v_cmp_eq_u64_e32 vcc, v[8:9], v[42:43]
	v_cndmask_b32_e32 v6, 0, v6, vcc
	v_add_u32_e32 v6, v6, v38
	v_and_b32_e32 v6, 0xfffff, v6
	v_add_co_u32_e32 v8, vcc, v6, v38
	v_add_u32_e32 v29, 6, v50
	v_addc_co_u32_e32 v9, vcc, 0, v39, vcc
	v_cmp_ne_u32_e32 vcc, 0, v29
                                        ; implicit-def: $vgpr26
	s_and_saveexec_b64 s[28:29], vcc
	s_xor_b64 s[28:29], exec, s[28:29]
; %bb.4542:                             ;   in Loop: Header=BB6_3902 Depth=3
	v_add_u32_e32 v6, 7, v50
	v_cmp_lt_u64_e32 vcc, s[56:57], v[8:9]
	v_cndmask_b32_e32 v26, v29, v6, vcc
	v_cndmask_b32_e64 v6, 0, 1, vcc
	v_lshrrev_b64 v[8:9], v6, v[8:9]
; %bb.4543:                             ;   in Loop: Header=BB6_3902 Depth=3
	s_andn2_saveexec_b64 s[28:29], s[28:29]
; %bb.4544:                             ;   in Loop: Header=BB6_3902 Depth=3
	v_bfe_u32 v26, v8, 23, 1
; %bb.4545:                             ;   in Loop: Header=BB6_3902 Depth=3
	s_or_b64 exec, exec, s[28:29]
	v_lshrrev_b64 v[8:9], 20, v[8:9]
	v_cmp_gt_i32_e32 vcc, 16, v26
	v_cndmask_b32_e32 v9, 0, v9, vcc
	v_cndmask_b32_e32 v8, 7, v8, vcc
	v_min_i32_e32 v6, 15, v26
	v_cmp_eq_u32_e32 vcc, 0, v26
	v_cmp_eq_u64_e64 s[28:29], 0, v[8:9]
	v_lshlrev_b32_e32 v6, 3, v6
	v_and_or_b32 v6, v8, 7, v6
	s_and_b64 s[28:29], vcc, s[28:29]
	v_cndmask_b32_e64 v6, v6, 0, s[28:29]
	v_or_b32_e32 v54, v6, v12
.LBB6_4546:                             ;   in Loop: Header=BB6_3902 Depth=3
	s_or_b64 exec, exec, s[68:69]
.LBB6_4547:                             ;   in Loop: Header=BB6_3902 Depth=3
	s_or_b64 exec, exec, s[66:67]
                                        ; implicit-def: $vgpr8
.LBB6_4548:                             ;   in Loop: Header=BB6_3902 Depth=3
	s_andn2_saveexec_b64 s[28:29], s[64:65]
; %bb.4549:                             ;   in Loop: Header=BB6_3902 Depth=3
	v_or_b32_sdwa v6, v8, s92 dst_sel:DWORD dst_unused:UNUSED_PAD src0_sel:BYTE_3 src1_sel:DWORD
	v_cmp_eq_u64_e32 vcc, 0, v[26:27]
	v_cndmask_b32_e32 v54, v6, v54, vcc
; %bb.4550:                             ;   in Loop: Header=BB6_3902 Depth=3
	s_or_b64 exec, exec, s[28:29]
	v_cmp_lt_u32_e32 vcc, s43, v14
	v_mov_b32_e32 v9, 0
	v_mov_b32_e32 v12, 0
	s_and_saveexec_b64 s[28:29], vcc
	s_cbranch_execz .LBB6_4556
; %bb.4551:                             ;   in Loop: Header=BB6_3902 Depth=3
	v_lshrrev_b32_e32 v8, 24, v14
	v_cmp_ne_u32_e32 vcc, s91, v8
	v_bfrev_b32_e32 v12, 1
	s_and_saveexec_b64 s[64:65], vcc
	s_cbranch_execz .LBB6_4555
; %bb.4552:                             ;   in Loop: Header=BB6_3902 Depth=3
	v_bfe_u32 v26, v14, 24, 7
	v_cmp_ne_u32_e32 vcc, s92, v26
	v_mov_b32_e32 v12, 0x7f800001
	s_and_saveexec_b64 s[66:67], vcc
	s_cbranch_execz .LBB6_4554
; %bb.4553:                             ;   in Loop: Header=BB6_3902 Depth=3
	v_and_b32_e32 v6, 7, v8
	v_ffbh_u32_e32 v12, v6
	v_min_u32_e32 v12, 32, v12
	v_subrev_u32_e32 v29, 28, v12
	v_lshlrev_b64 v[38:39], v29, v[8:9]
	v_lshrrev_b32_e32 v7, 3, v26
	v_sub_u32_e32 v12, 29, v12
	v_and_b32_e32 v29, 7, v38
	v_cmp_gt_u32_e32 vcc, 8, v26
	v_cndmask_b32_e32 v7, v7, v12, vcc
	v_cndmask_b32_e32 v6, v6, v29, vcc
	v_lshlrev_b32_e32 v8, 24, v8
	v_lshlrev_b32_e32 v6, 20, v6
	v_and_b32_e32 v8, 0x80000000, v8
	v_lshl_add_u32 v7, v7, 23, v31
	v_or3_b32 v12, v8, v7, v6
.LBB6_4554:                             ;   in Loop: Header=BB6_3902 Depth=3
	s_or_b64 exec, exec, s[66:67]
.LBB6_4555:                             ;   in Loop: Header=BB6_3902 Depth=3
	s_or_b64 exec, exec, s[64:65]
.LBB6_4556:                             ;   in Loop: Header=BB6_3902 Depth=3
	s_or_b64 exec, exec, s[28:29]
	v_cmp_lt_u32_e32 vcc, s43, v10
	s_and_saveexec_b64 s[28:29], vcc
	s_cbranch_execz .LBB6_4562
; %bb.4557:                             ;   in Loop: Header=BB6_3902 Depth=3
	v_lshrrev_b32_e32 v8, 24, v10
	v_cmp_ne_u32_e32 vcc, s91, v8
	v_bfrev_b32_e32 v9, 1
	s_and_saveexec_b64 s[64:65], vcc
	s_cbranch_execz .LBB6_4561
; %bb.4558:                             ;   in Loop: Header=BB6_3902 Depth=3
	v_bfe_u32 v26, v10, 24, 7
	v_cmp_ne_u32_e32 vcc, s92, v26
	v_mov_b32_e32 v9, 0x7f800001
	s_and_saveexec_b64 s[66:67], vcc
	s_cbranch_execz .LBB6_4560
; %bb.4559:                             ;   in Loop: Header=BB6_3902 Depth=3
	v_and_b32_e32 v6, 7, v8
	v_ffbh_u32_e32 v9, v6
	v_min_u32_e32 v9, 32, v9
	v_subrev_u32_e32 v29, 28, v9
	v_lshlrev_b64 v[38:39], v29, v[8:9]
	v_lshrrev_b32_e32 v7, 3, v26
	v_sub_u32_e32 v9, 29, v9
	v_and_b32_e32 v29, 7, v38
	v_cmp_gt_u32_e32 vcc, 8, v26
	v_cndmask_b32_e32 v7, v7, v9, vcc
	v_cndmask_b32_e32 v6, v6, v29, vcc
	v_lshlrev_b32_e32 v8, 24, v8
	v_lshlrev_b32_e32 v6, 20, v6
	v_and_b32_e32 v8, 0x80000000, v8
	v_lshl_add_u32 v7, v7, 23, v31
	v_or3_b32 v9, v8, v7, v6
.LBB6_4560:                             ;   in Loop: Header=BB6_3902 Depth=3
	s_or_b64 exec, exec, s[66:67]
.LBB6_4561:                             ;   in Loop: Header=BB6_3902 Depth=3
	s_or_b64 exec, exec, s[64:65]
.LBB6_4562:                             ;   in Loop: Header=BB6_3902 Depth=3
	s_or_b64 exec, exec, s[28:29]
	v_add_f32_e32 v8, v12, v9
	v_and_b32_sdwa v12, v8, s91 dst_sel:DWORD dst_unused:UNUSED_PAD src0_sel:BYTE_3 src1_sel:DWORD
	v_and_b32_e32 v38, 0x7f800000, v8
	v_mov_b32_e32 v39, v27
	v_and_b32_e32 v26, 0x7fffff, v8
	v_or_b32_e32 v57, 0x7e, v12
	v_cmp_ne_u64_e32 vcc, s[52:53], v[38:39]
	s_and_saveexec_b64 s[28:29], vcc
	s_xor_b64 s[64:65], exec, s[28:29]
	s_cbranch_execz .LBB6_4572
; %bb.4563:                             ;   in Loop: Header=BB6_3902 Depth=3
	v_and_b32_e32 v38, 0x7fffffff, v8
	v_mov_b32_e32 v39, v27
	v_cmp_gt_u64_e32 vcc, s[54:55], v[38:39]
	s_and_saveexec_b64 s[66:67], vcc
	s_cbranch_execz .LBB6_4571
; %bb.4564:                             ;   in Loop: Header=BB6_3902 Depth=3
	v_cmp_ne_u32_e32 vcc, 0, v8
	v_mov_b32_e32 v57, 0
	s_and_saveexec_b64 s[68:69], vcc
	s_cbranch_execz .LBB6_4570
; %bb.4565:                             ;   in Loop: Header=BB6_3902 Depth=3
	v_bfe_u32 v6, v8, 23, 8
	v_sub_u32_e32 v8, 0x79, v6
	v_cmp_gt_u32_e32 vcc, s93, v6
	v_add_u32_e32 v7, 0xffffff81, v6
	v_cndmask_b32_e32 v8, 0, v8, vcc
	v_cmp_eq_u32_e32 vcc, 0, v6
	v_mov_b32_e32 v0, 0xffffff82
	v_cndmask_b32_e32 v6, v7, v0, vcc
	v_mov_b32_e32 v0, 0x78
	v_cndmask_b32_e32 v7, v8, v0, vcc
	v_or_b32_e32 v9, 0x800000, v26
	v_add_u32_e32 v8, 20, v7
	v_cndmask_b32_e32 v26, v9, v26, vcc
	v_lshlrev_b64 v[8:9], v8, -1
	v_not_b32_e32 v8, v8
	v_lshrrev_b64 v[42:43], v7, v[26:27]
	v_not_b32_e32 v9, v9
	v_and_b32_e32 v8, v26, v8
	v_add_u32_e32 v29, 19, v7
	v_lshrrev_b32_e32 v26, 23, v42
	v_and_b32_e32 v9, 0, v9
	v_lshlrev_b64 v[38:39], v29, 1
	v_add3_u32 v50, v7, v6, v26
	v_bfe_u32 v6, v42, 20, 1
	v_add_u32_e32 v6, -1, v6
	v_cmp_eq_u64_e32 vcc, v[8:9], v[38:39]
	v_cndmask_b32_e32 v6, 0, v6, vcc
	v_add_u32_e32 v6, v6, v42
	v_and_b32_e32 v6, 0xfffff, v6
	v_add_co_u32_e32 v8, vcc, v6, v42
	v_add_u32_e32 v29, 6, v50
	v_addc_co_u32_e32 v9, vcc, 0, v43, vcc
	v_cmp_ne_u32_e32 vcc, 0, v29
                                        ; implicit-def: $vgpr26
	s_and_saveexec_b64 s[28:29], vcc
	s_xor_b64 s[28:29], exec, s[28:29]
; %bb.4566:                             ;   in Loop: Header=BB6_3902 Depth=3
	v_add_u32_e32 v6, 7, v50
	v_cmp_lt_u64_e32 vcc, s[56:57], v[8:9]
	v_cndmask_b32_e32 v26, v29, v6, vcc
	v_cndmask_b32_e64 v6, 0, 1, vcc
	v_lshrrev_b64 v[8:9], v6, v[8:9]
; %bb.4567:                             ;   in Loop: Header=BB6_3902 Depth=3
	s_andn2_saveexec_b64 s[28:29], s[28:29]
; %bb.4568:                             ;   in Loop: Header=BB6_3902 Depth=3
	v_bfe_u32 v26, v8, 23, 1
; %bb.4569:                             ;   in Loop: Header=BB6_3902 Depth=3
	s_or_b64 exec, exec, s[28:29]
	v_lshrrev_b64 v[8:9], 20, v[8:9]
	v_cmp_gt_i32_e32 vcc, 16, v26
	v_cndmask_b32_e32 v9, 0, v9, vcc
	v_cndmask_b32_e32 v8, 7, v8, vcc
	v_min_i32_e32 v6, 15, v26
	v_cmp_eq_u32_e32 vcc, 0, v26
	v_cmp_eq_u64_e64 s[28:29], 0, v[8:9]
	v_lshlrev_b32_e32 v6, 3, v6
	v_and_or_b32 v6, v8, 7, v6
	s_and_b64 s[28:29], vcc, s[28:29]
	v_cndmask_b32_e64 v6, v6, 0, s[28:29]
	v_or_b32_e32 v57, v6, v12
.LBB6_4570:                             ;   in Loop: Header=BB6_3902 Depth=3
	s_or_b64 exec, exec, s[68:69]
.LBB6_4571:                             ;   in Loop: Header=BB6_3902 Depth=3
	s_or_b64 exec, exec, s[66:67]
                                        ; implicit-def: $vgpr8
.LBB6_4572:                             ;   in Loop: Header=BB6_3902 Depth=3
	s_andn2_saveexec_b64 s[28:29], s[64:65]
; %bb.4573:                             ;   in Loop: Header=BB6_3902 Depth=3
	v_or_b32_sdwa v6, v8, s92 dst_sel:DWORD dst_unused:UNUSED_PAD src0_sel:BYTE_3 src1_sel:DWORD
	v_cmp_eq_u64_e32 vcc, 0, v[26:27]
	v_cndmask_b32_e32 v57, v6, v57, vcc
; %bb.4574:                             ;   in Loop: Header=BB6_3902 Depth=3
	s_or_b64 exec, exec, s[28:29]
	v_mov_b32_e32 v26, v15
	v_cmp_ne_u16_sdwa vcc, v15, v27 src0_sel:BYTE_0 src1_sel:DWORD
	v_mov_b32_e32 v9, 0
	v_mov_b32_e32 v8, 0
	s_and_saveexec_b64 s[28:29], vcc
	s_cbranch_execz .LBB6_4580
; %bb.4575:                             ;   in Loop: Header=BB6_3902 Depth=3
	v_cmp_ne_u16_sdwa vcc, v15, s91 src0_sel:BYTE_0 src1_sel:DWORD
	v_bfrev_b32_e32 v8, 1
	s_and_saveexec_b64 s[64:65], vcc
	s_cbranch_execz .LBB6_4579
; %bb.4576:                             ;   in Loop: Header=BB6_3902 Depth=3
	v_and_b32_e32 v12, 0x7f, v15
	v_cmp_ne_u32_e32 vcc, s92, v12
	v_mov_b32_e32 v8, 0x7f800001
	s_and_saveexec_b64 s[66:67], vcc
	s_cbranch_execz .LBB6_4578
; %bb.4577:                             ;   in Loop: Header=BB6_3902 Depth=3
	v_and_b32_e32 v6, 7, v15
	v_ffbh_u32_e32 v6, v6
	v_min_u32_e32 v6, 32, v6
	v_lshrrev_b32_e32 v7, 3, v12
	v_subrev_u32_e32 v8, 28, v6
	v_sub_u32_e32 v6, 29, v6
	v_cmp_gt_u32_e32 vcc, 8, v12
	v_cndmask_b32_e32 v6, v7, v6, vcc
	v_cndmask_b32_e32 v7, 0, v8, vcc
	v_lshlrev_b64 v[38:39], v7, v[26:27]
	v_lshlrev_b32_e32 v7, 20, v38
	v_lshlrev_b32_e32 v8, 24, v26
	v_and_b32_e32 v7, 0x700000, v7
	v_and_b32_e32 v8, 0x80000000, v8
	v_lshl_add_u32 v6, v6, 23, v31
	v_or3_b32 v8, v8, v6, v7
.LBB6_4578:                             ;   in Loop: Header=BB6_3902 Depth=3
	s_or_b64 exec, exec, s[66:67]
.LBB6_4579:                             ;   in Loop: Header=BB6_3902 Depth=3
	s_or_b64 exec, exec, s[64:65]
.LBB6_4580:                             ;   in Loop: Header=BB6_3902 Depth=3
	s_or_b64 exec, exec, s[28:29]
	v_cmp_ne_u16_sdwa vcc, v11, v27 src0_sel:BYTE_0 src1_sel:DWORD
	s_and_saveexec_b64 s[28:29], vcc
	s_cbranch_execz .LBB6_4586
; %bb.4581:                             ;   in Loop: Header=BB6_3902 Depth=3
	v_cmp_ne_u16_sdwa vcc, v11, s91 src0_sel:BYTE_0 src1_sel:DWORD
	v_bfrev_b32_e32 v9, 1
	s_and_saveexec_b64 s[64:65], vcc
	s_cbranch_execz .LBB6_4585
; %bb.4582:                             ;   in Loop: Header=BB6_3902 Depth=3
	v_and_b32_e32 v12, 0x7f, v11
	v_cmp_ne_u32_e32 vcc, s92, v12
	v_mov_b32_e32 v9, 0x7f800001
	s_and_saveexec_b64 s[66:67], vcc
	s_cbranch_execz .LBB6_4584
; %bb.4583:                             ;   in Loop: Header=BB6_3902 Depth=3
	v_and_b32_e32 v6, 7, v11
	v_ffbh_u32_e32 v6, v6
	v_min_u32_e32 v6, 32, v6
	v_lshrrev_b32_e32 v7, 3, v12
	v_subrev_u32_e32 v9, 28, v6
	v_sub_u32_e32 v6, 29, v6
	v_cmp_gt_u32_e32 vcc, 8, v12
	v_mov_b32_e32 v38, v11
	v_mov_b32_e32 v39, v27
	v_cndmask_b32_e32 v6, v7, v6, vcc
	v_cndmask_b32_e32 v7, 0, v9, vcc
	v_lshlrev_b64 v[50:51], v7, v[38:39]
	v_lshlrev_b32_e32 v7, 20, v50
	v_lshlrev_b32_e32 v9, 24, v38
	v_and_b32_e32 v7, 0x700000, v7
	v_and_b32_e32 v9, 0x80000000, v9
	v_lshl_add_u32 v6, v6, 23, v31
	v_or3_b32 v9, v9, v6, v7
.LBB6_4584:                             ;   in Loop: Header=BB6_3902 Depth=3
	s_or_b64 exec, exec, s[66:67]
.LBB6_4585:                             ;   in Loop: Header=BB6_3902 Depth=3
	s_or_b64 exec, exec, s[64:65]
.LBB6_4586:                             ;   in Loop: Header=BB6_3902 Depth=3
	s_or_b64 exec, exec, s[28:29]
	v_add_f32_e32 v29, v8, v9
	v_and_b32_sdwa v12, v29, s91 dst_sel:DWORD dst_unused:UNUSED_PAD src0_sel:BYTE_3 src1_sel:DWORD
	v_and_b32_e32 v38, 0x7f800000, v29
	v_mov_b32_e32 v39, v27
	v_and_b32_e32 v8, 0x7fffff, v29
	v_mov_b32_e32 v9, v27
	v_or_b32_e32 v43, 0x7e, v12
	v_cmp_ne_u64_e32 vcc, s[52:53], v[38:39]
	s_and_saveexec_b64 s[28:29], vcc
	s_xor_b64 s[64:65], exec, s[28:29]
	s_cbranch_execz .LBB6_4596
; %bb.4587:                             ;   in Loop: Header=BB6_3902 Depth=3
	v_and_b32_e32 v38, 0x7fffffff, v29
	v_mov_b32_e32 v39, v27
	v_cmp_gt_u64_e32 vcc, s[54:55], v[38:39]
	s_and_saveexec_b64 s[66:67], vcc
	s_cbranch_execz .LBB6_4595
; %bb.4588:                             ;   in Loop: Header=BB6_3902 Depth=3
	v_cmp_ne_u32_e32 vcc, 0, v29
	v_mov_b32_e32 v43, 0
	s_and_saveexec_b64 s[68:69], vcc
	s_cbranch_execz .LBB6_4594
; %bb.4589:                             ;   in Loop: Header=BB6_3902 Depth=3
	v_bfe_u32 v6, v29, 23, 8
	v_sub_u32_e32 v29, 0x79, v6
	v_cmp_gt_u32_e32 vcc, s93, v6
	v_add_u32_e32 v7, 0xffffff81, v6
	v_cndmask_b32_e32 v29, 0, v29, vcc
	v_cmp_eq_u32_e32 vcc, 0, v6
	v_mov_b32_e32 v0, 0xffffff82
	v_cndmask_b32_e32 v6, v7, v0, vcc
	v_mov_b32_e32 v0, 0x78
	v_cndmask_b32_e32 v7, v29, v0, vcc
	v_add_u32_e32 v29, 20, v7
	v_or_b32_e32 v32, 0x800000, v8
	v_lshlrev_b64 v[38:39], v29, -1
	v_cndmask_b32_e32 v8, v32, v8, vcc
	v_not_b32_e32 v29, v39
	v_not_b32_e32 v32, v38
	v_and_b32_e32 v39, 0, v29
	v_and_b32_e32 v38, v8, v32
	v_add_u32_e32 v29, 19, v7
	v_lshrrev_b64 v[8:9], v7, v[8:9]
	v_lshlrev_b64 v[42:43], v29, 1
	v_lshrrev_b32_e32 v29, 23, v8
	v_add3_u32 v51, v7, v6, v29
	v_bfe_u32 v6, v8, 20, 1
	v_add_u32_e32 v6, -1, v6
	v_cmp_eq_u64_e32 vcc, v[38:39], v[42:43]
	v_cndmask_b32_e32 v6, 0, v6, vcc
	v_add_u32_e32 v6, v6, v8
	v_and_b32_e32 v6, 0xfffff, v6
	v_add_co_u32_e32 v8, vcc, v6, v8
	v_add_u32_e32 v50, 6, v51
	v_addc_co_u32_e32 v9, vcc, 0, v9, vcc
	v_cmp_ne_u32_e32 vcc, 0, v50
                                        ; implicit-def: $vgpr29
	s_and_saveexec_b64 s[28:29], vcc
	s_xor_b64 s[28:29], exec, s[28:29]
; %bb.4590:                             ;   in Loop: Header=BB6_3902 Depth=3
	v_add_u32_e32 v6, 7, v51
	v_cmp_lt_u64_e32 vcc, s[56:57], v[8:9]
	v_cndmask_b32_e32 v29, v50, v6, vcc
	v_cndmask_b32_e64 v6, 0, 1, vcc
	v_lshrrev_b64 v[8:9], v6, v[8:9]
; %bb.4591:                             ;   in Loop: Header=BB6_3902 Depth=3
	s_andn2_saveexec_b64 s[28:29], s[28:29]
; %bb.4592:                             ;   in Loop: Header=BB6_3902 Depth=3
	v_bfe_u32 v29, v8, 23, 1
; %bb.4593:                             ;   in Loop: Header=BB6_3902 Depth=3
	s_or_b64 exec, exec, s[28:29]
	v_lshrrev_b64 v[8:9], 20, v[8:9]
	v_cmp_gt_i32_e32 vcc, 16, v29
	v_cndmask_b32_e32 v9, 0, v9, vcc
	v_cndmask_b32_e32 v8, 7, v8, vcc
	v_min_i32_e32 v6, 15, v29
	v_cmp_eq_u32_e32 vcc, 0, v29
	v_cmp_eq_u64_e64 s[28:29], 0, v[8:9]
	v_lshlrev_b32_e32 v6, 3, v6
	v_and_or_b32 v6, v8, 7, v6
	s_and_b64 s[28:29], vcc, s[28:29]
	v_cndmask_b32_e64 v6, v6, 0, s[28:29]
	v_or_b32_e32 v43, v6, v12
.LBB6_4594:                             ;   in Loop: Header=BB6_3902 Depth=3
	s_or_b64 exec, exec, s[68:69]
.LBB6_4595:                             ;   in Loop: Header=BB6_3902 Depth=3
	s_or_b64 exec, exec, s[66:67]
                                        ; implicit-def: $vgpr29
                                        ; implicit-def: $vgpr8_vgpr9
.LBB6_4596:                             ;   in Loop: Header=BB6_3902 Depth=3
	s_andn2_saveexec_b64 s[28:29], s[64:65]
; %bb.4597:                             ;   in Loop: Header=BB6_3902 Depth=3
	v_or_b32_sdwa v6, v29, s92 dst_sel:DWORD dst_unused:UNUSED_PAD src0_sel:BYTE_3 src1_sel:DWORD
	v_cmp_eq_u64_e32 vcc, 0, v[8:9]
	v_cndmask_b32_e32 v43, v6, v43, vcc
; %bb.4598:                             ;   in Loop: Header=BB6_3902 Depth=3
	s_or_b64 exec, exec, s[28:29]
	v_lshrrev_b16_e32 v8, 8, v26
	v_cmp_ne_u16_e32 vcc, 0, v8
	v_mov_b32_e32 v9, 0
	v_mov_b32_e32 v29, 0
	s_and_saveexec_b64 s[28:29], vcc
	s_cbranch_execz .LBB6_4604
; %bb.4599:                             ;   in Loop: Header=BB6_3902 Depth=3
	v_cmp_ne_u16_e32 vcc, s91, v8
	v_bfrev_b32_e32 v29, 1
	s_and_saveexec_b64 s[64:65], vcc
	s_cbranch_execz .LBB6_4603
; %bb.4600:                             ;   in Loop: Header=BB6_3902 Depth=3
	v_and_b32_e32 v12, 0x7f, v8
	v_cmp_ne_u32_e32 vcc, s92, v12
	v_mov_b32_e32 v29, 0x7f800001
	s_and_saveexec_b64 s[66:67], vcc
	s_cbranch_execz .LBB6_4602
; %bb.4601:                             ;   in Loop: Header=BB6_3902 Depth=3
	v_and_b32_e32 v6, 7, v8
	v_ffbh_u32_e32 v29, v6
	v_min_u32_e32 v29, 32, v29
	v_subrev_u32_e32 v32, 28, v29
	v_lshlrev_b64 v[38:39], v32, v[8:9]
	v_lshrrev_b32_e32 v7, 3, v12
	v_sub_u32_e32 v8, 29, v29
	v_and_b32_e32 v29, 7, v38
	v_cmp_gt_u32_e32 vcc, 8, v12
	v_cndmask_b32_e32 v7, v7, v8, vcc
	v_cndmask_b32_e32 v6, v6, v29, vcc
	v_lshlrev_b32_e32 v8, 16, v26
	v_lshlrev_b32_e32 v6, 20, v6
	v_and_b32_e32 v8, 0x80000000, v8
	v_lshl_add_u32 v7, v7, 23, v31
	v_or3_b32 v29, v8, v7, v6
.LBB6_4602:                             ;   in Loop: Header=BB6_3902 Depth=3
	s_or_b64 exec, exec, s[66:67]
.LBB6_4603:                             ;   in Loop: Header=BB6_3902 Depth=3
	s_or_b64 exec, exec, s[64:65]
.LBB6_4604:                             ;   in Loop: Header=BB6_3902 Depth=3
	s_or_b64 exec, exec, s[28:29]
	v_mov_b32_e32 v8, v11
	v_lshrrev_b16_e32 v12, 8, v8
	v_cmp_ne_u16_e32 vcc, 0, v12
	s_and_saveexec_b64 s[28:29], vcc
	s_cbranch_execz .LBB6_4610
; %bb.4605:                             ;   in Loop: Header=BB6_3902 Depth=3
	v_cmp_ne_u16_e32 vcc, s91, v12
	v_bfrev_b32_e32 v9, 1
	s_and_saveexec_b64 s[64:65], vcc
	s_cbranch_execz .LBB6_4609
; %bb.4606:                             ;   in Loop: Header=BB6_3902 Depth=3
	v_and_b32_e32 v26, 0x7f, v12
	v_cmp_ne_u32_e32 vcc, s92, v26
	v_mov_b32_e32 v9, 0x7f800001
	s_and_saveexec_b64 s[66:67], vcc
	s_cbranch_execz .LBB6_4608
; %bb.4607:                             ;   in Loop: Header=BB6_3902 Depth=3
	v_and_b32_e32 v6, 7, v12
	v_ffbh_u32_e32 v9, v6
	v_min_u32_e32 v9, 32, v9
	v_subrev_u32_e32 v32, 28, v9
	v_lshlrev_b64 v[38:39], v32, v[12:13]
	v_lshrrev_b32_e32 v7, 3, v26
	v_sub_u32_e32 v9, 29, v9
	v_and_b32_e32 v12, 7, v38
	v_cmp_gt_u32_e32 vcc, 8, v26
	v_cndmask_b32_e32 v7, v7, v9, vcc
	v_cndmask_b32_e32 v6, v6, v12, vcc
	v_lshlrev_b32_e32 v8, 16, v8
	v_lshlrev_b32_e32 v6, 20, v6
	v_and_b32_e32 v8, 0x80000000, v8
	v_lshl_add_u32 v7, v7, 23, v31
	v_or3_b32 v9, v8, v7, v6
.LBB6_4608:                             ;   in Loop: Header=BB6_3902 Depth=3
	s_or_b64 exec, exec, s[66:67]
.LBB6_4609:                             ;   in Loop: Header=BB6_3902 Depth=3
	s_or_b64 exec, exec, s[64:65]
.LBB6_4610:                             ;   in Loop: Header=BB6_3902 Depth=3
	s_or_b64 exec, exec, s[28:29]
	v_add_f32_e32 v8, v29, v9
	v_and_b32_sdwa v29, v8, s91 dst_sel:DWORD dst_unused:UNUSED_PAD src0_sel:BYTE_3 src1_sel:DWORD
	v_and_b32_e32 v38, 0x7f800000, v8
	v_mov_b32_e32 v39, v27
	v_and_b32_e32 v26, 0x7fffff, v8
	v_or_b32_e32 v12, 0x7e, v29
	v_cmp_ne_u64_e32 vcc, s[52:53], v[38:39]
	s_and_saveexec_b64 s[28:29], vcc
	s_xor_b64 s[64:65], exec, s[28:29]
	s_cbranch_execz .LBB6_4620
; %bb.4611:                             ;   in Loop: Header=BB6_3902 Depth=3
	v_and_b32_e32 v38, 0x7fffffff, v8
	v_mov_b32_e32 v39, v27
	v_cmp_gt_u64_e32 vcc, s[54:55], v[38:39]
	s_and_saveexec_b64 s[66:67], vcc
	s_cbranch_execz .LBB6_4619
; %bb.4612:                             ;   in Loop: Header=BB6_3902 Depth=3
	v_cmp_ne_u32_e32 vcc, 0, v8
	v_mov_b32_e32 v12, 0
	s_and_saveexec_b64 s[68:69], vcc
	s_cbranch_execz .LBB6_4618
; %bb.4613:                             ;   in Loop: Header=BB6_3902 Depth=3
	v_bfe_u32 v6, v8, 23, 8
	v_sub_u32_e32 v8, 0x79, v6
	v_cmp_gt_u32_e32 vcc, s93, v6
	v_add_u32_e32 v7, 0xffffff81, v6
	v_cndmask_b32_e32 v8, 0, v8, vcc
	v_cmp_eq_u32_e32 vcc, 0, v6
	v_mov_b32_e32 v0, 0xffffff82
	v_cndmask_b32_e32 v12, v7, v0, vcc
	v_mov_b32_e32 v0, 0x78
	v_cndmask_b32_e32 v32, v8, v0, vcc
	v_or_b32_e32 v9, 0x800000, v26
	v_add_u32_e32 v6, 20, v32
	v_cndmask_b32_e32 v26, v9, v26, vcc
	v_lshlrev_b64 v[8:9], v6, -1
	v_not_b32_e32 v6, v9
	v_not_b32_e32 v7, v8
	v_and_b32_e32 v9, 0, v6
	v_add_u32_e32 v6, 19, v32
	v_and_b32_e32 v8, v26, v7
	v_lshlrev_b64 v[38:39], v6, 1
	v_lshrrev_b64 v[6:7], v32, v[26:27]
	v_lshrrev_b32_e32 v26, 23, v6
	v_add3_u32 v50, v32, v12, v26
	v_bfe_u32 v12, v6, 20, 1
	v_add_u32_e32 v12, -1, v12
	v_cmp_eq_u64_e32 vcc, v[8:9], v[38:39]
	v_cndmask_b32_e32 v8, 0, v12, vcc
	v_add_u32_e32 v8, v8, v6
	v_and_b32_e32 v8, 0xfffff, v8
	v_add_co_u32_e32 v8, vcc, v8, v6
	v_add_u32_e32 v26, 6, v50
	v_addc_co_u32_e32 v9, vcc, 0, v7, vcc
	v_cmp_ne_u32_e32 vcc, 0, v26
                                        ; implicit-def: $vgpr12
	s_and_saveexec_b64 s[28:29], vcc
	s_xor_b64 s[28:29], exec, s[28:29]
; %bb.4614:                             ;   in Loop: Header=BB6_3902 Depth=3
	v_add_u32_e32 v6, 7, v50
	v_cmp_lt_u64_e32 vcc, s[56:57], v[8:9]
	v_cndmask_b32_e32 v12, v26, v6, vcc
	v_cndmask_b32_e64 v6, 0, 1, vcc
	v_lshrrev_b64 v[8:9], v6, v[8:9]
; %bb.4615:                             ;   in Loop: Header=BB6_3902 Depth=3
	s_andn2_saveexec_b64 s[28:29], s[28:29]
; %bb.4616:                             ;   in Loop: Header=BB6_3902 Depth=3
	v_bfe_u32 v12, v8, 23, 1
; %bb.4617:                             ;   in Loop: Header=BB6_3902 Depth=3
	s_or_b64 exec, exec, s[28:29]
	v_lshrrev_b64 v[6:7], 20, v[8:9]
	v_cmp_gt_i32_e32 vcc, 16, v12
	v_cndmask_b32_e32 v7, 0, v7, vcc
	v_cndmask_b32_e32 v6, 7, v6, vcc
	v_cmp_eq_u64_e64 s[28:29], 0, v[6:7]
	v_min_i32_e32 v7, 15, v12
	v_cmp_eq_u32_e32 vcc, 0, v12
	v_lshlrev_b32_e32 v7, 3, v7
	v_and_or_b32 v6, v6, 7, v7
	s_and_b64 s[28:29], vcc, s[28:29]
	v_cndmask_b32_e64 v6, v6, 0, s[28:29]
	v_or_b32_e32 v12, v6, v29
.LBB6_4618:                             ;   in Loop: Header=BB6_3902 Depth=3
	s_or_b64 exec, exec, s[68:69]
.LBB6_4619:                             ;   in Loop: Header=BB6_3902 Depth=3
	s_or_b64 exec, exec, s[66:67]
                                        ; implicit-def: $vgpr8
.LBB6_4620:                             ;   in Loop: Header=BB6_3902 Depth=3
	s_andn2_saveexec_b64 s[28:29], s[64:65]
; %bb.4621:                             ;   in Loop: Header=BB6_3902 Depth=3
	v_or_b32_sdwa v6, v8, s92 dst_sel:DWORD dst_unused:UNUSED_PAD src0_sel:BYTE_3 src1_sel:DWORD
	v_cmp_eq_u64_e32 vcc, 0, v[26:27]
	v_cndmask_b32_e32 v12, v6, v12, vcc
; %bb.4622:                             ;   in Loop: Header=BB6_3902 Depth=3
	s_or_b64 exec, exec, s[28:29]
	v_lshrrev_b32_e32 v8, 16, v15
	v_cmp_ne_u16_sdwa vcc, v8, v27 src0_sel:BYTE_0 src1_sel:DWORD
	v_mov_b32_e32 v9, 0
	v_mov_b32_e32 v26, 0
	s_and_saveexec_b64 s[28:29], vcc
	s_cbranch_execz .LBB6_4628
; %bb.4623:                             ;   in Loop: Header=BB6_3902 Depth=3
	v_cmp_ne_u16_sdwa vcc, v8, s91 src0_sel:BYTE_0 src1_sel:DWORD
	v_bfrev_b32_e32 v26, 1
	s_and_saveexec_b64 s[64:65], vcc
	s_cbranch_execz .LBB6_4627
; %bb.4624:                             ;   in Loop: Header=BB6_3902 Depth=3
	v_bfe_u32 v29, v15, 16, 7
	v_cmp_ne_u32_e32 vcc, s92, v29
	v_mov_b32_e32 v26, 0x7f800001
	s_and_saveexec_b64 s[66:67], vcc
	s_cbranch_execz .LBB6_4626
; %bb.4625:                             ;   in Loop: Header=BB6_3902 Depth=3
	v_and_b32_e32 v26, 7, v8
	v_ffbh_u32_e32 v6, v26
	v_min_u32_e32 v33, 32, v6
	v_subrev_u32_e32 v6, 28, v33
	v_lshlrev_b64 v[6:7], v6, v[8:9]
	v_lshrrev_b32_e32 v32, 3, v29
	v_sub_u32_e32 v7, 29, v33
	v_and_b32_e32 v6, 7, v6
	v_cmp_gt_u32_e32 vcc, 8, v29
	v_cndmask_b32_e32 v7, v32, v7, vcc
	v_cndmask_b32_e32 v6, v26, v6, vcc
	v_lshlrev_b32_e32 v8, 24, v8
	v_lshlrev_b32_e32 v6, 20, v6
	v_and_b32_e32 v8, 0x80000000, v8
	v_lshl_add_u32 v7, v7, 23, v31
	v_or3_b32 v26, v8, v7, v6
.LBB6_4626:                             ;   in Loop: Header=BB6_3902 Depth=3
	s_or_b64 exec, exec, s[66:67]
.LBB6_4627:                             ;   in Loop: Header=BB6_3902 Depth=3
	s_or_b64 exec, exec, s[64:65]
.LBB6_4628:                             ;   in Loop: Header=BB6_3902 Depth=3
	s_or_b64 exec, exec, s[28:29]
	v_lshrrev_b32_e32 v8, 16, v11
	v_cmp_ne_u16_sdwa vcc, v8, v27 src0_sel:BYTE_0 src1_sel:DWORD
	s_and_saveexec_b64 s[28:29], vcc
	s_cbranch_execz .LBB6_4634
; %bb.4629:                             ;   in Loop: Header=BB6_3902 Depth=3
	v_cmp_ne_u16_sdwa vcc, v8, s91 src0_sel:BYTE_0 src1_sel:DWORD
	v_bfrev_b32_e32 v9, 1
	s_and_saveexec_b64 s[64:65], vcc
	s_cbranch_execz .LBB6_4633
; %bb.4630:                             ;   in Loop: Header=BB6_3902 Depth=3
	v_bfe_u32 v29, v11, 16, 7
	v_cmp_ne_u32_e32 vcc, s92, v29
	v_mov_b32_e32 v9, 0x7f800001
	s_and_saveexec_b64 s[66:67], vcc
	s_cbranch_execz .LBB6_4632
; %bb.4631:                             ;   in Loop: Header=BB6_3902 Depth=3
	v_and_b32_e32 v9, 7, v8
	v_ffbh_u32_e32 v6, v9
	v_min_u32_e32 v33, 32, v6
	v_subrev_u32_e32 v6, 28, v33
	v_lshlrev_b64 v[6:7], v6, v[8:9]
	v_lshrrev_b32_e32 v32, 3, v29
	v_sub_u32_e32 v7, 29, v33
	v_and_b32_e32 v6, 7, v6
	v_cmp_gt_u32_e32 vcc, 8, v29
	v_cndmask_b32_e32 v7, v32, v7, vcc
	v_cndmask_b32_e32 v6, v9, v6, vcc
	v_lshlrev_b32_e32 v8, 8, v11
	v_lshlrev_b32_e32 v6, 20, v6
	v_and_b32_e32 v8, 0x80000000, v8
	v_lshl_add_u32 v7, v7, 23, v31
	v_or3_b32 v9, v8, v7, v6
.LBB6_4632:                             ;   in Loop: Header=BB6_3902 Depth=3
	s_or_b64 exec, exec, s[66:67]
.LBB6_4633:                             ;   in Loop: Header=BB6_3902 Depth=3
	s_or_b64 exec, exec, s[64:65]
.LBB6_4634:                             ;   in Loop: Header=BB6_3902 Depth=3
	s_or_b64 exec, exec, s[28:29]
	v_add_f32_e32 v8, v26, v9
	v_and_b32_sdwa v50, v8, s91 dst_sel:DWORD dst_unused:UNUSED_PAD src0_sel:BYTE_3 src1_sel:DWORD
	v_and_b32_e32 v6, 0x7f800000, v8
	v_mov_b32_e32 v7, v27
	v_and_b32_e32 v26, 0x7fffff, v8
	v_or_b32_e32 v29, 0x7e, v50
	v_cmp_ne_u64_e32 vcc, s[52:53], v[6:7]
	s_and_saveexec_b64 s[28:29], vcc
	s_xor_b64 s[64:65], exec, s[28:29]
	s_cbranch_execz .LBB6_4644
; %bb.4635:                             ;   in Loop: Header=BB6_3902 Depth=3
	v_and_b32_e32 v6, 0x7fffffff, v8
	v_mov_b32_e32 v7, v27
	v_cmp_gt_u64_e32 vcc, s[54:55], v[6:7]
	s_and_saveexec_b64 s[66:67], vcc
	s_cbranch_execz .LBB6_4643
; %bb.4636:                             ;   in Loop: Header=BB6_3902 Depth=3
	v_cmp_ne_u32_e32 vcc, 0, v8
	v_mov_b32_e32 v29, 0
	s_and_saveexec_b64 s[68:69], vcc
	s_cbranch_execz .LBB6_4642
; %bb.4637:                             ;   in Loop: Header=BB6_3902 Depth=3
	v_bfe_u32 v6, v8, 23, 8
	v_sub_u32_e32 v8, 0x79, v6
	v_cmp_gt_u32_e32 vcc, s93, v6
	v_add_u32_e32 v7, 0xffffff81, v6
	v_cndmask_b32_e32 v8, 0, v8, vcc
	v_cmp_eq_u32_e32 vcc, 0, v6
	v_mov_b32_e32 v0, 0xffffff82
	v_cndmask_b32_e32 v29, v7, v0, vcc
	v_mov_b32_e32 v0, 0x78
	v_cndmask_b32_e32 v32, v8, v0, vcc
	v_or_b32_e32 v9, 0x800000, v26
	v_add_u32_e32 v6, 20, v32
	v_cndmask_b32_e32 v26, v9, v26, vcc
	v_lshlrev_b64 v[6:7], v6, -1
	v_not_b32_e32 v6, v6
	v_lshrrev_b64 v[38:39], v32, v[26:27]
	v_not_b32_e32 v7, v7
	v_and_b32_e32 v6, v26, v6
	v_add_u32_e32 v8, 19, v32
	v_lshrrev_b32_e32 v26, 23, v38
	v_and_b32_e32 v7, 0, v7
	v_lshlrev_b64 v[8:9], v8, 1
	v_add3_u32 v51, v32, v29, v26
	v_bfe_u32 v26, v38, 20, 1
	v_add_u32_e32 v26, -1, v26
	v_cmp_eq_u64_e32 vcc, v[6:7], v[8:9]
	v_cndmask_b32_e32 v6, 0, v26, vcc
	v_add_u32_e32 v6, v6, v38
	v_and_b32_e32 v6, 0xfffff, v6
	v_add_co_u32_e32 v8, vcc, v6, v38
	v_add_u32_e32 v29, 6, v51
	v_addc_co_u32_e32 v9, vcc, 0, v39, vcc
	v_cmp_ne_u32_e32 vcc, 0, v29
                                        ; implicit-def: $vgpr26
	s_and_saveexec_b64 s[28:29], vcc
	s_xor_b64 s[28:29], exec, s[28:29]
; %bb.4638:                             ;   in Loop: Header=BB6_3902 Depth=3
	v_add_u32_e32 v6, 7, v51
	v_cmp_lt_u64_e32 vcc, s[56:57], v[8:9]
	v_cndmask_b32_e32 v26, v29, v6, vcc
	v_cndmask_b32_e64 v6, 0, 1, vcc
	v_lshrrev_b64 v[8:9], v6, v[8:9]
; %bb.4639:                             ;   in Loop: Header=BB6_3902 Depth=3
	s_andn2_saveexec_b64 s[28:29], s[28:29]
; %bb.4640:                             ;   in Loop: Header=BB6_3902 Depth=3
	v_bfe_u32 v26, v8, 23, 1
; %bb.4641:                             ;   in Loop: Header=BB6_3902 Depth=3
	s_or_b64 exec, exec, s[28:29]
	v_lshrrev_b64 v[6:7], 20, v[8:9]
	v_cmp_gt_i32_e32 vcc, 16, v26
	v_cndmask_b32_e32 v7, 0, v7, vcc
	v_cndmask_b32_e32 v6, 7, v6, vcc
	v_cmp_eq_u64_e64 s[28:29], 0, v[6:7]
	v_min_i32_e32 v7, 15, v26
	v_lshlrev_b32_e32 v7, 3, v7
	v_cmp_eq_u32_e32 vcc, 0, v26
	v_and_b32_e32 v7, 0xf8, v7
	v_and_or_b32 v6, v6, 7, v7
	s_and_b64 s[28:29], vcc, s[28:29]
	v_cndmask_b32_e64 v6, v6, 0, s[28:29]
	v_or_b32_e32 v29, v6, v50
.LBB6_4642:                             ;   in Loop: Header=BB6_3902 Depth=3
	s_or_b64 exec, exec, s[68:69]
.LBB6_4643:                             ;   in Loop: Header=BB6_3902 Depth=3
	s_or_b64 exec, exec, s[66:67]
                                        ; implicit-def: $vgpr8
.LBB6_4644:                             ;   in Loop: Header=BB6_3902 Depth=3
	s_andn2_saveexec_b64 s[28:29], s[64:65]
; %bb.4645:                             ;   in Loop: Header=BB6_3902 Depth=3
	v_or_b32_sdwa v6, v8, s92 dst_sel:DWORD dst_unused:UNUSED_PAD src0_sel:BYTE_3 src1_sel:DWORD
	v_cmp_eq_u64_e32 vcc, 0, v[26:27]
	v_cndmask_b32_e32 v29, v6, v29, vcc
; %bb.4646:                             ;   in Loop: Header=BB6_3902 Depth=3
	s_or_b64 exec, exec, s[28:29]
	v_cmp_lt_u64_e32 vcc, s[42:43], v[14:15]
	v_mov_b32_e32 v9, 0
	v_mov_b32_e32 v14, 0
	s_and_saveexec_b64 s[28:29], vcc
	s_cbranch_execz .LBB6_4652
; %bb.4647:                             ;   in Loop: Header=BB6_3902 Depth=3
	v_lshrrev_b32_e32 v8, 24, v15
	v_cmp_ne_u32_e32 vcc, s91, v8
	v_bfrev_b32_e32 v14, 1
	s_and_saveexec_b64 s[64:65], vcc
	s_cbranch_execz .LBB6_4651
; %bb.4648:                             ;   in Loop: Header=BB6_3902 Depth=3
	v_bfe_u32 v15, v15, 24, 7
	v_cmp_ne_u32_e32 vcc, s92, v15
	v_mov_b32_e32 v14, 0x7f800001
	s_and_saveexec_b64 s[66:67], vcc
	s_cbranch_execz .LBB6_4650
; %bb.4649:                             ;   in Loop: Header=BB6_3902 Depth=3
	v_and_b32_e32 v14, 7, v8
	v_ffbh_u32_e32 v6, v14
	v_min_u32_e32 v32, 32, v6
	v_subrev_u32_e32 v6, 28, v32
	v_lshlrev_b64 v[6:7], v6, v[8:9]
	v_lshrrev_b32_e32 v26, 3, v15
	v_sub_u32_e32 v7, 29, v32
	v_and_b32_e32 v6, 7, v6
	v_cmp_gt_u32_e32 vcc, 8, v15
	v_cndmask_b32_e32 v7, v26, v7, vcc
	v_cndmask_b32_e32 v6, v14, v6, vcc
	v_lshlrev_b32_e32 v8, 24, v8
	v_lshlrev_b32_e32 v6, 20, v6
	v_and_b32_e32 v8, 0x80000000, v8
	v_lshl_add_u32 v7, v7, 23, v31
	v_or3_b32 v14, v8, v7, v6
.LBB6_4650:                             ;   in Loop: Header=BB6_3902 Depth=3
	s_or_b64 exec, exec, s[66:67]
.LBB6_4651:                             ;   in Loop: Header=BB6_3902 Depth=3
	s_or_b64 exec, exec, s[64:65]
.LBB6_4652:                             ;   in Loop: Header=BB6_3902 Depth=3
	s_or_b64 exec, exec, s[28:29]
	v_cmp_lt_u64_e32 vcc, s[42:43], v[10:11]
	s_and_saveexec_b64 s[28:29], vcc
	s_cbranch_execz .LBB6_4658
; %bb.4653:                             ;   in Loop: Header=BB6_3902 Depth=3
	v_lshrrev_b32_e32 v8, 24, v11
	v_cmp_ne_u32_e32 vcc, s91, v8
	v_bfrev_b32_e32 v9, 1
	s_and_saveexec_b64 s[64:65], vcc
	s_cbranch_execz .LBB6_4657
; %bb.4654:                             ;   in Loop: Header=BB6_3902 Depth=3
	v_bfe_u32 v10, v11, 24, 7
	v_cmp_ne_u32_e32 vcc, s92, v10
	v_mov_b32_e32 v9, 0x7f800001
	s_and_saveexec_b64 s[66:67], vcc
	s_cbranch_execz .LBB6_4656
; %bb.4655:                             ;   in Loop: Header=BB6_3902 Depth=3
	v_and_b32_e32 v9, 7, v8
	v_ffbh_u32_e32 v6, v9
	v_min_u32_e32 v15, 32, v6
	v_subrev_u32_e32 v6, 28, v15
	v_lshlrev_b64 v[6:7], v6, v[8:9]
	v_lshrrev_b32_e32 v11, 3, v10
	v_sub_u32_e32 v7, 29, v15
	v_and_b32_e32 v6, 7, v6
	v_cmp_gt_u32_e32 vcc, 8, v10
	v_cndmask_b32_e32 v7, v11, v7, vcc
	v_cndmask_b32_e32 v6, v9, v6, vcc
	v_lshlrev_b32_e32 v8, 24, v8
	v_lshlrev_b32_e32 v6, 20, v6
	v_and_b32_e32 v8, 0x80000000, v8
	v_lshl_add_u32 v7, v7, 23, v31
	v_or3_b32 v9, v8, v7, v6
.LBB6_4656:                             ;   in Loop: Header=BB6_3902 Depth=3
	s_or_b64 exec, exec, s[66:67]
.LBB6_4657:                             ;   in Loop: Header=BB6_3902 Depth=3
	s_or_b64 exec, exec, s[64:65]
.LBB6_4658:                             ;   in Loop: Header=BB6_3902 Depth=3
	s_or_b64 exec, exec, s[28:29]
	v_add_f32_e32 v9, v14, v9
	v_and_b32_sdwa v10, v9, s91 dst_sel:DWORD dst_unused:UNUSED_PAD src0_sel:BYTE_3 src1_sel:DWORD
	v_and_b32_e32 v6, 0x7f800000, v9
	v_mov_b32_e32 v7, v27
	v_and_b32_e32 v26, 0x7fffff, v9
	v_or_b32_e32 v8, 0x7e, v10
	v_cmp_ne_u64_e32 vcc, s[52:53], v[6:7]
	s_and_saveexec_b64 s[28:29], vcc
	s_xor_b64 s[64:65], exec, s[28:29]
	s_cbranch_execz .LBB6_4668
; %bb.4659:                             ;   in Loop: Header=BB6_3902 Depth=3
	v_and_b32_e32 v6, 0x7fffffff, v9
	v_mov_b32_e32 v7, v27
	v_cmp_gt_u64_e32 vcc, s[54:55], v[6:7]
	s_and_saveexec_b64 s[66:67], vcc
	s_cbranch_execz .LBB6_4667
; %bb.4660:                             ;   in Loop: Header=BB6_3902 Depth=3
	v_cmp_ne_u32_e32 vcc, 0, v9
	v_mov_b32_e32 v8, 0
	s_and_saveexec_b64 s[68:69], vcc
	s_cbranch_execz .LBB6_4666
; %bb.4661:                             ;   in Loop: Header=BB6_3902 Depth=3
	v_bfe_u32 v6, v9, 23, 8
	v_sub_u32_e32 v8, 0x79, v6
	v_cmp_gt_u32_e32 vcc, s93, v6
	v_add_u32_e32 v7, 0xffffff81, v6
	v_cndmask_b32_e32 v8, 0, v8, vcc
	v_cmp_eq_u32_e32 vcc, 0, v6
	v_mov_b32_e32 v0, 0xffffff82
	v_cndmask_b32_e32 v11, v7, v0, vcc
	v_mov_b32_e32 v0, 0x78
	v_or_b32_e32 v9, 0x800000, v26
	v_cndmask_b32_e32 v14, v8, v0, vcc
	v_cndmask_b32_e32 v26, v9, v26, vcc
	v_add_u32_e32 v6, 20, v14
	v_lshlrev_b64 v[6:7], v6, -1
	v_lshrrev_b64 v[38:39], v14, v[26:27]
	v_not_b32_e32 v7, v7
	v_not_b32_e32 v6, v6
	v_add_u32_e32 v8, 19, v14
	v_lshrrev_b32_e32 v15, 23, v38
	v_and_b32_e32 v7, 0, v7
	v_and_b32_e32 v6, v26, v6
	v_lshlrev_b64 v[8:9], v8, 1
	v_add3_u32 v15, v14, v11, v15
	v_bfe_u32 v11, v38, 20, 1
	v_add_u32_e32 v11, -1, v11
	v_cmp_eq_u64_e32 vcc, v[6:7], v[8:9]
	v_cndmask_b32_e32 v6, 0, v11, vcc
	v_add_u32_e32 v6, v6, v38
	v_and_b32_e32 v6, 0xfffff, v6
	v_add_co_u32_e32 v8, vcc, v6, v38
	v_add_u32_e32 v14, 6, v15
	v_addc_co_u32_e32 v9, vcc, 0, v39, vcc
	v_cmp_ne_u32_e32 vcc, 0, v14
                                        ; implicit-def: $vgpr11
	s_and_saveexec_b64 s[28:29], vcc
	s_xor_b64 s[28:29], exec, s[28:29]
; %bb.4662:                             ;   in Loop: Header=BB6_3902 Depth=3
	v_add_u32_e32 v6, 7, v15
	v_cmp_lt_u64_e32 vcc, s[56:57], v[8:9]
	v_cndmask_b32_e32 v11, v14, v6, vcc
	v_cndmask_b32_e64 v6, 0, 1, vcc
	v_lshrrev_b64 v[8:9], v6, v[8:9]
; %bb.4663:                             ;   in Loop: Header=BB6_3902 Depth=3
	s_andn2_saveexec_b64 s[28:29], s[28:29]
; %bb.4664:                             ;   in Loop: Header=BB6_3902 Depth=3
	v_bfe_u32 v11, v8, 23, 1
; %bb.4665:                             ;   in Loop: Header=BB6_3902 Depth=3
	s_or_b64 exec, exec, s[28:29]
	v_lshrrev_b64 v[6:7], 20, v[8:9]
	v_cmp_gt_i32_e32 vcc, 16, v11
	v_cndmask_b32_e32 v7, 0, v7, vcc
	v_cndmask_b32_e32 v6, 7, v6, vcc
	v_cmp_eq_u64_e64 s[28:29], 0, v[6:7]
	v_min_i32_e32 v7, 15, v11
	v_lshlrev_b32_e32 v7, 3, v7
	v_cmp_eq_u32_e32 vcc, 0, v11
	v_and_b32_e32 v7, 0xf8, v7
	v_and_or_b32 v6, v6, 7, v7
	s_and_b64 s[28:29], vcc, s[28:29]
	v_cndmask_b32_e64 v6, v6, 0, s[28:29]
	v_or_b32_e32 v8, v6, v10
.LBB6_4666:                             ;   in Loop: Header=BB6_3902 Depth=3
	s_or_b64 exec, exec, s[68:69]
.LBB6_4667:                             ;   in Loop: Header=BB6_3902 Depth=3
	s_or_b64 exec, exec, s[66:67]
                                        ; implicit-def: $vgpr9
.LBB6_4668:                             ;   in Loop: Header=BB6_3902 Depth=3
	s_andn2_saveexec_b64 s[28:29], s[64:65]
	s_cbranch_execz .LBB6_3901
; %bb.4669:                             ;   in Loop: Header=BB6_3902 Depth=3
	v_or_b32_sdwa v6, v9, s92 dst_sel:DWORD dst_unused:UNUSED_PAD src0_sel:BYTE_3 src1_sel:DWORD
	v_cmp_eq_u64_e32 vcc, 0, v[26:27]
	v_cndmask_b32_e32 v8, v6, v8, vcc
	s_branch .LBB6_3901
.LBB6_4670:                             ;   in Loop: Header=BB6_2119 Depth=2
	s_or_b64 exec, exec, s[34:35]
	v_accvgpr_read_b32 v55, a43
	v_accvgpr_read_b32 v41, a44
	;; [unrolled: 1-line block ×3, first 2 shown]
.LBB6_4671:                             ;   in Loop: Header=BB6_2119 Depth=2
	s_or_b64 exec, exec, s[30:31]
	v_lshlrev_b32_e32 v1, 11, v1
	v_accvgpr_read_b32 v0, a61
	v_cmp_ne_u32_e32 vcc, v0, v1
	s_mov_b64 s[28:29], 0
	v_mov_b32_e32 v59, 0
                                        ; implicit-def: $vgpr42
                                        ; implicit-def: $vgpr0
                                        ; implicit-def: $vgpr4
	s_and_saveexec_b64 s[34:35], vcc
	s_cbranch_execz .LBB6_5063
; %bb.4672:                             ;   in Loop: Header=BB6_2119 Depth=2
	v_accvgpr_read_b32 v0, a61
	v_sub_u32_e32 v5, v0, v1
	v_lshlrev_b32_e32 v2, 6, v46
	v_accvgpr_read_b32 v0, a42
	v_sub_u32_e32 v2, v0, v2
	v_ashrrev_i32_e32 v3, 31, v2
	v_lshrrev_b32_e32 v3, 26, v3
	v_add_u32_e32 v3, v2, v3
	v_ashrrev_i32_e32 v7, 6, v3
	v_and_b32_e32 v3, 0xffffffc0, v3
	v_sub_u32_e32 v2, v2, v3
	v_lshlrev_b32_e32 v3, 4, v2
	v_lshl_add_u32 v4, v7, 10, v3
	v_ashrrev_i32_e32 v3, 31, v5
	v_lshrrev_b32_e32 v3, 22, v3
	v_add_u32_e32 v3, v5, v3
	v_ashrrev_i32_e32 v8, 10, v3
	v_and_b32_e32 v3, 0xfffffc00, v3
	v_sub_u32_e32 v24, v5, v3
	v_cmp_lt_i32_e32 vcc, 15, v24
	v_sub_u32_e32 v6, v5, v4
	v_addc_co_u32_e64 v5, s[28:29], 0, v8, vcc
	v_sub_u32_e32 v23, v5, v7
	v_cmp_lt_i32_e64 s[28:29], 15, v6
	s_and_saveexec_b64 s[64:65], s[28:29]
	s_cbranch_execz .LBB6_5060
; %bb.4673:                             ;   in Loop: Header=BB6_2119 Depth=2
	s_trap 2
	ds_read_b128 v[8:11], v0
	ds_read_b64 v[12:13], v0
	v_add_u32_e32 v7, v4, v1
	v_ashrrev_i32_e32 v14, 31, v7
	s_mov_b64 s[66:67], 0
	s_waitcnt lgkmcnt(0)
	v_add_co_u32_e64 v4, s[28:29], v8, v7
	v_addc_co_u32_e64 v5, s[28:29], v9, v14, s[28:29]
	v_add_co_u32_e64 v16, s[28:29], v10, v7
	v_addc_co_u32_e64 v17, s[28:29], v11, v14, s[28:29]
	;; [unrolled: 2-line block ×3, first 2 shown]
	s_branch .LBB6_4675
.LBB6_4674:                             ;   in Loop: Header=BB6_4675 Depth=3
	s_or_b64 exec, exec, s[30:31]
	v_lshlrev_b32_e32 v9, 8, v22
	v_perm_b32 v9, v9, v36, s94
	v_lshl_or_b32 v9, v20, 16, v9
	v_lshl_or_b32 v41, v13, 24, v9
	v_and_b32_e32 v9, 0xff, v28
	v_lshlrev_b32_e32 v11, 8, v25
	v_lshlrev_b32_e32 v10, 24, v30
	;; [unrolled: 1-line block ×3, first 2 shown]
	v_perm_b32 v7, v11, v7, s94
	v_or3_b32 v40, v10, v9, v7
	v_and_b32_e32 v7, 0xff, v38
	v_lshlrev_b32_e32 v10, 8, v37
	v_lshlrev_b32_e32 v9, 24, v39
	;; [unrolled: 1-line block ×3, first 2 shown]
	v_perm_b32 v10, v10, v21, s94
	v_or3_b32 v42, v9, v7, v10
	v_lshlrev_b32_e32 v7, 8, v12
	v_perm_b32 v7, v7, v52, s94
	v_lshl_or_b32 v7, v29, 16, v7
	v_lshl_or_b32 v43, v8, 24, v7
	v_accvgpr_read_b32 v55, a43
	global_store_dwordx4 v[18:19], v[40:43], off glc slc
	v_add_co_u32_e64 v4, s[28:29], v4, v55
	v_accvgpr_read_b32 v41, a44
	v_addc_co_u32_e64 v5, s[28:29], v5, v41, s[28:29]
	v_add_co_u32_e64 v16, s[28:29], v16, v55
	v_addc_co_u32_e64 v17, s[28:29], v17, v41, s[28:29]
	v_add_co_u32_e64 v18, s[28:29], v18, v55
	v_addc_co_u32_e64 v19, s[28:29], v19, v41, s[28:29]
	v_sub_u32_e32 v6, v6, v0
	v_cmp_gt_i32_e64 s[28:29], 16, v6
	v_accvgpr_read_b32 v0, a26
	s_or_b64 s[66:67], s[28:29], s[66:67]
	v_sub_u32_e32 v23, v23, v0
	s_andn2_b64 exec, exec, s[66:67]
	s_cbranch_execz .LBB6_5059
.LBB6_4675:                             ;   Parent Loop BB6_47 Depth=1
                                        ;     Parent Loop BB6_2119 Depth=2
                                        ; =>    This Inner Loop Header: Depth=3
	global_load_dwordx4 v[12:15], v[4:5], off glc slc
	global_load_dwordx4 v[8:11], v[16:17], off glc slc
	v_mov_b32_e32 v7, 0
	v_mov_b32_e32 v20, 0
	s_waitcnt vmcnt(0)
	v_cmp_ne_u16_sdwa s[28:29], v12, v27 src0_sel:BYTE_0 src1_sel:DWORD
	s_mov_b64 s[30:31], exec
	s_and_b64 s[28:29], s[30:31], s[28:29]
	v_accvgpr_read_b32 v0, a30
	s_mov_b64 exec, s[28:29]
	s_cbranch_execz .LBB6_4681
; %bb.4676:                             ;   in Loop: Header=BB6_4675 Depth=3
	v_cmp_ne_u16_sdwa s[28:29], v12, s91 src0_sel:BYTE_0 src1_sel:DWORD
	v_bfrev_b32_e32 v20, 1
	s_and_saveexec_b64 s[68:69], s[28:29]
	s_cbranch_execz .LBB6_4680
; %bb.4677:                             ;   in Loop: Header=BB6_4675 Depth=3
	v_and_b32_e32 v21, 0x7f, v12
	v_cmp_ne_u32_e64 s[28:29], s92, v21
	v_mov_b32_e32 v20, 0x7f800001
	s_and_saveexec_b64 s[70:71], s[28:29]
	s_cbranch_execz .LBB6_4679
; %bb.4678:                             ;   in Loop: Header=BB6_4675 Depth=3
	v_and_b32_e32 v20, 7, v12
	v_ffbh_u32_e32 v20, v20
	v_min_u32_e32 v20, 32, v20
	v_lshrrev_b32_e32 v22, 3, v21
	v_subrev_u32_e32 v25, 28, v20
	v_sub_u32_e32 v20, 29, v20
	v_cmp_gt_u32_e64 s[28:29], 8, v21
	v_cndmask_b32_e64 v22, v22, v20, s[28:29]
	v_cndmask_b32_e64 v20, 0, v25, s[28:29]
	v_lshlrev_b64 v[20:21], v20, v[12:13]
	v_lshlrev_b32_e32 v20, 20, v20
	v_lshlrev_b32_e32 v21, 24, v12
	v_and_b32_e32 v20, 0x700000, v20
	v_and_b32_e32 v21, 0x80000000, v21
	v_lshl_add_u32 v22, v22, 23, v31
	v_or3_b32 v20, v21, v22, v20
.LBB6_4679:                             ;   in Loop: Header=BB6_4675 Depth=3
	s_or_b64 exec, exec, s[70:71]
.LBB6_4680:                             ;   in Loop: Header=BB6_4675 Depth=3
	s_or_b64 exec, exec, s[68:69]
.LBB6_4681:                             ;   in Loop: Header=BB6_4675 Depth=3
	s_or_b64 exec, exec, s[30:31]
	v_cmp_ne_u16_sdwa s[28:29], v8, v27 src0_sel:BYTE_0 src1_sel:DWORD
	s_and_saveexec_b64 s[30:31], s[28:29]
	s_cbranch_execz .LBB6_4687
; %bb.4682:                             ;   in Loop: Header=BB6_4675 Depth=3
	v_cmp_ne_u16_sdwa s[28:29], v8, s91 src0_sel:BYTE_0 src1_sel:DWORD
	v_bfrev_b32_e32 v7, 1
	s_and_saveexec_b64 s[68:69], s[28:29]
	s_cbranch_execz .LBB6_4686
; %bb.4683:                             ;   in Loop: Header=BB6_4675 Depth=3
	v_and_b32_e32 v21, 0x7f, v8
	v_cmp_ne_u32_e64 s[28:29], s92, v21
	v_mov_b32_e32 v7, 0x7f800001
	s_and_saveexec_b64 s[70:71], s[28:29]
	s_cbranch_execz .LBB6_4685
; %bb.4684:                             ;   in Loop: Header=BB6_4675 Depth=3
	v_and_b32_e32 v7, 7, v8
	v_ffbh_u32_e32 v7, v7
	v_min_u32_e32 v7, 32, v7
	v_subrev_u32_e32 v25, 28, v7
	v_cmp_gt_u32_e64 s[28:29], 8, v21
	v_lshrrev_b32_e32 v22, 3, v21
	v_cndmask_b32_e64 v21, 0, v25, s[28:29]
	v_sub_u32_e32 v7, 29, v7
	v_lshlrev_b64 v[28:29], v21, v[8:9]
	v_cndmask_b32_e64 v7, v22, v7, s[28:29]
	v_lshlrev_b32_e32 v21, 20, v28
	v_lshlrev_b32_e32 v22, 24, v8
	v_and_b32_e32 v21, 0x700000, v21
	v_and_b32_e32 v22, 0x80000000, v22
	v_lshl_add_u32 v7, v7, 23, v31
	v_or3_b32 v7, v22, v7, v21
.LBB6_4685:                             ;   in Loop: Header=BB6_4675 Depth=3
	s_or_b64 exec, exec, s[70:71]
.LBB6_4686:                             ;   in Loop: Header=BB6_4675 Depth=3
	s_or_b64 exec, exec, s[68:69]
.LBB6_4687:                             ;   in Loop: Header=BB6_4675 Depth=3
	s_or_b64 exec, exec, s[30:31]
	v_add_f32_e32 v20, v20, v7
	v_and_b32_sdwa v22, v20, s91 dst_sel:DWORD dst_unused:UNUSED_PAD src0_sel:BYTE_3 src1_sel:DWORD
	v_and_b32_e32 v28, 0x7f800000, v20
	v_mov_b32_e32 v29, v27
	v_and_b32_e32 v26, 0x7fffff, v20
	v_or_b32_e32 v7, 0x7e, v22
	v_cmp_ne_u64_e64 s[28:29], s[52:53], v[28:29]
	s_and_saveexec_b64 s[30:31], s[28:29]
	s_xor_b64 s[68:69], exec, s[30:31]
	s_cbranch_execz .LBB6_4697
; %bb.4688:                             ;   in Loop: Header=BB6_4675 Depth=3
	v_and_b32_e32 v28, 0x7fffffff, v20
	v_mov_b32_e32 v29, v27
	v_cmp_gt_u64_e64 s[28:29], s[54:55], v[28:29]
	s_and_saveexec_b64 s[70:71], s[28:29]
	s_cbranch_execz .LBB6_4696
; %bb.4689:                             ;   in Loop: Header=BB6_4675 Depth=3
	v_cmp_ne_u32_e64 s[28:29], 0, v20
	v_mov_b32_e32 v7, 0
	s_and_saveexec_b64 s[72:73], s[28:29]
	s_cbranch_execz .LBB6_4695
; %bb.4690:                             ;   in Loop: Header=BB6_4675 Depth=3
	v_bfe_u32 v7, v20, 23, 8
	v_cmp_eq_u32_e64 s[28:29], 0, v7
	v_add_u32_e32 v20, 0xffffff81, v7
	v_cmp_gt_u32_e64 s[30:31], s93, v7
	v_sub_u32_e32 v7, 0x79, v7
	v_mov_b32_e32 v25, 0xffffff82
	v_cndmask_b32_e64 v7, 0, v7, s[30:31]
	v_cndmask_b32_e64 v25, v20, v25, s[28:29]
	v_mov_b32_e32 v20, 0x78
	v_cndmask_b32_e64 v7, v7, v20, s[28:29]
	v_or_b32_e32 v21, 0x800000, v26
	v_add_u32_e32 v20, 20, v7
	v_cndmask_b32_e64 v26, v21, v26, s[28:29]
	v_lshlrev_b64 v[20:21], v20, -1
	v_not_b32_e32 v21, v21
	v_not_b32_e32 v20, v20
	v_add_u32_e32 v28, 19, v7
	v_and_b32_e32 v21, 0, v21
	v_and_b32_e32 v20, v26, v20
	v_lshlrev_b64 v[28:29], v28, 1
	v_cmp_eq_u64_e64 s[28:29], v[20:21], v[28:29]
	v_lshrrev_b64 v[20:21], v7, v[26:27]
	v_lshrrev_b32_e32 v26, 23, v20
	v_add3_u32 v26, v7, v25, v26
	v_bfe_u32 v7, v20, 20, 1
	v_add_u32_e32 v7, -1, v7
	v_cndmask_b32_e64 v7, 0, v7, s[28:29]
	v_add_u32_e32 v7, v7, v20
	v_and_b32_e32 v7, 0xfffff, v7
	v_add_co_u32_e64 v20, s[28:29], v7, v20
	v_add_u32_e32 v25, 6, v26
	v_addc_co_u32_e64 v21, s[28:29], 0, v21, s[28:29]
	v_cmp_ne_u32_e64 s[28:29], 0, v25
                                        ; implicit-def: $vgpr7
	s_and_saveexec_b64 s[30:31], s[28:29]
	s_xor_b64 s[30:31], exec, s[30:31]
; %bb.4691:                             ;   in Loop: Header=BB6_4675 Depth=3
	v_add_u32_e32 v7, 7, v26
	v_cmp_lt_u64_e64 s[28:29], s[56:57], v[20:21]
	v_cndmask_b32_e64 v7, v25, v7, s[28:29]
	v_cndmask_b32_e64 v25, 0, 1, s[28:29]
	v_lshrrev_b64 v[20:21], v25, v[20:21]
; %bb.4692:                             ;   in Loop: Header=BB6_4675 Depth=3
	s_andn2_saveexec_b64 s[28:29], s[30:31]
; %bb.4693:                             ;   in Loop: Header=BB6_4675 Depth=3
	v_bfe_u32 v7, v20, 23, 1
; %bb.4694:                             ;   in Loop: Header=BB6_4675 Depth=3
	s_or_b64 exec, exec, s[28:29]
	v_lshrrev_b64 v[20:21], 20, v[20:21]
	v_cmp_gt_i32_e64 s[28:29], 16, v7
	v_cndmask_b32_e64 v21, 0, v21, s[28:29]
	v_cndmask_b32_e64 v20, 7, v20, s[28:29]
	v_cmp_eq_u32_e64 s[28:29], 0, v7
	v_min_i32_e32 v7, 15, v7
	v_cmp_eq_u64_e64 s[30:31], 0, v[20:21]
	v_lshlrev_b32_e32 v7, 3, v7
	v_and_or_b32 v7, v20, 7, v7
	s_and_b64 s[28:29], s[28:29], s[30:31]
	v_cndmask_b32_e64 v7, v7, 0, s[28:29]
	v_or_b32_e32 v7, v7, v22
.LBB6_4695:                             ;   in Loop: Header=BB6_4675 Depth=3
	s_or_b64 exec, exec, s[72:73]
.LBB6_4696:                             ;   in Loop: Header=BB6_4675 Depth=3
	s_or_b64 exec, exec, s[70:71]
                                        ; implicit-def: $vgpr20
.LBB6_4697:                             ;   in Loop: Header=BB6_4675 Depth=3
	s_andn2_saveexec_b64 s[30:31], s[68:69]
; %bb.4698:                             ;   in Loop: Header=BB6_4675 Depth=3
	v_or_b32_sdwa v20, v20, s92 dst_sel:DWORD dst_unused:UNUSED_PAD src0_sel:BYTE_3 src1_sel:DWORD
	v_cmp_eq_u64_e64 s[28:29], 0, v[26:27]
	v_cndmask_b32_e64 v7, v20, v7, s[28:29]
; %bb.4699:                             ;   in Loop: Header=BB6_4675 Depth=3
	s_or_b64 exec, exec, s[30:31]
	v_lshrrev_b16_e32 v20, 8, v12
	v_cmp_ne_u16_e64 s[28:29], 0, v20
	v_mov_b32_e32 v21, 0
	v_mov_b32_e32 v22, 0
	s_and_saveexec_b64 s[30:31], s[28:29]
	s_cbranch_execz .LBB6_4705
; %bb.4700:                             ;   in Loop: Header=BB6_4675 Depth=3
	v_cmp_ne_u16_e64 s[28:29], s91, v20
	v_bfrev_b32_e32 v22, 1
	s_and_saveexec_b64 s[68:69], s[28:29]
	s_cbranch_execz .LBB6_4704
; %bb.4701:                             ;   in Loop: Header=BB6_4675 Depth=3
	v_and_b32_e32 v25, 0x7f, v20
	v_cmp_ne_u32_e64 s[28:29], s92, v25
	v_mov_b32_e32 v22, 0x7f800001
	s_and_saveexec_b64 s[70:71], s[28:29]
	s_cbranch_execz .LBB6_4703
; %bb.4702:                             ;   in Loop: Header=BB6_4675 Depth=3
	v_and_b32_e32 v22, 7, v20
	v_ffbh_u32_e32 v28, v22
	v_min_u32_e32 v30, 32, v28
	v_subrev_u32_e32 v28, 28, v30
	v_lshlrev_b64 v[28:29], v28, v[20:21]
	v_lshrrev_b32_e32 v26, 3, v25
	v_sub_u32_e32 v20, 29, v30
	v_and_b32_e32 v28, 7, v28
	v_cmp_gt_u32_e64 s[28:29], 8, v25
	v_cndmask_b32_e64 v20, v26, v20, s[28:29]
	v_cndmask_b32_e64 v22, v22, v28, s[28:29]
	v_lshlrev_b32_e32 v25, 16, v12
	v_lshlrev_b32_e32 v22, 20, v22
	v_and_b32_e32 v25, 0x80000000, v25
	v_lshl_add_u32 v20, v20, 23, v31
	v_or3_b32 v22, v25, v20, v22
.LBB6_4703:                             ;   in Loop: Header=BB6_4675 Depth=3
	s_or_b64 exec, exec, s[70:71]
.LBB6_4704:                             ;   in Loop: Header=BB6_4675 Depth=3
	s_or_b64 exec, exec, s[68:69]
.LBB6_4705:                             ;   in Loop: Header=BB6_4675 Depth=3
	s_or_b64 exec, exec, s[30:31]
	v_lshrrev_b16_e32 v20, 8, v8
	v_cmp_ne_u16_e64 s[28:29], 0, v20
	s_and_saveexec_b64 s[30:31], s[28:29]
	s_cbranch_execz .LBB6_4711
; %bb.4706:                             ;   in Loop: Header=BB6_4675 Depth=3
	v_cmp_ne_u16_e64 s[28:29], s91, v20
	v_bfrev_b32_e32 v21, 1
	s_and_saveexec_b64 s[68:69], s[28:29]
	s_cbranch_execz .LBB6_4710
; %bb.4707:                             ;   in Loop: Header=BB6_4675 Depth=3
	v_and_b32_e32 v25, 0x7f, v20
	v_cmp_ne_u32_e64 s[28:29], s92, v25
	v_mov_b32_e32 v21, 0x7f800001
	s_and_saveexec_b64 s[70:71], s[28:29]
	s_cbranch_execz .LBB6_4709
; %bb.4708:                             ;   in Loop: Header=BB6_4675 Depth=3
	v_and_b32_e32 v26, 7, v20
	v_ffbh_u32_e32 v21, v26
	v_min_u32_e32 v29, 32, v21
	v_subrev_u32_e32 v21, 28, v29
	v_lshlrev_b64 v[20:21], v21, v[20:21]
	v_lshrrev_b32_e32 v28, 3, v25
	v_sub_u32_e32 v21, 29, v29
	v_and_b32_e32 v20, 7, v20
	v_cmp_gt_u32_e64 s[28:29], 8, v25
	v_cndmask_b32_e64 v21, v28, v21, s[28:29]
	v_cndmask_b32_e64 v20, v26, v20, s[28:29]
	v_lshlrev_b32_e32 v25, 16, v8
	v_lshlrev_b32_e32 v20, 20, v20
	v_and_b32_e32 v25, 0x80000000, v25
	v_lshl_add_u32 v21, v21, 23, v31
	v_or3_b32 v21, v25, v21, v20
.LBB6_4709:                             ;   in Loop: Header=BB6_4675 Depth=3
	s_or_b64 exec, exec, s[70:71]
.LBB6_4710:                             ;   in Loop: Header=BB6_4675 Depth=3
	s_or_b64 exec, exec, s[68:69]
.LBB6_4711:                             ;   in Loop: Header=BB6_4675 Depth=3
	s_or_b64 exec, exec, s[30:31]
	v_add_f32_e32 v20, v22, v21
	v_and_b32_sdwa v22, v20, s91 dst_sel:DWORD dst_unused:UNUSED_PAD src0_sel:BYTE_3 src1_sel:DWORD
	v_and_b32_e32 v28, 0x7f800000, v20
	v_mov_b32_e32 v29, v27
	v_and_b32_e32 v26, 0x7fffff, v20
	v_or_b32_e32 v25, 0x7e, v22
	v_cmp_ne_u64_e64 s[28:29], s[52:53], v[28:29]
	s_and_saveexec_b64 s[30:31], s[28:29]
	s_xor_b64 s[68:69], exec, s[30:31]
	s_cbranch_execz .LBB6_4721
; %bb.4712:                             ;   in Loop: Header=BB6_4675 Depth=3
	v_and_b32_e32 v28, 0x7fffffff, v20
	v_mov_b32_e32 v29, v27
	v_cmp_gt_u64_e64 s[28:29], s[54:55], v[28:29]
	s_and_saveexec_b64 s[70:71], s[28:29]
	s_cbranch_execz .LBB6_4720
; %bb.4713:                             ;   in Loop: Header=BB6_4675 Depth=3
	v_cmp_ne_u32_e64 s[28:29], 0, v20
	v_mov_b32_e32 v25, 0
	s_and_saveexec_b64 s[72:73], s[28:29]
	s_cbranch_execz .LBB6_4719
; %bb.4714:                             ;   in Loop: Header=BB6_4675 Depth=3
	v_bfe_u32 v20, v20, 23, 8
	v_cmp_eq_u32_e64 s[28:29], 0, v20
	v_add_u32_e32 v21, 0xffffff81, v20
	v_cmp_gt_u32_e64 s[30:31], s93, v20
	v_sub_u32_e32 v20, 0x79, v20
	v_mov_b32_e32 v28, 0xffffff82
	v_cndmask_b32_e64 v20, 0, v20, s[30:31]
	v_cndmask_b32_e64 v30, v21, v28, s[28:29]
	v_mov_b32_e32 v21, 0x78
	v_cndmask_b32_e64 v32, v20, v21, s[28:29]
	v_add_u32_e32 v20, 20, v32
	v_or_b32_e32 v25, 0x800000, v26
	v_lshlrev_b64 v[20:21], v20, -1
	v_cndmask_b32_e64 v26, v25, v26, s[28:29]
	v_not_b32_e32 v21, v21
	v_not_b32_e32 v20, v20
	v_add_u32_e32 v25, 19, v32
	v_and_b32_e32 v21, 0, v21
	v_and_b32_e32 v20, v26, v20
	v_lshlrev_b64 v[28:29], v25, 1
	v_cmp_eq_u64_e64 s[28:29], v[20:21], v[28:29]
	v_lshrrev_b64 v[20:21], v32, v[26:27]
	v_lshrrev_b32_e32 v25, 23, v20
	v_add3_u32 v28, v32, v30, v25
	v_bfe_u32 v25, v20, 20, 1
	v_add_u32_e32 v25, -1, v25
	v_cndmask_b32_e64 v25, 0, v25, s[28:29]
	v_add_u32_e32 v25, v25, v20
	v_and_b32_e32 v25, 0xfffff, v25
	v_add_co_u32_e64 v20, s[28:29], v25, v20
	v_add_u32_e32 v26, 6, v28
	v_addc_co_u32_e64 v21, s[28:29], 0, v21, s[28:29]
	v_cmp_ne_u32_e64 s[28:29], 0, v26
                                        ; implicit-def: $vgpr25
	s_and_saveexec_b64 s[30:31], s[28:29]
	s_xor_b64 s[30:31], exec, s[30:31]
; %bb.4715:                             ;   in Loop: Header=BB6_4675 Depth=3
	v_add_u32_e32 v25, 7, v28
	v_cmp_lt_u64_e64 s[28:29], s[56:57], v[20:21]
	v_cndmask_b32_e64 v25, v26, v25, s[28:29]
	v_cndmask_b32_e64 v26, 0, 1, s[28:29]
	v_lshrrev_b64 v[20:21], v26, v[20:21]
; %bb.4716:                             ;   in Loop: Header=BB6_4675 Depth=3
	s_andn2_saveexec_b64 s[28:29], s[30:31]
; %bb.4717:                             ;   in Loop: Header=BB6_4675 Depth=3
	v_bfe_u32 v25, v20, 23, 1
; %bb.4718:                             ;   in Loop: Header=BB6_4675 Depth=3
	s_or_b64 exec, exec, s[28:29]
	v_lshrrev_b64 v[20:21], 20, v[20:21]
	v_cmp_gt_i32_e64 s[28:29], 16, v25
	v_cndmask_b32_e64 v21, 0, v21, s[28:29]
	v_cndmask_b32_e64 v20, 7, v20, s[28:29]
	v_cmp_eq_u64_e64 s[30:31], 0, v[20:21]
	v_min_i32_e32 v21, 15, v25
	v_cmp_eq_u32_e64 s[28:29], 0, v25
	v_lshlrev_b32_e32 v21, 3, v21
	v_and_or_b32 v20, v20, 7, v21
	s_and_b64 s[28:29], s[28:29], s[30:31]
	v_cndmask_b32_e64 v20, v20, 0, s[28:29]
	v_or_b32_e32 v25, v20, v22
.LBB6_4719:                             ;   in Loop: Header=BB6_4675 Depth=3
	s_or_b64 exec, exec, s[72:73]
.LBB6_4720:                             ;   in Loop: Header=BB6_4675 Depth=3
	s_or_b64 exec, exec, s[70:71]
                                        ; implicit-def: $vgpr20
.LBB6_4721:                             ;   in Loop: Header=BB6_4675 Depth=3
	s_andn2_saveexec_b64 s[30:31], s[68:69]
; %bb.4722:                             ;   in Loop: Header=BB6_4675 Depth=3
	v_or_b32_sdwa v20, v20, s92 dst_sel:DWORD dst_unused:UNUSED_PAD src0_sel:BYTE_3 src1_sel:DWORD
	v_cmp_eq_u64_e64 s[28:29], 0, v[26:27]
	v_cndmask_b32_e64 v25, v20, v25, s[28:29]
; %bb.4723:                             ;   in Loop: Header=BB6_4675 Depth=3
	s_or_b64 exec, exec, s[30:31]
	v_lshrrev_b32_e32 v20, 16, v12
	v_cmp_ne_u16_sdwa s[28:29], v20, v27 src0_sel:BYTE_0 src1_sel:DWORD
	v_mov_b32_e32 v21, 0
	v_mov_b32_e32 v22, 0
	s_and_saveexec_b64 s[30:31], s[28:29]
	s_cbranch_execz .LBB6_4729
; %bb.4724:                             ;   in Loop: Header=BB6_4675 Depth=3
	v_cmp_ne_u16_sdwa s[28:29], v20, s91 src0_sel:BYTE_0 src1_sel:DWORD
	v_bfrev_b32_e32 v22, 1
	s_and_saveexec_b64 s[68:69], s[28:29]
	s_cbranch_execz .LBB6_4728
; %bb.4725:                             ;   in Loop: Header=BB6_4675 Depth=3
	v_bfe_u32 v26, v12, 16, 7
	v_cmp_ne_u32_e64 s[28:29], s92, v26
	v_mov_b32_e32 v22, 0x7f800001
	s_and_saveexec_b64 s[70:71], s[28:29]
	s_cbranch_execz .LBB6_4727
; %bb.4726:                             ;   in Loop: Header=BB6_4675 Depth=3
	v_and_b32_e32 v22, 7, v20
	v_ffbh_u32_e32 v28, v22
	v_min_u32_e32 v32, 32, v28
	v_subrev_u32_e32 v28, 28, v32
	v_lshlrev_b64 v[28:29], v28, v[20:21]
	v_lshrrev_b32_e32 v30, 3, v26
	v_sub_u32_e32 v29, 29, v32
	v_and_b32_e32 v28, 7, v28
	v_cmp_gt_u32_e64 s[28:29], 8, v26
	v_cndmask_b32_e64 v26, v30, v29, s[28:29]
	v_cndmask_b32_e64 v22, v22, v28, s[28:29]
	v_lshlrev_b32_e32 v20, 24, v20
	v_lshlrev_b32_e32 v22, 20, v22
	v_and_b32_e32 v20, 0x80000000, v20
	v_lshl_add_u32 v26, v26, 23, v31
	v_or3_b32 v22, v20, v26, v22
.LBB6_4727:                             ;   in Loop: Header=BB6_4675 Depth=3
	s_or_b64 exec, exec, s[70:71]
.LBB6_4728:                             ;   in Loop: Header=BB6_4675 Depth=3
	s_or_b64 exec, exec, s[68:69]
.LBB6_4729:                             ;   in Loop: Header=BB6_4675 Depth=3
	s_or_b64 exec, exec, s[30:31]
	v_lshrrev_b32_e32 v20, 16, v8
	v_cmp_ne_u16_sdwa s[28:29], v20, v27 src0_sel:BYTE_0 src1_sel:DWORD
	s_and_saveexec_b64 s[30:31], s[28:29]
	s_cbranch_execz .LBB6_4735
; %bb.4730:                             ;   in Loop: Header=BB6_4675 Depth=3
	v_cmp_ne_u16_sdwa s[28:29], v20, s91 src0_sel:BYTE_0 src1_sel:DWORD
	v_bfrev_b32_e32 v21, 1
	s_and_saveexec_b64 s[68:69], s[28:29]
	s_cbranch_execz .LBB6_4734
; %bb.4731:                             ;   in Loop: Header=BB6_4675 Depth=3
	v_bfe_u32 v26, v8, 16, 7
	v_cmp_ne_u32_e64 s[28:29], s92, v26
	v_mov_b32_e32 v21, 0x7f800001
	s_and_saveexec_b64 s[70:71], s[28:29]
	s_cbranch_execz .LBB6_4733
; %bb.4732:                             ;   in Loop: Header=BB6_4675 Depth=3
	v_and_b32_e32 v28, 7, v20
	v_ffbh_u32_e32 v21, v28
	v_min_u32_e32 v30, 32, v21
	v_subrev_u32_e32 v21, 28, v30
	v_lshlrev_b64 v[20:21], v21, v[20:21]
	v_lshrrev_b32_e32 v29, 3, v26
	v_sub_u32_e32 v21, 29, v30
	v_and_b32_e32 v20, 7, v20
	v_cmp_gt_u32_e64 s[28:29], 8, v26
	v_cndmask_b32_e64 v21, v29, v21, s[28:29]
	v_cndmask_b32_e64 v20, v28, v20, s[28:29]
	v_lshlrev_b32_e32 v26, 8, v8
	v_lshlrev_b32_e32 v20, 20, v20
	v_and_b32_e32 v26, 0x80000000, v26
	v_lshl_add_u32 v21, v21, 23, v31
	v_or3_b32 v21, v26, v21, v20
.LBB6_4733:                             ;   in Loop: Header=BB6_4675 Depth=3
	s_or_b64 exec, exec, s[70:71]
.LBB6_4734:                             ;   in Loop: Header=BB6_4675 Depth=3
	s_or_b64 exec, exec, s[68:69]
.LBB6_4735:                             ;   in Loop: Header=BB6_4675 Depth=3
	s_or_b64 exec, exec, s[30:31]
	v_add_f32_e32 v20, v22, v21
	v_and_b32_sdwa v22, v20, s91 dst_sel:DWORD dst_unused:UNUSED_PAD src0_sel:BYTE_3 src1_sel:DWORD
	v_and_b32_e32 v36, 0x7f800000, v20
	v_mov_b32_e32 v37, v27
	v_and_b32_e32 v26, 0x7fffff, v20
	v_or_b32_e32 v28, 0x7e, v22
	v_cmp_ne_u64_e64 s[28:29], s[52:53], v[36:37]
	s_and_saveexec_b64 s[30:31], s[28:29]
	s_xor_b64 s[68:69], exec, s[30:31]
	s_cbranch_execz .LBB6_4745
; %bb.4736:                             ;   in Loop: Header=BB6_4675 Depth=3
	v_and_b32_e32 v36, 0x7fffffff, v20
	v_mov_b32_e32 v37, v27
	v_cmp_gt_u64_e64 s[28:29], s[54:55], v[36:37]
	s_and_saveexec_b64 s[70:71], s[28:29]
	s_cbranch_execz .LBB6_4744
; %bb.4737:                             ;   in Loop: Header=BB6_4675 Depth=3
	v_cmp_ne_u32_e64 s[28:29], 0, v20
	v_mov_b32_e32 v28, 0
	s_and_saveexec_b64 s[72:73], s[28:29]
	s_cbranch_execz .LBB6_4743
; %bb.4738:                             ;   in Loop: Header=BB6_4675 Depth=3
	v_bfe_u32 v20, v20, 23, 8
	v_cmp_eq_u32_e64 s[28:29], 0, v20
	v_add_u32_e32 v21, 0xffffff81, v20
	v_cmp_gt_u32_e64 s[30:31], s93, v20
	v_sub_u32_e32 v20, 0x79, v20
	v_mov_b32_e32 v29, 0xffffff82
	v_cndmask_b32_e64 v20, 0, v20, s[30:31]
	v_cndmask_b32_e64 v30, v21, v29, s[28:29]
	v_mov_b32_e32 v21, 0x78
	v_cndmask_b32_e64 v32, v20, v21, s[28:29]
	v_add_u32_e32 v20, 20, v32
	v_or_b32_e32 v28, 0x800000, v26
	v_lshlrev_b64 v[20:21], v20, -1
	v_cndmask_b32_e64 v26, v28, v26, s[28:29]
	v_not_b32_e32 v21, v21
	v_not_b32_e32 v20, v20
	v_add_u32_e32 v28, 19, v32
	v_and_b32_e32 v21, 0, v21
	v_and_b32_e32 v20, v26, v20
	v_lshlrev_b64 v[28:29], v28, 1
	v_cmp_eq_u64_e64 s[28:29], v[20:21], v[28:29]
	v_lshrrev_b64 v[20:21], v32, v[26:27]
	v_lshrrev_b32_e32 v26, 23, v20
	v_add3_u32 v29, v32, v30, v26
	v_bfe_u32 v26, v20, 20, 1
	v_add_u32_e32 v26, -1, v26
	v_cndmask_b32_e64 v26, 0, v26, s[28:29]
	v_add_u32_e32 v26, v26, v20
	v_and_b32_e32 v26, 0xfffff, v26
	v_add_co_u32_e64 v20, s[28:29], v26, v20
	v_add_u32_e32 v28, 6, v29
	v_addc_co_u32_e64 v21, s[28:29], 0, v21, s[28:29]
	v_cmp_ne_u32_e64 s[28:29], 0, v28
                                        ; implicit-def: $vgpr26
	s_and_saveexec_b64 s[30:31], s[28:29]
	s_xor_b64 s[30:31], exec, s[30:31]
; %bb.4739:                             ;   in Loop: Header=BB6_4675 Depth=3
	v_add_u32_e32 v26, 7, v29
	v_cmp_lt_u64_e64 s[28:29], s[56:57], v[20:21]
	v_cndmask_b32_e64 v26, v28, v26, s[28:29]
	v_cndmask_b32_e64 v28, 0, 1, s[28:29]
	v_lshrrev_b64 v[20:21], v28, v[20:21]
; %bb.4740:                             ;   in Loop: Header=BB6_4675 Depth=3
	s_andn2_saveexec_b64 s[28:29], s[30:31]
; %bb.4741:                             ;   in Loop: Header=BB6_4675 Depth=3
	v_bfe_u32 v26, v20, 23, 1
; %bb.4742:                             ;   in Loop: Header=BB6_4675 Depth=3
	s_or_b64 exec, exec, s[28:29]
	v_lshrrev_b64 v[20:21], 20, v[20:21]
	v_cmp_gt_i32_e64 s[28:29], 16, v26
	v_cndmask_b32_e64 v21, 0, v21, s[28:29]
	v_cndmask_b32_e64 v20, 7, v20, s[28:29]
	v_cmp_eq_u64_e64 s[30:31], 0, v[20:21]
	v_min_i32_e32 v21, 15, v26
	v_cmp_eq_u32_e64 s[28:29], 0, v26
	v_lshlrev_b32_e32 v21, 3, v21
	v_and_or_b32 v20, v20, 7, v21
	s_and_b64 s[28:29], s[28:29], s[30:31]
	v_cndmask_b32_e64 v20, v20, 0, s[28:29]
	v_or_b32_e32 v28, v20, v22
.LBB6_4743:                             ;   in Loop: Header=BB6_4675 Depth=3
	s_or_b64 exec, exec, s[72:73]
.LBB6_4744:                             ;   in Loop: Header=BB6_4675 Depth=3
	s_or_b64 exec, exec, s[70:71]
                                        ; implicit-def: $vgpr20
.LBB6_4745:                             ;   in Loop: Header=BB6_4675 Depth=3
	s_andn2_saveexec_b64 s[30:31], s[68:69]
; %bb.4746:                             ;   in Loop: Header=BB6_4675 Depth=3
	v_or_b32_sdwa v20, v20, s92 dst_sel:DWORD dst_unused:UNUSED_PAD src0_sel:BYTE_3 src1_sel:DWORD
	v_cmp_eq_u64_e64 s[28:29], 0, v[26:27]
	v_cndmask_b32_e64 v28, v20, v28, s[28:29]
; %bb.4747:                             ;   in Loop: Header=BB6_4675 Depth=3
	s_or_b64 exec, exec, s[30:31]
	v_cmp_lt_u32_e64 s[28:29], s43, v12
	v_mov_b32_e32 v21, 0
	v_mov_b32_e32 v22, 0
	s_and_saveexec_b64 s[30:31], s[28:29]
	s_cbranch_execz .LBB6_4753
; %bb.4748:                             ;   in Loop: Header=BB6_4675 Depth=3
	v_lshrrev_b32_e32 v20, 24, v12
	v_cmp_ne_u32_e64 s[28:29], s91, v20
	v_bfrev_b32_e32 v22, 1
	s_and_saveexec_b64 s[68:69], s[28:29]
	s_cbranch_execz .LBB6_4752
; %bb.4749:                             ;   in Loop: Header=BB6_4675 Depth=3
	v_bfe_u32 v26, v12, 24, 7
	v_cmp_ne_u32_e64 s[28:29], s92, v26
	v_mov_b32_e32 v22, 0x7f800001
	s_and_saveexec_b64 s[70:71], s[28:29]
	s_cbranch_execz .LBB6_4751
; %bb.4750:                             ;   in Loop: Header=BB6_4675 Depth=3
	v_and_b32_e32 v22, 7, v20
	v_ffbh_u32_e32 v30, v22
	v_min_u32_e32 v30, 32, v30
	v_subrev_u32_e32 v32, 28, v30
	v_lshlrev_b64 v[36:37], v32, v[20:21]
	v_lshrrev_b32_e32 v29, 3, v26
	v_sub_u32_e32 v30, 29, v30
	v_and_b32_e32 v32, 7, v36
	v_cmp_gt_u32_e64 s[28:29], 8, v26
	v_cndmask_b32_e64 v26, v29, v30, s[28:29]
	v_cndmask_b32_e64 v22, v22, v32, s[28:29]
	v_lshlrev_b32_e32 v20, 24, v20
	v_lshlrev_b32_e32 v22, 20, v22
	v_and_b32_e32 v20, 0x80000000, v20
	v_lshl_add_u32 v26, v26, 23, v31
	v_or3_b32 v22, v20, v26, v22
.LBB6_4751:                             ;   in Loop: Header=BB6_4675 Depth=3
	s_or_b64 exec, exec, s[70:71]
.LBB6_4752:                             ;   in Loop: Header=BB6_4675 Depth=3
	s_or_b64 exec, exec, s[68:69]
.LBB6_4753:                             ;   in Loop: Header=BB6_4675 Depth=3
	s_or_b64 exec, exec, s[30:31]
	v_cmp_lt_u32_e64 s[28:29], s43, v8
	s_and_saveexec_b64 s[30:31], s[28:29]
	s_cbranch_execz .LBB6_4759
; %bb.4754:                             ;   in Loop: Header=BB6_4675 Depth=3
	v_lshrrev_b32_e32 v20, 24, v8
	v_cmp_ne_u32_e64 s[28:29], s91, v20
	v_bfrev_b32_e32 v21, 1
	s_and_saveexec_b64 s[68:69], s[28:29]
	s_cbranch_execz .LBB6_4758
; %bb.4755:                             ;   in Loop: Header=BB6_4675 Depth=3
	v_bfe_u32 v26, v8, 24, 7
	v_cmp_ne_u32_e64 s[28:29], s92, v26
	v_mov_b32_e32 v21, 0x7f800001
	s_and_saveexec_b64 s[70:71], s[28:29]
	s_cbranch_execz .LBB6_4757
; %bb.4756:                             ;   in Loop: Header=BB6_4675 Depth=3
	v_and_b32_e32 v21, 7, v20
	v_ffbh_u32_e32 v30, v21
	v_min_u32_e32 v30, 32, v30
	v_subrev_u32_e32 v32, 28, v30
	v_lshlrev_b64 v[36:37], v32, v[20:21]
	v_lshrrev_b32_e32 v29, 3, v26
	v_sub_u32_e32 v30, 29, v30
	v_and_b32_e32 v32, 7, v36
	v_cmp_gt_u32_e64 s[28:29], 8, v26
	v_cndmask_b32_e64 v26, v29, v30, s[28:29]
	v_cndmask_b32_e64 v21, v21, v32, s[28:29]
	v_lshlrev_b32_e32 v20, 24, v20
	v_lshlrev_b32_e32 v21, 20, v21
	v_and_b32_e32 v20, 0x80000000, v20
	v_lshl_add_u32 v26, v26, 23, v31
	v_or3_b32 v21, v20, v26, v21
.LBB6_4757:                             ;   in Loop: Header=BB6_4675 Depth=3
	s_or_b64 exec, exec, s[70:71]
.LBB6_4758:                             ;   in Loop: Header=BB6_4675 Depth=3
	s_or_b64 exec, exec, s[68:69]
.LBB6_4759:                             ;   in Loop: Header=BB6_4675 Depth=3
	s_or_b64 exec, exec, s[30:31]
	v_add_f32_e32 v20, v22, v21
	v_and_b32_sdwa v22, v20, s91 dst_sel:DWORD dst_unused:UNUSED_PAD src0_sel:BYTE_3 src1_sel:DWORD
	v_and_b32_e32 v36, 0x7f800000, v20
	v_mov_b32_e32 v37, v27
	v_and_b32_e32 v26, 0x7fffff, v20
	v_or_b32_e32 v30, 0x7e, v22
	v_cmp_ne_u64_e64 s[28:29], s[52:53], v[36:37]
	s_and_saveexec_b64 s[30:31], s[28:29]
	s_xor_b64 s[68:69], exec, s[30:31]
	s_cbranch_execz .LBB6_4769
; %bb.4760:                             ;   in Loop: Header=BB6_4675 Depth=3
	v_and_b32_e32 v36, 0x7fffffff, v20
	v_mov_b32_e32 v37, v27
	v_cmp_gt_u64_e64 s[28:29], s[54:55], v[36:37]
	s_and_saveexec_b64 s[70:71], s[28:29]
	s_cbranch_execz .LBB6_4768
; %bb.4761:                             ;   in Loop: Header=BB6_4675 Depth=3
	v_cmp_ne_u32_e64 s[28:29], 0, v20
	v_mov_b32_e32 v30, 0
	s_and_saveexec_b64 s[72:73], s[28:29]
	s_cbranch_execz .LBB6_4767
; %bb.4762:                             ;   in Loop: Header=BB6_4675 Depth=3
	v_bfe_u32 v20, v20, 23, 8
	v_cmp_eq_u32_e64 s[28:29], 0, v20
	v_add_u32_e32 v21, 0xffffff81, v20
	v_cmp_gt_u32_e64 s[30:31], s93, v20
	v_sub_u32_e32 v20, 0x79, v20
	v_mov_b32_e32 v30, 0xffffff82
	v_cndmask_b32_e64 v20, 0, v20, s[30:31]
	v_cndmask_b32_e64 v30, v21, v30, s[28:29]
	v_mov_b32_e32 v21, 0x78
	v_cndmask_b32_e64 v32, v20, v21, s[28:29]
	v_add_u32_e32 v20, 20, v32
	v_or_b32_e32 v29, 0x800000, v26
	v_lshlrev_b64 v[20:21], v20, -1
	v_cndmask_b32_e64 v26, v29, v26, s[28:29]
	v_not_b32_e32 v21, v21
	v_not_b32_e32 v20, v20
	v_add_u32_e32 v29, 19, v32
	v_and_b32_e32 v21, 0, v21
	v_and_b32_e32 v20, v26, v20
	v_lshlrev_b64 v[36:37], v29, 1
	v_cmp_eq_u64_e64 s[28:29], v[20:21], v[36:37]
	v_lshrrev_b64 v[20:21], v32, v[26:27]
	v_lshrrev_b32_e32 v26, 23, v20
	v_add3_u32 v30, v32, v30, v26
	v_bfe_u32 v26, v20, 20, 1
	v_add_u32_e32 v26, -1, v26
	v_cndmask_b32_e64 v26, 0, v26, s[28:29]
	v_add_u32_e32 v26, v26, v20
	v_and_b32_e32 v26, 0xfffff, v26
	v_add_co_u32_e64 v20, s[28:29], v26, v20
	v_add_u32_e32 v29, 6, v30
	v_addc_co_u32_e64 v21, s[28:29], 0, v21, s[28:29]
	v_cmp_ne_u32_e64 s[28:29], 0, v29
                                        ; implicit-def: $vgpr26
	s_and_saveexec_b64 s[30:31], s[28:29]
	s_xor_b64 s[30:31], exec, s[30:31]
; %bb.4763:                             ;   in Loop: Header=BB6_4675 Depth=3
	v_add_u32_e32 v26, 7, v30
	v_cmp_lt_u64_e64 s[28:29], s[56:57], v[20:21]
	v_cndmask_b32_e64 v26, v29, v26, s[28:29]
	v_cndmask_b32_e64 v29, 0, 1, s[28:29]
	v_lshrrev_b64 v[20:21], v29, v[20:21]
; %bb.4764:                             ;   in Loop: Header=BB6_4675 Depth=3
	s_andn2_saveexec_b64 s[28:29], s[30:31]
; %bb.4765:                             ;   in Loop: Header=BB6_4675 Depth=3
	v_bfe_u32 v26, v20, 23, 1
; %bb.4766:                             ;   in Loop: Header=BB6_4675 Depth=3
	s_or_b64 exec, exec, s[28:29]
	v_lshrrev_b64 v[20:21], 20, v[20:21]
	v_cmp_gt_i32_e64 s[28:29], 16, v26
	v_cndmask_b32_e64 v21, 0, v21, s[28:29]
	v_cndmask_b32_e64 v20, 7, v20, s[28:29]
	v_cmp_eq_u64_e64 s[30:31], 0, v[20:21]
	v_min_i32_e32 v21, 15, v26
	v_cmp_eq_u32_e64 s[28:29], 0, v26
	v_lshlrev_b32_e32 v21, 3, v21
	v_and_or_b32 v20, v20, 7, v21
	s_and_b64 s[28:29], s[28:29], s[30:31]
	v_cndmask_b32_e64 v20, v20, 0, s[28:29]
	v_or_b32_e32 v30, v20, v22
.LBB6_4767:                             ;   in Loop: Header=BB6_4675 Depth=3
	s_or_b64 exec, exec, s[72:73]
.LBB6_4768:                             ;   in Loop: Header=BB6_4675 Depth=3
	s_or_b64 exec, exec, s[70:71]
                                        ; implicit-def: $vgpr20
.LBB6_4769:                             ;   in Loop: Header=BB6_4675 Depth=3
	s_andn2_saveexec_b64 s[30:31], s[68:69]
; %bb.4770:                             ;   in Loop: Header=BB6_4675 Depth=3
	v_or_b32_sdwa v20, v20, s92 dst_sel:DWORD dst_unused:UNUSED_PAD src0_sel:BYTE_3 src1_sel:DWORD
	v_cmp_eq_u64_e64 s[28:29], 0, v[26:27]
	v_cndmask_b32_e64 v30, v20, v30, s[28:29]
; %bb.4771:                             ;   in Loop: Header=BB6_4675 Depth=3
	s_or_b64 exec, exec, s[30:31]
	v_mov_b32_e32 v26, v13
	v_cmp_ne_u16_sdwa s[28:29], v13, v27 src0_sel:BYTE_0 src1_sel:DWORD
	v_mov_b32_e32 v21, 0
	v_mov_b32_e32 v20, 0
	s_and_saveexec_b64 s[30:31], s[28:29]
	s_cbranch_execz .LBB6_4777
; %bb.4772:                             ;   in Loop: Header=BB6_4675 Depth=3
	v_cmp_ne_u16_sdwa s[28:29], v13, s91 src0_sel:BYTE_0 src1_sel:DWORD
	v_bfrev_b32_e32 v20, 1
	s_and_saveexec_b64 s[68:69], s[28:29]
	s_cbranch_execz .LBB6_4776
; %bb.4773:                             ;   in Loop: Header=BB6_4675 Depth=3
	v_and_b32_e32 v22, 0x7f, v13
	v_cmp_ne_u32_e64 s[28:29], s92, v22
	v_mov_b32_e32 v20, 0x7f800001
	s_and_saveexec_b64 s[70:71], s[28:29]
	s_cbranch_execz .LBB6_4775
; %bb.4774:                             ;   in Loop: Header=BB6_4675 Depth=3
	v_and_b32_e32 v20, 7, v13
	v_ffbh_u32_e32 v20, v20
	v_min_u32_e32 v20, 32, v20
	v_subrev_u32_e32 v32, 28, v20
	v_cmp_gt_u32_e64 s[28:29], 8, v22
	v_lshrrev_b32_e32 v29, 3, v22
	v_cndmask_b32_e64 v22, 0, v32, s[28:29]
	v_sub_u32_e32 v20, 29, v20
	v_lshlrev_b64 v[36:37], v22, v[26:27]
	v_cndmask_b32_e64 v20, v29, v20, s[28:29]
	v_lshlrev_b32_e32 v22, 20, v36
	v_lshlrev_b32_e32 v29, 24, v26
	v_and_b32_e32 v22, 0x700000, v22
	v_and_b32_e32 v29, 0x80000000, v29
	v_lshl_add_u32 v20, v20, 23, v31
	v_or3_b32 v20, v29, v20, v22
.LBB6_4775:                             ;   in Loop: Header=BB6_4675 Depth=3
	s_or_b64 exec, exec, s[70:71]
.LBB6_4776:                             ;   in Loop: Header=BB6_4675 Depth=3
	s_or_b64 exec, exec, s[68:69]
.LBB6_4777:                             ;   in Loop: Header=BB6_4675 Depth=3
	s_or_b64 exec, exec, s[30:31]
	v_cmp_ne_u16_sdwa s[28:29], v9, v27 src0_sel:BYTE_0 src1_sel:DWORD
	s_and_saveexec_b64 s[30:31], s[28:29]
	s_cbranch_execz .LBB6_4783
; %bb.4778:                             ;   in Loop: Header=BB6_4675 Depth=3
	v_cmp_ne_u16_sdwa s[28:29], v9, s91 src0_sel:BYTE_0 src1_sel:DWORD
	v_bfrev_b32_e32 v21, 1
	s_and_saveexec_b64 s[68:69], s[28:29]
	s_cbranch_execz .LBB6_4782
; %bb.4779:                             ;   in Loop: Header=BB6_4675 Depth=3
	v_and_b32_e32 v22, 0x7f, v9
	v_cmp_ne_u32_e64 s[28:29], s92, v22
	v_mov_b32_e32 v21, 0x7f800001
	s_and_saveexec_b64 s[70:71], s[28:29]
	s_cbranch_execz .LBB6_4781
; %bb.4780:                             ;   in Loop: Header=BB6_4675 Depth=3
	v_and_b32_e32 v21, 7, v9
	v_ffbh_u32_e32 v21, v21
	v_min_u32_e32 v21, 32, v21
	v_subrev_u32_e32 v32, 28, v21
	v_cmp_gt_u32_e64 s[28:29], 8, v22
	v_mov_b32_e32 v36, v9
	v_mov_b32_e32 v37, v27
	v_lshrrev_b32_e32 v29, 3, v22
	v_cndmask_b32_e64 v22, 0, v32, s[28:29]
	v_sub_u32_e32 v21, 29, v21
	v_lshlrev_b64 v[38:39], v22, v[36:37]
	v_cndmask_b32_e64 v21, v29, v21, s[28:29]
	v_lshlrev_b32_e32 v22, 20, v38
	v_lshlrev_b32_e32 v29, 24, v36
	v_and_b32_e32 v22, 0x700000, v22
	v_and_b32_e32 v29, 0x80000000, v29
	v_lshl_add_u32 v21, v21, 23, v31
	v_or3_b32 v21, v29, v21, v22
.LBB6_4781:                             ;   in Loop: Header=BB6_4675 Depth=3
	s_or_b64 exec, exec, s[70:71]
.LBB6_4782:                             ;   in Loop: Header=BB6_4675 Depth=3
	s_or_b64 exec, exec, s[68:69]
.LBB6_4783:                             ;   in Loop: Header=BB6_4675 Depth=3
	s_or_b64 exec, exec, s[30:31]
	v_add_f32_e32 v29, v20, v21
	v_and_b32_sdwa v22, v29, s91 dst_sel:DWORD dst_unused:UNUSED_PAD src0_sel:BYTE_3 src1_sel:DWORD
	v_and_b32_e32 v38, 0x7f800000, v29
	v_mov_b32_e32 v39, v27
	v_and_b32_e32 v20, 0x7fffff, v29
	v_mov_b32_e32 v21, v27
	v_or_b32_e32 v36, 0x7e, v22
	v_cmp_ne_u64_e64 s[28:29], s[52:53], v[38:39]
	s_and_saveexec_b64 s[30:31], s[28:29]
	s_xor_b64 s[68:69], exec, s[30:31]
	s_cbranch_execz .LBB6_4793
; %bb.4784:                             ;   in Loop: Header=BB6_4675 Depth=3
	v_and_b32_e32 v38, 0x7fffffff, v29
	v_mov_b32_e32 v39, v27
	v_cmp_gt_u64_e64 s[28:29], s[54:55], v[38:39]
	s_and_saveexec_b64 s[70:71], s[28:29]
	s_cbranch_execz .LBB6_4792
; %bb.4785:                             ;   in Loop: Header=BB6_4675 Depth=3
	v_cmp_ne_u32_e64 s[28:29], 0, v29
	v_mov_b32_e32 v36, 0
	s_and_saveexec_b64 s[72:73], s[28:29]
	s_cbranch_execz .LBB6_4791
; %bb.4786:                             ;   in Loop: Header=BB6_4675 Depth=3
	v_bfe_u32 v29, v29, 23, 8
	v_cmp_eq_u32_e64 s[28:29], 0, v29
	v_add_u32_e32 v32, 0xffffff81, v29
	v_cmp_gt_u32_e64 s[30:31], s93, v29
	v_sub_u32_e32 v29, 0x79, v29
	v_mov_b32_e32 v34, 0xffffff82
	v_cndmask_b32_e64 v29, 0, v29, s[30:31]
	v_cndmask_b32_e64 v32, v32, v34, s[28:29]
	v_mov_b32_e32 v34, 0x78
	v_or_b32_e32 v33, 0x800000, v20
	v_cndmask_b32_e64 v29, v29, v34, s[28:29]
	v_cndmask_b32_e64 v20, v33, v20, s[28:29]
	v_add_u32_e32 v33, 20, v29
	v_lshlrev_b64 v[36:37], v33, -1
	v_not_b32_e32 v33, v37
	v_not_b32_e32 v34, v36
	v_and_b32_e32 v37, 0, v33
	v_and_b32_e32 v36, v20, v34
	v_add_u32_e32 v33, 19, v29
	v_lshrrev_b64 v[20:21], v29, v[20:21]
	v_lshlrev_b64 v[38:39], v33, 1
	v_lshrrev_b32_e32 v33, 23, v20
	v_cmp_eq_u64_e64 s[28:29], v[36:37], v[38:39]
	v_add3_u32 v37, v29, v32, v33
	v_bfe_u32 v29, v20, 20, 1
	v_add_u32_e32 v29, -1, v29
	v_cndmask_b32_e64 v29, 0, v29, s[28:29]
	v_add_u32_e32 v29, v29, v20
	v_and_b32_e32 v29, 0xfffff, v29
	v_add_co_u32_e64 v20, s[28:29], v29, v20
	v_add_u32_e32 v36, 6, v37
	v_addc_co_u32_e64 v21, s[28:29], 0, v21, s[28:29]
	v_cmp_ne_u32_e64 s[28:29], 0, v36
                                        ; implicit-def: $vgpr29
	s_and_saveexec_b64 s[30:31], s[28:29]
	s_xor_b64 s[30:31], exec, s[30:31]
; %bb.4787:                             ;   in Loop: Header=BB6_4675 Depth=3
	v_cmp_lt_u64_e64 s[28:29], s[56:57], v[20:21]
	v_add_u32_e32 v29, 7, v37
	v_cndmask_b32_e64 v32, 0, 1, s[28:29]
	v_cndmask_b32_e64 v29, v36, v29, s[28:29]
	v_lshrrev_b64 v[20:21], v32, v[20:21]
; %bb.4788:                             ;   in Loop: Header=BB6_4675 Depth=3
	s_andn2_saveexec_b64 s[28:29], s[30:31]
; %bb.4789:                             ;   in Loop: Header=BB6_4675 Depth=3
	v_bfe_u32 v29, v20, 23, 1
; %bb.4790:                             ;   in Loop: Header=BB6_4675 Depth=3
	s_or_b64 exec, exec, s[28:29]
	v_lshrrev_b64 v[20:21], 20, v[20:21]
	v_cmp_gt_i32_e64 s[28:29], 16, v29
	v_cndmask_b32_e64 v21, 0, v21, s[28:29]
	v_cndmask_b32_e64 v20, 7, v20, s[28:29]
	v_cmp_eq_u64_e64 s[30:31], 0, v[20:21]
	v_min_i32_e32 v21, 15, v29
	v_cmp_eq_u32_e64 s[28:29], 0, v29
	v_lshlrev_b32_e32 v21, 3, v21
	v_and_or_b32 v20, v20, 7, v21
	s_and_b64 s[28:29], s[28:29], s[30:31]
	v_cndmask_b32_e64 v20, v20, 0, s[28:29]
	v_or_b32_e32 v36, v20, v22
.LBB6_4791:                             ;   in Loop: Header=BB6_4675 Depth=3
	s_or_b64 exec, exec, s[72:73]
.LBB6_4792:                             ;   in Loop: Header=BB6_4675 Depth=3
	s_or_b64 exec, exec, s[70:71]
                                        ; implicit-def: $vgpr29
                                        ; implicit-def: $vgpr20_vgpr21
.LBB6_4793:                             ;   in Loop: Header=BB6_4675 Depth=3
	s_andn2_saveexec_b64 s[30:31], s[68:69]
; %bb.4794:                             ;   in Loop: Header=BB6_4675 Depth=3
	v_or_b32_sdwa v22, v29, s92 dst_sel:DWORD dst_unused:UNUSED_PAD src0_sel:BYTE_3 src1_sel:DWORD
	v_cmp_eq_u64_e64 s[28:29], 0, v[20:21]
	v_cndmask_b32_e64 v36, v22, v36, s[28:29]
; %bb.4795:                             ;   in Loop: Header=BB6_4675 Depth=3
	s_or_b64 exec, exec, s[30:31]
	v_lshrrev_b16_e32 v20, 8, v26
	v_cmp_ne_u16_e64 s[28:29], 0, v20
	v_mov_b32_e32 v21, 0
	v_mov_b32_e32 v29, 0
	s_and_saveexec_b64 s[30:31], s[28:29]
	s_cbranch_execz .LBB6_4801
; %bb.4796:                             ;   in Loop: Header=BB6_4675 Depth=3
	v_cmp_ne_u16_e64 s[28:29], s91, v20
	v_bfrev_b32_e32 v29, 1
	s_and_saveexec_b64 s[68:69], s[28:29]
	s_cbranch_execz .LBB6_4800
; %bb.4797:                             ;   in Loop: Header=BB6_4675 Depth=3
	v_and_b32_e32 v22, 0x7f, v20
	v_cmp_ne_u32_e64 s[28:29], s92, v22
	v_mov_b32_e32 v29, 0x7f800001
	s_and_saveexec_b64 s[70:71], s[28:29]
	s_cbranch_execz .LBB6_4799
; %bb.4798:                             ;   in Loop: Header=BB6_4675 Depth=3
	v_and_b32_e32 v29, 7, v20
	v_ffbh_u32_e32 v33, v29
	v_min_u32_e32 v33, 32, v33
	v_subrev_u32_e32 v34, 28, v33
	v_lshlrev_b64 v[38:39], v34, v[20:21]
	v_lshrrev_b32_e32 v32, 3, v22
	v_sub_u32_e32 v20, 29, v33
	v_and_b32_e32 v33, 7, v38
	v_cmp_gt_u32_e64 s[28:29], 8, v22
	v_cndmask_b32_e64 v20, v32, v20, s[28:29]
	v_cndmask_b32_e64 v22, v29, v33, s[28:29]
	v_lshlrev_b32_e32 v26, 16, v26
	v_lshlrev_b32_e32 v22, 20, v22
	v_and_b32_e32 v26, 0x80000000, v26
	v_lshl_add_u32 v20, v20, 23, v31
	v_or3_b32 v29, v26, v20, v22
.LBB6_4799:                             ;   in Loop: Header=BB6_4675 Depth=3
	s_or_b64 exec, exec, s[70:71]
.LBB6_4800:                             ;   in Loop: Header=BB6_4675 Depth=3
	s_or_b64 exec, exec, s[68:69]
.LBB6_4801:                             ;   in Loop: Header=BB6_4675 Depth=3
	s_or_b64 exec, exec, s[30:31]
	v_mov_b32_e32 v20, v9
	v_lshrrev_b16_e32 v22, 8, v20
	v_cmp_ne_u16_e64 s[28:29], 0, v22
	s_and_saveexec_b64 s[30:31], s[28:29]
	s_cbranch_execz .LBB6_4807
; %bb.4802:                             ;   in Loop: Header=BB6_4675 Depth=3
	v_cmp_ne_u16_e64 s[28:29], s91, v22
	v_bfrev_b32_e32 v21, 1
	s_and_saveexec_b64 s[68:69], s[28:29]
	s_cbranch_execz .LBB6_4806
; %bb.4803:                             ;   in Loop: Header=BB6_4675 Depth=3
	v_and_b32_e32 v26, 0x7f, v22
	v_cmp_ne_u32_e64 s[28:29], s92, v26
	v_mov_b32_e32 v21, 0x7f800001
	s_and_saveexec_b64 s[70:71], s[28:29]
	s_cbranch_execz .LBB6_4805
; %bb.4804:                             ;   in Loop: Header=BB6_4675 Depth=3
	v_and_b32_e32 v21, 7, v22
	v_ffbh_u32_e32 v33, v21
	v_min_u32_e32 v33, 32, v33
	v_subrev_u32_e32 v34, 28, v33
	v_lshlrev_b64 v[38:39], v34, v[22:23]
	v_lshrrev_b32_e32 v32, 3, v26
	v_sub_u32_e32 v22, 29, v33
	v_and_b32_e32 v33, 7, v38
	v_cmp_gt_u32_e64 s[28:29], 8, v26
	v_cndmask_b32_e64 v22, v32, v22, s[28:29]
	v_cndmask_b32_e64 v21, v21, v33, s[28:29]
	v_lshlrev_b32_e32 v20, 16, v20
	v_lshlrev_b32_e32 v21, 20, v21
	v_and_b32_e32 v20, 0x80000000, v20
	v_lshl_add_u32 v22, v22, 23, v31
	v_or3_b32 v21, v20, v22, v21
.LBB6_4805:                             ;   in Loop: Header=BB6_4675 Depth=3
	s_or_b64 exec, exec, s[70:71]
.LBB6_4806:                             ;   in Loop: Header=BB6_4675 Depth=3
	s_or_b64 exec, exec, s[68:69]
.LBB6_4807:                             ;   in Loop: Header=BB6_4675 Depth=3
	s_or_b64 exec, exec, s[30:31]
	v_add_f32_e32 v20, v29, v21
	v_and_b32_sdwa v29, v20, s91 dst_sel:DWORD dst_unused:UNUSED_PAD src0_sel:BYTE_3 src1_sel:DWORD
	v_and_b32_e32 v38, 0x7f800000, v20
	v_mov_b32_e32 v39, v27
	v_and_b32_e32 v26, 0x7fffff, v20
	v_or_b32_e32 v22, 0x7e, v29
	v_cmp_ne_u64_e64 s[28:29], s[52:53], v[38:39]
	s_and_saveexec_b64 s[30:31], s[28:29]
	s_xor_b64 s[68:69], exec, s[30:31]
	s_cbranch_execz .LBB6_4817
; %bb.4808:                             ;   in Loop: Header=BB6_4675 Depth=3
	v_and_b32_e32 v38, 0x7fffffff, v20
	v_mov_b32_e32 v39, v27
	v_cmp_gt_u64_e64 s[28:29], s[54:55], v[38:39]
	s_and_saveexec_b64 s[70:71], s[28:29]
	s_cbranch_execz .LBB6_4816
; %bb.4809:                             ;   in Loop: Header=BB6_4675 Depth=3
	v_cmp_ne_u32_e64 s[28:29], 0, v20
	v_mov_b32_e32 v22, 0
	s_and_saveexec_b64 s[72:73], s[28:29]
	s_cbranch_execz .LBB6_4815
; %bb.4810:                             ;   in Loop: Header=BB6_4675 Depth=3
	v_bfe_u32 v20, v20, 23, 8
	v_cmp_eq_u32_e64 s[28:29], 0, v20
	v_add_u32_e32 v21, 0xffffff81, v20
	v_cmp_gt_u32_e64 s[30:31], s93, v20
	v_sub_u32_e32 v20, 0x79, v20
	v_mov_b32_e32 v32, 0xffffff82
	v_cndmask_b32_e64 v20, 0, v20, s[30:31]
	v_cndmask_b32_e64 v32, v21, v32, s[28:29]
	v_mov_b32_e32 v21, 0x78
	v_cndmask_b32_e64 v33, v20, v21, s[28:29]
	v_add_u32_e32 v20, 20, v33
	v_or_b32_e32 v22, 0x800000, v26
	v_lshlrev_b64 v[20:21], v20, -1
	v_cndmask_b32_e64 v26, v22, v26, s[28:29]
	v_not_b32_e32 v21, v21
	v_not_b32_e32 v20, v20
	v_add_u32_e32 v22, 19, v33
	v_and_b32_e32 v21, 0, v21
	v_and_b32_e32 v20, v26, v20
	v_lshlrev_b64 v[38:39], v22, 1
	v_cmp_eq_u64_e64 s[28:29], v[20:21], v[38:39]
	v_lshrrev_b64 v[20:21], v33, v[26:27]
	v_lshrrev_b32_e32 v22, 23, v20
	v_add3_u32 v37, v33, v32, v22
	v_bfe_u32 v22, v20, 20, 1
	v_add_u32_e32 v22, -1, v22
	v_cndmask_b32_e64 v22, 0, v22, s[28:29]
	v_add_u32_e32 v22, v22, v20
	v_and_b32_e32 v22, 0xfffff, v22
	v_add_co_u32_e64 v20, s[28:29], v22, v20
	v_add_u32_e32 v26, 6, v37
	v_addc_co_u32_e64 v21, s[28:29], 0, v21, s[28:29]
	v_cmp_ne_u32_e64 s[28:29], 0, v26
                                        ; implicit-def: $vgpr22
	s_and_saveexec_b64 s[30:31], s[28:29]
	s_xor_b64 s[30:31], exec, s[30:31]
; %bb.4811:                             ;   in Loop: Header=BB6_4675 Depth=3
	v_add_u32_e32 v22, 7, v37
	v_cmp_lt_u64_e64 s[28:29], s[56:57], v[20:21]
	v_cndmask_b32_e64 v22, v26, v22, s[28:29]
	v_cndmask_b32_e64 v26, 0, 1, s[28:29]
	v_lshrrev_b64 v[20:21], v26, v[20:21]
; %bb.4812:                             ;   in Loop: Header=BB6_4675 Depth=3
	s_andn2_saveexec_b64 s[28:29], s[30:31]
; %bb.4813:                             ;   in Loop: Header=BB6_4675 Depth=3
	v_bfe_u32 v22, v20, 23, 1
; %bb.4814:                             ;   in Loop: Header=BB6_4675 Depth=3
	s_or_b64 exec, exec, s[28:29]
	v_lshrrev_b64 v[20:21], 20, v[20:21]
	v_cmp_gt_i32_e64 s[28:29], 16, v22
	v_cndmask_b32_e64 v21, 0, v21, s[28:29]
	v_cndmask_b32_e64 v20, 7, v20, s[28:29]
	v_cmp_eq_u64_e64 s[30:31], 0, v[20:21]
	v_min_i32_e32 v21, 15, v22
	v_cmp_eq_u32_e64 s[28:29], 0, v22
	v_lshlrev_b32_e32 v21, 3, v21
	v_and_or_b32 v20, v20, 7, v21
	s_and_b64 s[28:29], s[28:29], s[30:31]
	v_cndmask_b32_e64 v20, v20, 0, s[28:29]
	v_or_b32_e32 v22, v20, v29
.LBB6_4815:                             ;   in Loop: Header=BB6_4675 Depth=3
	s_or_b64 exec, exec, s[72:73]
.LBB6_4816:                             ;   in Loop: Header=BB6_4675 Depth=3
	s_or_b64 exec, exec, s[70:71]
                                        ; implicit-def: $vgpr20
.LBB6_4817:                             ;   in Loop: Header=BB6_4675 Depth=3
	s_andn2_saveexec_b64 s[30:31], s[68:69]
; %bb.4818:                             ;   in Loop: Header=BB6_4675 Depth=3
	v_or_b32_sdwa v20, v20, s92 dst_sel:DWORD dst_unused:UNUSED_PAD src0_sel:BYTE_3 src1_sel:DWORD
	v_cmp_eq_u64_e64 s[28:29], 0, v[26:27]
	v_cndmask_b32_e64 v22, v20, v22, s[28:29]
; %bb.4819:                             ;   in Loop: Header=BB6_4675 Depth=3
	s_or_b64 exec, exec, s[30:31]
	v_lshrrev_b32_e32 v20, 16, v13
	v_cmp_ne_u16_sdwa s[28:29], v20, v27 src0_sel:BYTE_0 src1_sel:DWORD
	v_mov_b32_e32 v21, 0
	v_mov_b32_e32 v26, 0
	s_and_saveexec_b64 s[30:31], s[28:29]
	s_cbranch_execz .LBB6_4825
; %bb.4820:                             ;   in Loop: Header=BB6_4675 Depth=3
	v_cmp_ne_u16_sdwa s[28:29], v20, s91 src0_sel:BYTE_0 src1_sel:DWORD
	v_bfrev_b32_e32 v26, 1
	s_and_saveexec_b64 s[68:69], s[28:29]
	s_cbranch_execz .LBB6_4824
; %bb.4821:                             ;   in Loop: Header=BB6_4675 Depth=3
	v_bfe_u32 v29, v13, 16, 7
	v_cmp_ne_u32_e64 s[28:29], s92, v29
	v_mov_b32_e32 v26, 0x7f800001
	s_and_saveexec_b64 s[70:71], s[28:29]
	s_cbranch_execz .LBB6_4823
; %bb.4822:                             ;   in Loop: Header=BB6_4675 Depth=3
	v_and_b32_e32 v26, 7, v20
	v_ffbh_u32_e32 v33, v26
	v_min_u32_e32 v33, 32, v33
	v_subrev_u32_e32 v34, 28, v33
	v_lshlrev_b64 v[38:39], v34, v[20:21]
	v_lshrrev_b32_e32 v32, 3, v29
	v_sub_u32_e32 v33, 29, v33
	v_and_b32_e32 v34, 7, v38
	v_cmp_gt_u32_e64 s[28:29], 8, v29
	v_cndmask_b32_e64 v29, v32, v33, s[28:29]
	v_cndmask_b32_e64 v26, v26, v34, s[28:29]
	v_lshlrev_b32_e32 v20, 24, v20
	v_lshlrev_b32_e32 v26, 20, v26
	v_and_b32_e32 v20, 0x80000000, v20
	v_lshl_add_u32 v29, v29, 23, v31
	v_or3_b32 v26, v20, v29, v26
.LBB6_4823:                             ;   in Loop: Header=BB6_4675 Depth=3
	s_or_b64 exec, exec, s[70:71]
.LBB6_4824:                             ;   in Loop: Header=BB6_4675 Depth=3
	s_or_b64 exec, exec, s[68:69]
.LBB6_4825:                             ;   in Loop: Header=BB6_4675 Depth=3
	s_or_b64 exec, exec, s[30:31]
	v_lshrrev_b32_e32 v20, 16, v9
	v_cmp_ne_u16_sdwa s[28:29], v20, v27 src0_sel:BYTE_0 src1_sel:DWORD
	s_and_saveexec_b64 s[30:31], s[28:29]
	s_cbranch_execz .LBB6_4831
; %bb.4826:                             ;   in Loop: Header=BB6_4675 Depth=3
	v_cmp_ne_u16_sdwa s[28:29], v20, s91 src0_sel:BYTE_0 src1_sel:DWORD
	v_bfrev_b32_e32 v21, 1
	s_and_saveexec_b64 s[68:69], s[28:29]
	s_cbranch_execz .LBB6_4830
; %bb.4827:                             ;   in Loop: Header=BB6_4675 Depth=3
	v_bfe_u32 v29, v9, 16, 7
	v_cmp_ne_u32_e64 s[28:29], s92, v29
	v_mov_b32_e32 v21, 0x7f800001
	s_and_saveexec_b64 s[70:71], s[28:29]
	s_cbranch_execz .LBB6_4829
; %bb.4828:                             ;   in Loop: Header=BB6_4675 Depth=3
	v_and_b32_e32 v32, 7, v20
	v_ffbh_u32_e32 v21, v32
	v_min_u32_e32 v34, 32, v21
	v_subrev_u32_e32 v21, 28, v34
	v_lshlrev_b64 v[20:21], v21, v[20:21]
	v_lshrrev_b32_e32 v33, 3, v29
	v_sub_u32_e32 v21, 29, v34
	v_and_b32_e32 v20, 7, v20
	v_cmp_gt_u32_e64 s[28:29], 8, v29
	v_cndmask_b32_e64 v21, v33, v21, s[28:29]
	v_cndmask_b32_e64 v20, v32, v20, s[28:29]
	v_lshlrev_b32_e32 v29, 8, v9
	v_lshlrev_b32_e32 v20, 20, v20
	v_and_b32_e32 v29, 0x80000000, v29
	v_lshl_add_u32 v21, v21, 23, v31
	v_or3_b32 v21, v29, v21, v20
.LBB6_4829:                             ;   in Loop: Header=BB6_4675 Depth=3
	s_or_b64 exec, exec, s[70:71]
.LBB6_4830:                             ;   in Loop: Header=BB6_4675 Depth=3
	s_or_b64 exec, exec, s[68:69]
.LBB6_4831:                             ;   in Loop: Header=BB6_4675 Depth=3
	s_or_b64 exec, exec, s[30:31]
	v_add_f32_e32 v21, v26, v21
	v_and_b32_sdwa v29, v21, s91 dst_sel:DWORD dst_unused:UNUSED_PAD src0_sel:BYTE_3 src1_sel:DWORD
	v_and_b32_e32 v38, 0x7f800000, v21
	v_mov_b32_e32 v39, v27
	v_and_b32_e32 v26, 0x7fffff, v21
	v_or_b32_e32 v20, 0x7e, v29
	v_cmp_ne_u64_e64 s[28:29], s[52:53], v[38:39]
	s_and_saveexec_b64 s[30:31], s[28:29]
	s_xor_b64 s[68:69], exec, s[30:31]
	s_cbranch_execz .LBB6_4841
; %bb.4832:                             ;   in Loop: Header=BB6_4675 Depth=3
	v_and_b32_e32 v38, 0x7fffffff, v21
	v_mov_b32_e32 v39, v27
	v_cmp_gt_u64_e64 s[28:29], s[54:55], v[38:39]
	s_and_saveexec_b64 s[70:71], s[28:29]
	s_cbranch_execz .LBB6_4840
; %bb.4833:                             ;   in Loop: Header=BB6_4675 Depth=3
	v_cmp_ne_u32_e64 s[28:29], 0, v21
	v_mov_b32_e32 v20, 0
	s_and_saveexec_b64 s[72:73], s[28:29]
	s_cbranch_execz .LBB6_4839
; %bb.4834:                             ;   in Loop: Header=BB6_4675 Depth=3
	v_bfe_u32 v20, v21, 23, 8
	v_cmp_eq_u32_e64 s[28:29], 0, v20
	v_add_u32_e32 v21, 0xffffff81, v20
	v_cmp_gt_u32_e64 s[30:31], s93, v20
	v_sub_u32_e32 v20, 0x79, v20
	v_mov_b32_e32 v33, 0xffffff82
	v_cndmask_b32_e64 v20, 0, v20, s[30:31]
	v_cndmask_b32_e64 v33, v21, v33, s[28:29]
	v_mov_b32_e32 v21, 0x78
	v_cndmask_b32_e64 v34, v20, v21, s[28:29]
	v_add_u32_e32 v20, 20, v34
	v_or_b32_e32 v32, 0x800000, v26
	v_lshlrev_b64 v[20:21], v20, -1
	v_cndmask_b32_e64 v26, v32, v26, s[28:29]
	v_not_b32_e32 v21, v21
	v_not_b32_e32 v20, v20
	v_add_u32_e32 v32, 19, v34
	v_and_b32_e32 v21, 0, v21
	v_and_b32_e32 v20, v26, v20
	v_lshlrev_b64 v[38:39], v32, 1
	v_cmp_eq_u64_e64 s[28:29], v[20:21], v[38:39]
	v_lshrrev_b64 v[20:21], v34, v[26:27]
	v_lshrrev_b32_e32 v26, 23, v20
	v_add3_u32 v38, v34, v33, v26
	v_bfe_u32 v26, v20, 20, 1
	v_add_u32_e32 v26, -1, v26
	v_cndmask_b32_e64 v26, 0, v26, s[28:29]
	v_add_u32_e32 v26, v26, v20
	v_and_b32_e32 v26, 0xfffff, v26
	v_add_co_u32_e64 v20, s[28:29], v26, v20
	v_add_u32_e32 v37, 6, v38
	v_addc_co_u32_e64 v21, s[28:29], 0, v21, s[28:29]
	v_cmp_ne_u32_e64 s[28:29], 0, v37
                                        ; implicit-def: $vgpr26
	s_and_saveexec_b64 s[30:31], s[28:29]
	s_xor_b64 s[30:31], exec, s[30:31]
; %bb.4835:                             ;   in Loop: Header=BB6_4675 Depth=3
	v_cmp_lt_u64_e64 s[28:29], s[56:57], v[20:21]
	v_add_u32_e32 v26, 7, v38
	v_cndmask_b32_e64 v32, 0, 1, s[28:29]
	v_cndmask_b32_e64 v26, v37, v26, s[28:29]
	v_lshrrev_b64 v[20:21], v32, v[20:21]
; %bb.4836:                             ;   in Loop: Header=BB6_4675 Depth=3
	s_andn2_saveexec_b64 s[28:29], s[30:31]
; %bb.4837:                             ;   in Loop: Header=BB6_4675 Depth=3
	v_bfe_u32 v26, v20, 23, 1
; %bb.4838:                             ;   in Loop: Header=BB6_4675 Depth=3
	s_or_b64 exec, exec, s[28:29]
	v_lshrrev_b64 v[20:21], 20, v[20:21]
	v_cmp_gt_i32_e64 s[28:29], 16, v26
	v_cndmask_b32_e64 v21, 0, v21, s[28:29]
	v_cndmask_b32_e64 v20, 7, v20, s[28:29]
	v_cmp_eq_u64_e64 s[30:31], 0, v[20:21]
	v_min_i32_e32 v21, 15, v26
	v_lshlrev_b32_e32 v21, 3, v21
	v_cmp_eq_u32_e64 s[28:29], 0, v26
	v_and_b32_e32 v21, 0xf8, v21
	v_and_or_b32 v20, v20, 7, v21
	s_and_b64 s[28:29], s[28:29], s[30:31]
	v_cndmask_b32_e64 v20, v20, 0, s[28:29]
	v_or_b32_e32 v20, v20, v29
.LBB6_4839:                             ;   in Loop: Header=BB6_4675 Depth=3
	s_or_b64 exec, exec, s[72:73]
.LBB6_4840:                             ;   in Loop: Header=BB6_4675 Depth=3
	s_or_b64 exec, exec, s[70:71]
                                        ; implicit-def: $vgpr21
.LBB6_4841:                             ;   in Loop: Header=BB6_4675 Depth=3
	s_andn2_saveexec_b64 s[30:31], s[68:69]
; %bb.4842:                             ;   in Loop: Header=BB6_4675 Depth=3
	v_or_b32_sdwa v21, v21, s92 dst_sel:DWORD dst_unused:UNUSED_PAD src0_sel:BYTE_3 src1_sel:DWORD
	v_cmp_eq_u64_e64 s[28:29], 0, v[26:27]
	v_cndmask_b32_e64 v20, v21, v20, s[28:29]
; %bb.4843:                             ;   in Loop: Header=BB6_4675 Depth=3
	s_or_b64 exec, exec, s[30:31]
	v_cmp_lt_u64_e64 s[28:29], s[42:43], v[12:13]
	v_mov_b32_e32 v21, 0
	v_mov_b32_e32 v26, 0
	s_and_saveexec_b64 s[30:31], s[28:29]
	s_cbranch_execz .LBB6_4849
; %bb.4844:                             ;   in Loop: Header=BB6_4675 Depth=3
	v_lshrrev_b32_e32 v12, 24, v13
	v_cmp_ne_u32_e64 s[28:29], s91, v12
	v_bfrev_b32_e32 v26, 1
	s_and_saveexec_b64 s[68:69], s[28:29]
	s_cbranch_execz .LBB6_4848
; %bb.4845:                             ;   in Loop: Header=BB6_4675 Depth=3
	v_bfe_u32 v13, v13, 24, 7
	v_cmp_ne_u32_e64 s[28:29], s92, v13
	v_mov_b32_e32 v26, 0x7f800001
	s_and_saveexec_b64 s[70:71], s[28:29]
	s_cbranch_execz .LBB6_4847
; %bb.4846:                             ;   in Loop: Header=BB6_4675 Depth=3
	v_and_b32_e32 v26, 7, v12
	v_ffbh_u32_e32 v32, v26
	v_min_u32_e32 v32, 32, v32
	v_subrev_u32_e32 v33, 28, v32
	v_lshlrev_b64 v[38:39], v33, v[12:13]
	v_lshrrev_b32_e32 v29, 3, v13
	v_sub_u32_e32 v32, 29, v32
	v_and_b32_e32 v33, 7, v38
	v_cmp_gt_u32_e64 s[28:29], 8, v13
	v_cndmask_b32_e64 v13, v29, v32, s[28:29]
	v_cndmask_b32_e64 v26, v26, v33, s[28:29]
	v_lshlrev_b32_e32 v12, 24, v12
	v_lshlrev_b32_e32 v26, 20, v26
	v_and_b32_e32 v12, 0x80000000, v12
	v_lshl_add_u32 v13, v13, 23, v31
	v_or3_b32 v26, v12, v13, v26
.LBB6_4847:                             ;   in Loop: Header=BB6_4675 Depth=3
	s_or_b64 exec, exec, s[70:71]
.LBB6_4848:                             ;   in Loop: Header=BB6_4675 Depth=3
	s_or_b64 exec, exec, s[68:69]
.LBB6_4849:                             ;   in Loop: Header=BB6_4675 Depth=3
	s_or_b64 exec, exec, s[30:31]
	v_cmp_lt_u64_e64 s[28:29], s[42:43], v[8:9]
	s_and_saveexec_b64 s[30:31], s[28:29]
	s_cbranch_execz .LBB6_4855
; %bb.4850:                             ;   in Loop: Header=BB6_4675 Depth=3
	v_lshrrev_b32_e32 v8, 24, v9
	v_cmp_ne_u32_e64 s[28:29], s91, v8
	v_bfrev_b32_e32 v21, 1
	s_and_saveexec_b64 s[68:69], s[28:29]
	s_cbranch_execz .LBB6_4854
; %bb.4851:                             ;   in Loop: Header=BB6_4675 Depth=3
	v_bfe_u32 v9, v9, 24, 7
	v_cmp_ne_u32_e64 s[28:29], s92, v9
	v_mov_b32_e32 v21, 0x7f800001
	s_and_saveexec_b64 s[70:71], s[28:29]
	s_cbranch_execz .LBB6_4853
; %bb.4852:                             ;   in Loop: Header=BB6_4675 Depth=3
	v_and_b32_e32 v21, 7, v8
	v_ffbh_u32_e32 v12, v21
	v_min_u32_e32 v32, 32, v12
	v_subrev_u32_e32 v12, 28, v32
	v_lshlrev_b64 v[12:13], v12, v[8:9]
	v_lshrrev_b32_e32 v29, 3, v9
	v_sub_u32_e32 v13, 29, v32
	v_and_b32_e32 v12, 7, v12
	v_cmp_gt_u32_e64 s[28:29], 8, v9
	v_cndmask_b32_e64 v9, v29, v13, s[28:29]
	v_cndmask_b32_e64 v12, v21, v12, s[28:29]
	v_lshlrev_b32_e32 v8, 24, v8
	v_lshlrev_b32_e32 v12, 20, v12
	v_and_b32_e32 v8, 0x80000000, v8
	v_lshl_add_u32 v9, v9, 23, v31
	v_or3_b32 v21, v8, v9, v12
.LBB6_4853:                             ;   in Loop: Header=BB6_4675 Depth=3
	s_or_b64 exec, exec, s[70:71]
.LBB6_4854:                             ;   in Loop: Header=BB6_4675 Depth=3
	s_or_b64 exec, exec, s[68:69]
.LBB6_4855:                             ;   in Loop: Header=BB6_4675 Depth=3
	s_or_b64 exec, exec, s[30:31]
	v_add_f32_e32 v8, v26, v21
	v_and_b32_sdwa v12, v8, s91 dst_sel:DWORD dst_unused:UNUSED_PAD src0_sel:BYTE_3 src1_sel:DWORD
	v_and_b32_e32 v38, 0x7f800000, v8
	v_mov_b32_e32 v39, v27
	v_and_b32_e32 v26, 0x7fffff, v8
	v_or_b32_e32 v13, 0x7e, v12
	v_cmp_ne_u64_e64 s[28:29], s[52:53], v[38:39]
	s_and_saveexec_b64 s[30:31], s[28:29]
	s_xor_b64 s[68:69], exec, s[30:31]
	s_cbranch_execz .LBB6_4865
; %bb.4856:                             ;   in Loop: Header=BB6_4675 Depth=3
	v_and_b32_e32 v38, 0x7fffffff, v8
	v_mov_b32_e32 v39, v27
	v_cmp_gt_u64_e64 s[28:29], s[54:55], v[38:39]
	s_and_saveexec_b64 s[70:71], s[28:29]
	s_cbranch_execz .LBB6_4864
; %bb.4857:                             ;   in Loop: Header=BB6_4675 Depth=3
	v_cmp_ne_u32_e64 s[28:29], 0, v8
	v_mov_b32_e32 v13, 0
	s_and_saveexec_b64 s[72:73], s[28:29]
	s_cbranch_execz .LBB6_4863
; %bb.4858:                             ;   in Loop: Header=BB6_4675 Depth=3
	v_bfe_u32 v8, v8, 23, 8
	v_cmp_eq_u32_e64 s[28:29], 0, v8
	v_add_u32_e32 v9, 0xffffff81, v8
	v_cmp_gt_u32_e64 s[30:31], s93, v8
	v_sub_u32_e32 v8, 0x79, v8
	v_mov_b32_e32 v21, 0xffffff82
	v_cndmask_b32_e64 v8, 0, v8, s[30:31]
	v_cndmask_b32_e64 v21, v9, v21, s[28:29]
	v_mov_b32_e32 v9, 0x78
	v_cndmask_b32_e64 v29, v8, v9, s[28:29]
	v_add_u32_e32 v8, 20, v29
	v_or_b32_e32 v13, 0x800000, v26
	v_lshlrev_b64 v[8:9], v8, -1
	v_cndmask_b32_e64 v26, v13, v26, s[28:29]
	v_not_b32_e32 v9, v9
	v_not_b32_e32 v8, v8
	v_add_u32_e32 v13, 19, v29
	v_and_b32_e32 v9, 0, v9
	v_and_b32_e32 v8, v26, v8
	v_lshlrev_b64 v[38:39], v13, 1
	v_cmp_eq_u64_e64 s[28:29], v[8:9], v[38:39]
	v_lshrrev_b64 v[8:9], v29, v[26:27]
	v_lshrrev_b32_e32 v13, 23, v8
	v_add3_u32 v26, v29, v21, v13
	v_bfe_u32 v13, v8, 20, 1
	v_add_u32_e32 v13, -1, v13
	v_cndmask_b32_e64 v13, 0, v13, s[28:29]
	v_add_u32_e32 v13, v13, v8
	v_and_b32_e32 v13, 0xfffff, v13
	v_add_co_u32_e64 v8, s[28:29], v13, v8
	v_add_u32_e32 v21, 6, v26
	v_addc_co_u32_e64 v9, s[28:29], 0, v9, s[28:29]
	v_cmp_ne_u32_e64 s[28:29], 0, v21
                                        ; implicit-def: $vgpr13
	s_and_saveexec_b64 s[30:31], s[28:29]
	s_xor_b64 s[30:31], exec, s[30:31]
; %bb.4859:                             ;   in Loop: Header=BB6_4675 Depth=3
	v_add_u32_e32 v13, 7, v26
	v_cmp_lt_u64_e64 s[28:29], s[56:57], v[8:9]
	v_cndmask_b32_e64 v13, v21, v13, s[28:29]
	v_cndmask_b32_e64 v21, 0, 1, s[28:29]
	v_lshrrev_b64 v[8:9], v21, v[8:9]
; %bb.4860:                             ;   in Loop: Header=BB6_4675 Depth=3
	s_andn2_saveexec_b64 s[28:29], s[30:31]
; %bb.4861:                             ;   in Loop: Header=BB6_4675 Depth=3
	v_bfe_u32 v13, v8, 23, 1
; %bb.4862:                             ;   in Loop: Header=BB6_4675 Depth=3
	s_or_b64 exec, exec, s[28:29]
	v_lshrrev_b64 v[8:9], 20, v[8:9]
	v_cmp_gt_i32_e64 s[28:29], 16, v13
	v_cndmask_b32_e64 v9, 0, v9, s[28:29]
	v_cndmask_b32_e64 v8, 7, v8, s[28:29]
	v_cmp_eq_u64_e64 s[30:31], 0, v[8:9]
	v_min_i32_e32 v9, 15, v13
	v_lshlrev_b32_e32 v9, 3, v9
	v_cmp_eq_u32_e64 s[28:29], 0, v13
	v_and_b32_e32 v9, 0xf8, v9
	v_and_or_b32 v8, v8, 7, v9
	s_and_b64 s[28:29], s[28:29], s[30:31]
	v_cndmask_b32_e64 v8, v8, 0, s[28:29]
	v_or_b32_e32 v13, v8, v12
.LBB6_4863:                             ;   in Loop: Header=BB6_4675 Depth=3
	s_or_b64 exec, exec, s[72:73]
.LBB6_4864:                             ;   in Loop: Header=BB6_4675 Depth=3
	s_or_b64 exec, exec, s[70:71]
                                        ; implicit-def: $vgpr8
.LBB6_4865:                             ;   in Loop: Header=BB6_4675 Depth=3
	s_andn2_saveexec_b64 s[30:31], s[68:69]
; %bb.4866:                             ;   in Loop: Header=BB6_4675 Depth=3
	v_or_b32_sdwa v8, v8, s92 dst_sel:DWORD dst_unused:UNUSED_PAD src0_sel:BYTE_3 src1_sel:DWORD
	v_cmp_eq_u64_e64 s[28:29], 0, v[26:27]
	v_cndmask_b32_e64 v13, v8, v13, s[28:29]
; %bb.4867:                             ;   in Loop: Header=BB6_4675 Depth=3
	s_or_b64 exec, exec, s[30:31]
	v_cmp_ne_u16_sdwa s[28:29], v14, v27 src0_sel:BYTE_0 src1_sel:DWORD
	v_mov_b32_e32 v8, 0
	v_mov_b32_e32 v9, 0
	s_and_saveexec_b64 s[30:31], s[28:29]
	s_cbranch_execz .LBB6_4873
; %bb.4868:                             ;   in Loop: Header=BB6_4675 Depth=3
	v_cmp_ne_u16_sdwa s[28:29], v14, s91 src0_sel:BYTE_0 src1_sel:DWORD
	v_bfrev_b32_e32 v9, 1
	s_and_saveexec_b64 s[68:69], s[28:29]
	s_cbranch_execz .LBB6_4872
; %bb.4869:                             ;   in Loop: Header=BB6_4675 Depth=3
	v_and_b32_e32 v12, 0x7f, v14
	v_cmp_ne_u32_e64 s[28:29], s92, v12
	v_mov_b32_e32 v9, 0x7f800001
	s_and_saveexec_b64 s[70:71], s[28:29]
	s_cbranch_execz .LBB6_4871
; %bb.4870:                             ;   in Loop: Header=BB6_4675 Depth=3
	v_and_b32_e32 v9, 7, v14
	v_ffbh_u32_e32 v9, v9
	v_min_u32_e32 v9, 32, v9
	v_subrev_u32_e32 v26, 28, v9
	v_cmp_gt_u32_e64 s[28:29], 8, v12
	v_lshrrev_b32_e32 v21, 3, v12
	v_cndmask_b32_e64 v12, 0, v26, s[28:29]
	v_sub_u32_e32 v9, 29, v9
	v_lshlrev_b64 v[38:39], v12, v[14:15]
	v_cndmask_b32_e64 v9, v21, v9, s[28:29]
	v_lshlrev_b32_e32 v12, 20, v38
	v_lshlrev_b32_e32 v21, 24, v14
	v_and_b32_e32 v12, 0x700000, v12
	v_and_b32_e32 v21, 0x80000000, v21
	v_lshl_add_u32 v9, v9, 23, v31
	v_or3_b32 v9, v21, v9, v12
.LBB6_4871:                             ;   in Loop: Header=BB6_4675 Depth=3
	s_or_b64 exec, exec, s[70:71]
.LBB6_4872:                             ;   in Loop: Header=BB6_4675 Depth=3
	s_or_b64 exec, exec, s[68:69]
.LBB6_4873:                             ;   in Loop: Header=BB6_4675 Depth=3
	s_or_b64 exec, exec, s[30:31]
	v_cmp_ne_u16_sdwa s[28:29], v10, v27 src0_sel:BYTE_0 src1_sel:DWORD
	s_and_saveexec_b64 s[30:31], s[28:29]
	s_cbranch_execz .LBB6_4879
; %bb.4874:                             ;   in Loop: Header=BB6_4675 Depth=3
	v_cmp_ne_u16_sdwa s[28:29], v10, s91 src0_sel:BYTE_0 src1_sel:DWORD
	v_bfrev_b32_e32 v8, 1
	s_and_saveexec_b64 s[68:69], s[28:29]
	s_cbranch_execz .LBB6_4878
; %bb.4875:                             ;   in Loop: Header=BB6_4675 Depth=3
	v_and_b32_e32 v12, 0x7f, v10
	v_cmp_ne_u32_e64 s[28:29], s92, v12
	v_mov_b32_e32 v8, 0x7f800001
	s_and_saveexec_b64 s[70:71], s[28:29]
	s_cbranch_execz .LBB6_4877
; %bb.4876:                             ;   in Loop: Header=BB6_4675 Depth=3
	v_and_b32_e32 v8, 7, v10
	v_ffbh_u32_e32 v8, v8
	v_min_u32_e32 v8, 32, v8
	v_subrev_u32_e32 v26, 28, v8
	v_cmp_gt_u32_e64 s[28:29], 8, v12
	v_lshrrev_b32_e32 v21, 3, v12
	v_cndmask_b32_e64 v12, 0, v26, s[28:29]
	v_sub_u32_e32 v8, 29, v8
	v_lshlrev_b64 v[38:39], v12, v[10:11]
	v_cndmask_b32_e64 v8, v21, v8, s[28:29]
	v_lshlrev_b32_e32 v12, 20, v38
	v_lshlrev_b32_e32 v21, 24, v10
	v_and_b32_e32 v12, 0x700000, v12
	v_and_b32_e32 v21, 0x80000000, v21
	v_lshl_add_u32 v8, v8, 23, v31
	v_or3_b32 v8, v21, v8, v12
.LBB6_4877:                             ;   in Loop: Header=BB6_4675 Depth=3
	s_or_b64 exec, exec, s[70:71]
.LBB6_4878:                             ;   in Loop: Header=BB6_4675 Depth=3
	s_or_b64 exec, exec, s[68:69]
.LBB6_4879:                             ;   in Loop: Header=BB6_4675 Depth=3
	s_or_b64 exec, exec, s[30:31]
	v_add_f32_e32 v8, v9, v8
	v_and_b32_sdwa v12, v8, s91 dst_sel:DWORD dst_unused:UNUSED_PAD src0_sel:BYTE_3 src1_sel:DWORD
	v_and_b32_e32 v38, 0x7f800000, v8
	v_mov_b32_e32 v39, v27
	v_and_b32_e32 v26, 0x7fffff, v8
	v_or_b32_e32 v21, 0x7e, v12
	v_cmp_ne_u64_e64 s[28:29], s[52:53], v[38:39]
	s_and_saveexec_b64 s[30:31], s[28:29]
	s_xor_b64 s[68:69], exec, s[30:31]
	s_cbranch_execz .LBB6_4889
; %bb.4880:                             ;   in Loop: Header=BB6_4675 Depth=3
	v_and_b32_e32 v38, 0x7fffffff, v8
	v_mov_b32_e32 v39, v27
	v_cmp_gt_u64_e64 s[28:29], s[54:55], v[38:39]
	s_and_saveexec_b64 s[70:71], s[28:29]
	s_cbranch_execz .LBB6_4888
; %bb.4881:                             ;   in Loop: Header=BB6_4675 Depth=3
	v_cmp_ne_u32_e64 s[28:29], 0, v8
	v_mov_b32_e32 v21, 0
	s_and_saveexec_b64 s[72:73], s[28:29]
	s_cbranch_execz .LBB6_4887
; %bb.4882:                             ;   in Loop: Header=BB6_4675 Depth=3
	v_bfe_u32 v8, v8, 23, 8
	v_cmp_eq_u32_e64 s[28:29], 0, v8
	v_add_u32_e32 v9, 0xffffff81, v8
	v_cmp_gt_u32_e64 s[30:31], s93, v8
	v_sub_u32_e32 v8, 0x79, v8
	v_mov_b32_e32 v29, 0xffffff82
	v_cndmask_b32_e64 v8, 0, v8, s[30:31]
	v_cndmask_b32_e64 v29, v9, v29, s[28:29]
	v_mov_b32_e32 v9, 0x78
	v_cndmask_b32_e64 v32, v8, v9, s[28:29]
	v_add_u32_e32 v8, 20, v32
	v_or_b32_e32 v21, 0x800000, v26
	v_lshlrev_b64 v[8:9], v8, -1
	v_cndmask_b32_e64 v26, v21, v26, s[28:29]
	v_not_b32_e32 v9, v9
	v_not_b32_e32 v8, v8
	v_add_u32_e32 v21, 19, v32
	v_and_b32_e32 v9, 0, v9
	v_and_b32_e32 v8, v26, v8
	v_lshlrev_b64 v[38:39], v21, 1
	v_cmp_eq_u64_e64 s[28:29], v[8:9], v[38:39]
	v_lshrrev_b64 v[8:9], v32, v[26:27]
	v_lshrrev_b32_e32 v21, 23, v8
	v_add3_u32 v29, v32, v29, v21
	v_bfe_u32 v21, v8, 20, 1
	v_add_u32_e32 v21, -1, v21
	v_cndmask_b32_e64 v21, 0, v21, s[28:29]
	v_add_u32_e32 v21, v21, v8
	v_and_b32_e32 v21, 0xfffff, v21
	v_add_co_u32_e64 v8, s[28:29], v21, v8
	v_add_u32_e32 v26, 6, v29
	v_addc_co_u32_e64 v9, s[28:29], 0, v9, s[28:29]
	v_cmp_ne_u32_e64 s[28:29], 0, v26
                                        ; implicit-def: $vgpr21
	s_and_saveexec_b64 s[30:31], s[28:29]
	s_xor_b64 s[30:31], exec, s[30:31]
; %bb.4883:                             ;   in Loop: Header=BB6_4675 Depth=3
	v_add_u32_e32 v21, 7, v29
	v_cmp_lt_u64_e64 s[28:29], s[56:57], v[8:9]
	v_cndmask_b32_e64 v21, v26, v21, s[28:29]
	v_cndmask_b32_e64 v26, 0, 1, s[28:29]
	v_lshrrev_b64 v[8:9], v26, v[8:9]
; %bb.4884:                             ;   in Loop: Header=BB6_4675 Depth=3
	s_andn2_saveexec_b64 s[28:29], s[30:31]
; %bb.4885:                             ;   in Loop: Header=BB6_4675 Depth=3
	v_bfe_u32 v21, v8, 23, 1
; %bb.4886:                             ;   in Loop: Header=BB6_4675 Depth=3
	s_or_b64 exec, exec, s[28:29]
	v_lshrrev_b64 v[8:9], 20, v[8:9]
	v_cmp_gt_i32_e64 s[28:29], 16, v21
	v_cndmask_b32_e64 v9, 0, v9, s[28:29]
	v_cndmask_b32_e64 v8, 7, v8, s[28:29]
	v_cmp_eq_u64_e64 s[30:31], 0, v[8:9]
	v_min_i32_e32 v9, 15, v21
	v_cmp_eq_u32_e64 s[28:29], 0, v21
	v_lshlrev_b32_e32 v9, 3, v9
	v_and_or_b32 v8, v8, 7, v9
	s_and_b64 s[28:29], s[28:29], s[30:31]
	v_cndmask_b32_e64 v8, v8, 0, s[28:29]
	v_or_b32_e32 v21, v8, v12
.LBB6_4887:                             ;   in Loop: Header=BB6_4675 Depth=3
	s_or_b64 exec, exec, s[72:73]
.LBB6_4888:                             ;   in Loop: Header=BB6_4675 Depth=3
	s_or_b64 exec, exec, s[70:71]
                                        ; implicit-def: $vgpr8
.LBB6_4889:                             ;   in Loop: Header=BB6_4675 Depth=3
	s_andn2_saveexec_b64 s[30:31], s[68:69]
; %bb.4890:                             ;   in Loop: Header=BB6_4675 Depth=3
	v_or_b32_sdwa v8, v8, s92 dst_sel:DWORD dst_unused:UNUSED_PAD src0_sel:BYTE_3 src1_sel:DWORD
	v_cmp_eq_u64_e64 s[28:29], 0, v[26:27]
	v_cndmask_b32_e64 v21, v8, v21, s[28:29]
; %bb.4891:                             ;   in Loop: Header=BB6_4675 Depth=3
	s_or_b64 exec, exec, s[30:31]
	v_lshrrev_b16_e32 v8, 8, v14
	v_cmp_ne_u16_e64 s[28:29], 0, v8
	v_mov_b32_e32 v9, 0
	v_mov_b32_e32 v12, 0
	s_and_saveexec_b64 s[30:31], s[28:29]
	s_cbranch_execz .LBB6_4897
; %bb.4892:                             ;   in Loop: Header=BB6_4675 Depth=3
	v_cmp_ne_u16_e64 s[28:29], s91, v8
	v_bfrev_b32_e32 v12, 1
	s_and_saveexec_b64 s[68:69], s[28:29]
	s_cbranch_execz .LBB6_4896
; %bb.4893:                             ;   in Loop: Header=BB6_4675 Depth=3
	v_and_b32_e32 v26, 0x7f, v8
	v_cmp_ne_u32_e64 s[28:29], s92, v26
	v_mov_b32_e32 v12, 0x7f800001
	s_and_saveexec_b64 s[70:71], s[28:29]
	s_cbranch_execz .LBB6_4895
; %bb.4894:                             ;   in Loop: Header=BB6_4675 Depth=3
	v_and_b32_e32 v12, 7, v8
	v_ffbh_u32_e32 v32, v12
	v_min_u32_e32 v32, 32, v32
	v_subrev_u32_e32 v33, 28, v32
	v_lshlrev_b64 v[38:39], v33, v[8:9]
	v_lshrrev_b32_e32 v29, 3, v26
	v_sub_u32_e32 v8, 29, v32
	v_and_b32_e32 v32, 7, v38
	v_cmp_gt_u32_e64 s[28:29], 8, v26
	v_cndmask_b32_e64 v8, v29, v8, s[28:29]
	v_cndmask_b32_e64 v12, v12, v32, s[28:29]
	v_lshlrev_b32_e32 v26, 16, v14
	v_lshlrev_b32_e32 v12, 20, v12
	v_and_b32_e32 v26, 0x80000000, v26
	v_lshl_add_u32 v8, v8, 23, v31
	v_or3_b32 v12, v26, v8, v12
.LBB6_4895:                             ;   in Loop: Header=BB6_4675 Depth=3
	s_or_b64 exec, exec, s[70:71]
.LBB6_4896:                             ;   in Loop: Header=BB6_4675 Depth=3
	s_or_b64 exec, exec, s[68:69]
.LBB6_4897:                             ;   in Loop: Header=BB6_4675 Depth=3
	s_or_b64 exec, exec, s[30:31]
	v_lshrrev_b16_e32 v8, 8, v10
	v_cmp_ne_u16_e64 s[28:29], 0, v8
	s_and_saveexec_b64 s[30:31], s[28:29]
	s_cbranch_execz .LBB6_4903
; %bb.4898:                             ;   in Loop: Header=BB6_4675 Depth=3
	v_cmp_ne_u16_e64 s[28:29], s91, v8
	v_bfrev_b32_e32 v9, 1
	s_and_saveexec_b64 s[68:69], s[28:29]
	s_cbranch_execz .LBB6_4902
; %bb.4899:                             ;   in Loop: Header=BB6_4675 Depth=3
	v_and_b32_e32 v26, 0x7f, v8
	v_cmp_ne_u32_e64 s[28:29], s92, v26
	v_mov_b32_e32 v9, 0x7f800001
	s_and_saveexec_b64 s[70:71], s[28:29]
	s_cbranch_execz .LBB6_4901
; %bb.4900:                             ;   in Loop: Header=BB6_4675 Depth=3
	v_and_b32_e32 v29, 7, v8
	v_ffbh_u32_e32 v9, v29
	v_min_u32_e32 v33, 32, v9
	v_subrev_u32_e32 v9, 28, v33
	v_lshlrev_b64 v[8:9], v9, v[8:9]
	v_lshrrev_b32_e32 v32, 3, v26
	v_sub_u32_e32 v9, 29, v33
	v_and_b32_e32 v8, 7, v8
	v_cmp_gt_u32_e64 s[28:29], 8, v26
	v_cndmask_b32_e64 v9, v32, v9, s[28:29]
	v_cndmask_b32_e64 v8, v29, v8, s[28:29]
	v_lshlrev_b32_e32 v26, 16, v10
	v_lshlrev_b32_e32 v8, 20, v8
	v_and_b32_e32 v26, 0x80000000, v26
	v_lshl_add_u32 v9, v9, 23, v31
	v_or3_b32 v9, v26, v9, v8
.LBB6_4901:                             ;   in Loop: Header=BB6_4675 Depth=3
	s_or_b64 exec, exec, s[70:71]
.LBB6_4902:                             ;   in Loop: Header=BB6_4675 Depth=3
	s_or_b64 exec, exec, s[68:69]
.LBB6_4903:                             ;   in Loop: Header=BB6_4675 Depth=3
	s_or_b64 exec, exec, s[30:31]
	v_add_f32_e32 v8, v12, v9
	v_and_b32_sdwa v12, v8, s91 dst_sel:DWORD dst_unused:UNUSED_PAD src0_sel:BYTE_3 src1_sel:DWORD
	v_and_b32_e32 v38, 0x7f800000, v8
	v_mov_b32_e32 v39, v27
	v_and_b32_e32 v26, 0x7fffff, v8
	v_or_b32_e32 v37, 0x7e, v12
	v_cmp_ne_u64_e64 s[28:29], s[52:53], v[38:39]
	s_and_saveexec_b64 s[30:31], s[28:29]
	s_xor_b64 s[68:69], exec, s[30:31]
	s_cbranch_execz .LBB6_4913
; %bb.4904:                             ;   in Loop: Header=BB6_4675 Depth=3
	v_and_b32_e32 v38, 0x7fffffff, v8
	v_mov_b32_e32 v39, v27
	v_cmp_gt_u64_e64 s[28:29], s[54:55], v[38:39]
	s_and_saveexec_b64 s[70:71], s[28:29]
	s_cbranch_execz .LBB6_4912
; %bb.4905:                             ;   in Loop: Header=BB6_4675 Depth=3
	v_cmp_ne_u32_e64 s[28:29], 0, v8
	v_mov_b32_e32 v37, 0
	s_and_saveexec_b64 s[72:73], s[28:29]
	s_cbranch_execz .LBB6_4911
; %bb.4906:                             ;   in Loop: Header=BB6_4675 Depth=3
	v_bfe_u32 v8, v8, 23, 8
	v_cmp_eq_u32_e64 s[28:29], 0, v8
	v_add_u32_e32 v9, 0xffffff81, v8
	v_cmp_gt_u32_e64 s[30:31], s93, v8
	v_sub_u32_e32 v8, 0x79, v8
	v_mov_b32_e32 v32, 0xffffff82
	v_cndmask_b32_e64 v8, 0, v8, s[30:31]
	v_cndmask_b32_e64 v32, v9, v32, s[28:29]
	v_mov_b32_e32 v9, 0x78
	v_cndmask_b32_e64 v33, v8, v9, s[28:29]
	v_add_u32_e32 v8, 20, v33
	v_or_b32_e32 v29, 0x800000, v26
	v_lshlrev_b64 v[8:9], v8, -1
	v_cndmask_b32_e64 v26, v29, v26, s[28:29]
	v_not_b32_e32 v9, v9
	v_not_b32_e32 v8, v8
	v_add_u32_e32 v29, 19, v33
	v_and_b32_e32 v9, 0, v9
	v_and_b32_e32 v8, v26, v8
	v_lshlrev_b64 v[38:39], v29, 1
	v_cmp_eq_u64_e64 s[28:29], v[8:9], v[38:39]
	v_lshrrev_b64 v[8:9], v33, v[26:27]
	v_lshrrev_b32_e32 v26, 23, v8
	v_add3_u32 v37, v33, v32, v26
	v_bfe_u32 v26, v8, 20, 1
	v_add_u32_e32 v26, -1, v26
	v_cndmask_b32_e64 v26, 0, v26, s[28:29]
	v_add_u32_e32 v26, v26, v8
	v_and_b32_e32 v26, 0xfffff, v26
	v_add_co_u32_e64 v8, s[28:29], v26, v8
	v_add_u32_e32 v29, 6, v37
	v_addc_co_u32_e64 v9, s[28:29], 0, v9, s[28:29]
	v_cmp_ne_u32_e64 s[28:29], 0, v29
                                        ; implicit-def: $vgpr26
	s_and_saveexec_b64 s[30:31], s[28:29]
	s_xor_b64 s[30:31], exec, s[30:31]
; %bb.4907:                             ;   in Loop: Header=BB6_4675 Depth=3
	v_add_u32_e32 v26, 7, v37
	v_cmp_lt_u64_e64 s[28:29], s[56:57], v[8:9]
	v_cndmask_b32_e64 v26, v29, v26, s[28:29]
	v_cndmask_b32_e64 v29, 0, 1, s[28:29]
	v_lshrrev_b64 v[8:9], v29, v[8:9]
; %bb.4908:                             ;   in Loop: Header=BB6_4675 Depth=3
	s_andn2_saveexec_b64 s[28:29], s[30:31]
; %bb.4909:                             ;   in Loop: Header=BB6_4675 Depth=3
	v_bfe_u32 v26, v8, 23, 1
; %bb.4910:                             ;   in Loop: Header=BB6_4675 Depth=3
	s_or_b64 exec, exec, s[28:29]
	v_lshrrev_b64 v[8:9], 20, v[8:9]
	v_cmp_gt_i32_e64 s[28:29], 16, v26
	v_cndmask_b32_e64 v9, 0, v9, s[28:29]
	v_cndmask_b32_e64 v8, 7, v8, s[28:29]
	v_cmp_eq_u64_e64 s[30:31], 0, v[8:9]
	v_min_i32_e32 v9, 15, v26
	v_cmp_eq_u32_e64 s[28:29], 0, v26
	v_lshlrev_b32_e32 v9, 3, v9
	v_and_or_b32 v8, v8, 7, v9
	s_and_b64 s[28:29], s[28:29], s[30:31]
	v_cndmask_b32_e64 v8, v8, 0, s[28:29]
	v_or_b32_e32 v37, v8, v12
.LBB6_4911:                             ;   in Loop: Header=BB6_4675 Depth=3
	s_or_b64 exec, exec, s[72:73]
.LBB6_4912:                             ;   in Loop: Header=BB6_4675 Depth=3
	s_or_b64 exec, exec, s[70:71]
                                        ; implicit-def: $vgpr8
.LBB6_4913:                             ;   in Loop: Header=BB6_4675 Depth=3
	s_andn2_saveexec_b64 s[30:31], s[68:69]
; %bb.4914:                             ;   in Loop: Header=BB6_4675 Depth=3
	v_or_b32_sdwa v8, v8, s92 dst_sel:DWORD dst_unused:UNUSED_PAD src0_sel:BYTE_3 src1_sel:DWORD
	v_cmp_eq_u64_e64 s[28:29], 0, v[26:27]
	v_cndmask_b32_e64 v37, v8, v37, s[28:29]
; %bb.4915:                             ;   in Loop: Header=BB6_4675 Depth=3
	s_or_b64 exec, exec, s[30:31]
	v_lshrrev_b32_e32 v8, 16, v14
	v_cmp_ne_u16_sdwa s[28:29], v8, v27 src0_sel:BYTE_0 src1_sel:DWORD
	v_mov_b32_e32 v9, 0
	v_mov_b32_e32 v12, 0
	s_and_saveexec_b64 s[30:31], s[28:29]
	s_cbranch_execz .LBB6_4921
; %bb.4916:                             ;   in Loop: Header=BB6_4675 Depth=3
	v_cmp_ne_u16_sdwa s[28:29], v8, s91 src0_sel:BYTE_0 src1_sel:DWORD
	v_bfrev_b32_e32 v12, 1
	s_and_saveexec_b64 s[68:69], s[28:29]
	s_cbranch_execz .LBB6_4920
; %bb.4917:                             ;   in Loop: Header=BB6_4675 Depth=3
	v_bfe_u32 v26, v14, 16, 7
	v_cmp_ne_u32_e64 s[28:29], s92, v26
	v_mov_b32_e32 v12, 0x7f800001
	s_and_saveexec_b64 s[70:71], s[28:29]
	s_cbranch_execz .LBB6_4919
; %bb.4918:                             ;   in Loop: Header=BB6_4675 Depth=3
	v_and_b32_e32 v12, 7, v8
	v_ffbh_u32_e32 v32, v12
	v_min_u32_e32 v32, 32, v32
	v_subrev_u32_e32 v33, 28, v32
	v_lshlrev_b64 v[38:39], v33, v[8:9]
	v_lshrrev_b32_e32 v29, 3, v26
	v_sub_u32_e32 v32, 29, v32
	v_and_b32_e32 v33, 7, v38
	v_cmp_gt_u32_e64 s[28:29], 8, v26
	v_cndmask_b32_e64 v26, v29, v32, s[28:29]
	v_cndmask_b32_e64 v12, v12, v33, s[28:29]
	v_lshlrev_b32_e32 v8, 24, v8
	v_lshlrev_b32_e32 v12, 20, v12
	v_and_b32_e32 v8, 0x80000000, v8
	v_lshl_add_u32 v26, v26, 23, v31
	v_or3_b32 v12, v8, v26, v12
.LBB6_4919:                             ;   in Loop: Header=BB6_4675 Depth=3
	s_or_b64 exec, exec, s[70:71]
.LBB6_4920:                             ;   in Loop: Header=BB6_4675 Depth=3
	s_or_b64 exec, exec, s[68:69]
.LBB6_4921:                             ;   in Loop: Header=BB6_4675 Depth=3
	s_or_b64 exec, exec, s[30:31]
	v_lshrrev_b32_e32 v8, 16, v10
	v_cmp_ne_u16_sdwa s[28:29], v8, v27 src0_sel:BYTE_0 src1_sel:DWORD
	s_and_saveexec_b64 s[30:31], s[28:29]
	s_cbranch_execz .LBB6_4927
; %bb.4922:                             ;   in Loop: Header=BB6_4675 Depth=3
	v_cmp_ne_u16_sdwa s[28:29], v8, s91 src0_sel:BYTE_0 src1_sel:DWORD
	v_bfrev_b32_e32 v9, 1
	s_and_saveexec_b64 s[68:69], s[28:29]
	s_cbranch_execz .LBB6_4926
; %bb.4923:                             ;   in Loop: Header=BB6_4675 Depth=3
	v_bfe_u32 v26, v10, 16, 7
	v_cmp_ne_u32_e64 s[28:29], s92, v26
	v_mov_b32_e32 v9, 0x7f800001
	s_and_saveexec_b64 s[70:71], s[28:29]
	s_cbranch_execz .LBB6_4925
; %bb.4924:                             ;   in Loop: Header=BB6_4675 Depth=3
	v_and_b32_e32 v29, 7, v8
	v_ffbh_u32_e32 v9, v29
	v_min_u32_e32 v33, 32, v9
	v_subrev_u32_e32 v9, 28, v33
	v_lshlrev_b64 v[8:9], v9, v[8:9]
	v_lshrrev_b32_e32 v32, 3, v26
	v_sub_u32_e32 v9, 29, v33
	v_and_b32_e32 v8, 7, v8
	v_cmp_gt_u32_e64 s[28:29], 8, v26
	v_cndmask_b32_e64 v9, v32, v9, s[28:29]
	v_cndmask_b32_e64 v8, v29, v8, s[28:29]
	v_lshlrev_b32_e32 v26, 8, v10
	v_lshlrev_b32_e32 v8, 20, v8
	v_and_b32_e32 v26, 0x80000000, v26
	v_lshl_add_u32 v9, v9, 23, v31
	v_or3_b32 v9, v26, v9, v8
.LBB6_4925:                             ;   in Loop: Header=BB6_4675 Depth=3
	s_or_b64 exec, exec, s[70:71]
.LBB6_4926:                             ;   in Loop: Header=BB6_4675 Depth=3
	s_or_b64 exec, exec, s[68:69]
.LBB6_4927:                             ;   in Loop: Header=BB6_4675 Depth=3
	s_or_b64 exec, exec, s[30:31]
	v_add_f32_e32 v8, v12, v9
	v_and_b32_sdwa v12, v8, s91 dst_sel:DWORD dst_unused:UNUSED_PAD src0_sel:BYTE_3 src1_sel:DWORD
	v_and_b32_e32 v50, 0x7f800000, v8
	v_mov_b32_e32 v51, v27
	v_and_b32_e32 v26, 0x7fffff, v8
	v_or_b32_e32 v38, 0x7e, v12
	v_cmp_ne_u64_e64 s[28:29], s[52:53], v[50:51]
	s_and_saveexec_b64 s[30:31], s[28:29]
	s_xor_b64 s[68:69], exec, s[30:31]
	s_cbranch_execz .LBB6_4937
; %bb.4928:                             ;   in Loop: Header=BB6_4675 Depth=3
	v_and_b32_e32 v50, 0x7fffffff, v8
	v_mov_b32_e32 v51, v27
	v_cmp_gt_u64_e64 s[28:29], s[54:55], v[50:51]
	s_and_saveexec_b64 s[70:71], s[28:29]
	s_cbranch_execz .LBB6_4936
; %bb.4929:                             ;   in Loop: Header=BB6_4675 Depth=3
	v_cmp_ne_u32_e64 s[28:29], 0, v8
	v_mov_b32_e32 v38, 0
	s_and_saveexec_b64 s[72:73], s[28:29]
	s_cbranch_execz .LBB6_4935
; %bb.4930:                             ;   in Loop: Header=BB6_4675 Depth=3
	v_bfe_u32 v8, v8, 23, 8
	v_cmp_eq_u32_e64 s[28:29], 0, v8
	v_add_u32_e32 v9, 0xffffff81, v8
	v_cmp_gt_u32_e64 s[30:31], s93, v8
	v_sub_u32_e32 v8, 0x79, v8
	v_mov_b32_e32 v32, 0xffffff82
	v_cndmask_b32_e64 v8, 0, v8, s[30:31]
	v_cndmask_b32_e64 v32, v9, v32, s[28:29]
	v_mov_b32_e32 v9, 0x78
	v_cndmask_b32_e64 v33, v8, v9, s[28:29]
	v_add_u32_e32 v8, 20, v33
	v_or_b32_e32 v29, 0x800000, v26
	v_lshlrev_b64 v[8:9], v8, -1
	v_cndmask_b32_e64 v26, v29, v26, s[28:29]
	v_not_b32_e32 v9, v9
	v_not_b32_e32 v8, v8
	v_add_u32_e32 v29, 19, v33
	v_and_b32_e32 v9, 0, v9
	v_and_b32_e32 v8, v26, v8
	v_lshlrev_b64 v[38:39], v29, 1
	v_cmp_eq_u64_e64 s[28:29], v[8:9], v[38:39]
	v_lshrrev_b64 v[8:9], v33, v[26:27]
	v_lshrrev_b32_e32 v26, 23, v8
	v_add3_u32 v38, v33, v32, v26
	v_bfe_u32 v26, v8, 20, 1
	v_add_u32_e32 v26, -1, v26
	v_cndmask_b32_e64 v26, 0, v26, s[28:29]
	v_add_u32_e32 v26, v26, v8
	v_and_b32_e32 v26, 0xfffff, v26
	v_add_co_u32_e64 v8, s[28:29], v26, v8
	v_add_u32_e32 v29, 6, v38
	v_addc_co_u32_e64 v9, s[28:29], 0, v9, s[28:29]
	v_cmp_ne_u32_e64 s[28:29], 0, v29
                                        ; implicit-def: $vgpr26
	s_and_saveexec_b64 s[30:31], s[28:29]
	s_xor_b64 s[30:31], exec, s[30:31]
; %bb.4931:                             ;   in Loop: Header=BB6_4675 Depth=3
	v_add_u32_e32 v26, 7, v38
	v_cmp_lt_u64_e64 s[28:29], s[56:57], v[8:9]
	v_cndmask_b32_e64 v26, v29, v26, s[28:29]
	v_cndmask_b32_e64 v29, 0, 1, s[28:29]
	v_lshrrev_b64 v[8:9], v29, v[8:9]
; %bb.4932:                             ;   in Loop: Header=BB6_4675 Depth=3
	s_andn2_saveexec_b64 s[28:29], s[30:31]
; %bb.4933:                             ;   in Loop: Header=BB6_4675 Depth=3
	v_bfe_u32 v26, v8, 23, 1
; %bb.4934:                             ;   in Loop: Header=BB6_4675 Depth=3
	s_or_b64 exec, exec, s[28:29]
	v_lshrrev_b64 v[8:9], 20, v[8:9]
	v_cmp_gt_i32_e64 s[28:29], 16, v26
	v_cndmask_b32_e64 v9, 0, v9, s[28:29]
	v_cndmask_b32_e64 v8, 7, v8, s[28:29]
	v_cmp_eq_u64_e64 s[30:31], 0, v[8:9]
	v_min_i32_e32 v9, 15, v26
	v_cmp_eq_u32_e64 s[28:29], 0, v26
	v_lshlrev_b32_e32 v9, 3, v9
	v_and_or_b32 v8, v8, 7, v9
	s_and_b64 s[28:29], s[28:29], s[30:31]
	v_cndmask_b32_e64 v8, v8, 0, s[28:29]
	v_or_b32_e32 v38, v8, v12
.LBB6_4935:                             ;   in Loop: Header=BB6_4675 Depth=3
	s_or_b64 exec, exec, s[72:73]
.LBB6_4936:                             ;   in Loop: Header=BB6_4675 Depth=3
	s_or_b64 exec, exec, s[70:71]
                                        ; implicit-def: $vgpr8
.LBB6_4937:                             ;   in Loop: Header=BB6_4675 Depth=3
	s_andn2_saveexec_b64 s[30:31], s[68:69]
; %bb.4938:                             ;   in Loop: Header=BB6_4675 Depth=3
	v_or_b32_sdwa v8, v8, s92 dst_sel:DWORD dst_unused:UNUSED_PAD src0_sel:BYTE_3 src1_sel:DWORD
	v_cmp_eq_u64_e64 s[28:29], 0, v[26:27]
	v_cndmask_b32_e64 v38, v8, v38, s[28:29]
; %bb.4939:                             ;   in Loop: Header=BB6_4675 Depth=3
	s_or_b64 exec, exec, s[30:31]
	v_cmp_lt_u32_e64 s[28:29], s43, v14
	v_mov_b32_e32 v9, 0
	v_mov_b32_e32 v12, 0
	s_and_saveexec_b64 s[30:31], s[28:29]
	s_cbranch_execz .LBB6_4945
; %bb.4940:                             ;   in Loop: Header=BB6_4675 Depth=3
	v_lshrrev_b32_e32 v8, 24, v14
	v_cmp_ne_u32_e64 s[28:29], s91, v8
	v_bfrev_b32_e32 v12, 1
	s_and_saveexec_b64 s[68:69], s[28:29]
	s_cbranch_execz .LBB6_4944
; %bb.4941:                             ;   in Loop: Header=BB6_4675 Depth=3
	v_bfe_u32 v26, v14, 24, 7
	v_cmp_ne_u32_e64 s[28:29], s92, v26
	v_mov_b32_e32 v12, 0x7f800001
	s_and_saveexec_b64 s[70:71], s[28:29]
	s_cbranch_execz .LBB6_4943
; %bb.4942:                             ;   in Loop: Header=BB6_4675 Depth=3
	v_and_b32_e32 v12, 7, v8
	v_ffbh_u32_e32 v32, v12
	v_min_u32_e32 v32, 32, v32
	v_subrev_u32_e32 v33, 28, v32
	v_lshlrev_b64 v[50:51], v33, v[8:9]
	v_lshrrev_b32_e32 v29, 3, v26
	v_sub_u32_e32 v32, 29, v32
	v_and_b32_e32 v33, 7, v50
	v_cmp_gt_u32_e64 s[28:29], 8, v26
	v_cndmask_b32_e64 v26, v29, v32, s[28:29]
	v_cndmask_b32_e64 v12, v12, v33, s[28:29]
	v_lshlrev_b32_e32 v8, 24, v8
	v_lshlrev_b32_e32 v12, 20, v12
	v_and_b32_e32 v8, 0x80000000, v8
	v_lshl_add_u32 v26, v26, 23, v31
	v_or3_b32 v12, v8, v26, v12
.LBB6_4943:                             ;   in Loop: Header=BB6_4675 Depth=3
	s_or_b64 exec, exec, s[70:71]
.LBB6_4944:                             ;   in Loop: Header=BB6_4675 Depth=3
	s_or_b64 exec, exec, s[68:69]
.LBB6_4945:                             ;   in Loop: Header=BB6_4675 Depth=3
	s_or_b64 exec, exec, s[30:31]
	v_cmp_lt_u32_e64 s[28:29], s43, v10
	s_and_saveexec_b64 s[30:31], s[28:29]
	s_cbranch_execz .LBB6_4951
; %bb.4946:                             ;   in Loop: Header=BB6_4675 Depth=3
	v_lshrrev_b32_e32 v8, 24, v10
	v_cmp_ne_u32_e64 s[28:29], s91, v8
	v_bfrev_b32_e32 v9, 1
	s_and_saveexec_b64 s[68:69], s[28:29]
	s_cbranch_execz .LBB6_4950
; %bb.4947:                             ;   in Loop: Header=BB6_4675 Depth=3
	v_bfe_u32 v26, v10, 24, 7
	v_cmp_ne_u32_e64 s[28:29], s92, v26
	v_mov_b32_e32 v9, 0x7f800001
	s_and_saveexec_b64 s[70:71], s[28:29]
	s_cbranch_execz .LBB6_4949
; %bb.4948:                             ;   in Loop: Header=BB6_4675 Depth=3
	v_and_b32_e32 v9, 7, v8
	v_ffbh_u32_e32 v32, v9
	v_min_u32_e32 v32, 32, v32
	v_subrev_u32_e32 v33, 28, v32
	v_lshlrev_b64 v[50:51], v33, v[8:9]
	v_lshrrev_b32_e32 v29, 3, v26
	v_sub_u32_e32 v32, 29, v32
	v_and_b32_e32 v33, 7, v50
	v_cmp_gt_u32_e64 s[28:29], 8, v26
	v_cndmask_b32_e64 v26, v29, v32, s[28:29]
	v_cndmask_b32_e64 v9, v9, v33, s[28:29]
	v_lshlrev_b32_e32 v8, 24, v8
	v_lshlrev_b32_e32 v9, 20, v9
	v_and_b32_e32 v8, 0x80000000, v8
	v_lshl_add_u32 v26, v26, 23, v31
	v_or3_b32 v9, v8, v26, v9
.LBB6_4949:                             ;   in Loop: Header=BB6_4675 Depth=3
	s_or_b64 exec, exec, s[70:71]
.LBB6_4950:                             ;   in Loop: Header=BB6_4675 Depth=3
	s_or_b64 exec, exec, s[68:69]
.LBB6_4951:                             ;   in Loop: Header=BB6_4675 Depth=3
	s_or_b64 exec, exec, s[30:31]
	v_add_f32_e32 v8, v12, v9
	v_and_b32_sdwa v12, v8, s91 dst_sel:DWORD dst_unused:UNUSED_PAD src0_sel:BYTE_3 src1_sel:DWORD
	v_and_b32_e32 v50, 0x7f800000, v8
	v_mov_b32_e32 v51, v27
	v_and_b32_e32 v26, 0x7fffff, v8
	v_or_b32_e32 v39, 0x7e, v12
	v_cmp_ne_u64_e64 s[28:29], s[52:53], v[50:51]
	s_and_saveexec_b64 s[30:31], s[28:29]
	s_xor_b64 s[68:69], exec, s[30:31]
	s_cbranch_execz .LBB6_4961
; %bb.4952:                             ;   in Loop: Header=BB6_4675 Depth=3
	v_and_b32_e32 v50, 0x7fffffff, v8
	v_mov_b32_e32 v51, v27
	v_cmp_gt_u64_e64 s[28:29], s[54:55], v[50:51]
	s_and_saveexec_b64 s[70:71], s[28:29]
	s_cbranch_execz .LBB6_4960
; %bb.4953:                             ;   in Loop: Header=BB6_4675 Depth=3
	v_cmp_ne_u32_e64 s[28:29], 0, v8
	v_mov_b32_e32 v39, 0
	s_and_saveexec_b64 s[72:73], s[28:29]
	s_cbranch_execz .LBB6_4959
; %bb.4954:                             ;   in Loop: Header=BB6_4675 Depth=3
	v_bfe_u32 v8, v8, 23, 8
	v_cmp_eq_u32_e64 s[28:29], 0, v8
	v_add_u32_e32 v9, 0xffffff81, v8
	v_cmp_gt_u32_e64 s[30:31], s93, v8
	v_sub_u32_e32 v8, 0x79, v8
	v_mov_b32_e32 v32, 0xffffff82
	v_cndmask_b32_e64 v8, 0, v8, s[30:31]
	v_cndmask_b32_e64 v32, v9, v32, s[28:29]
	v_mov_b32_e32 v9, 0x78
	v_cndmask_b32_e64 v33, v8, v9, s[28:29]
	v_add_u32_e32 v8, 20, v33
	v_or_b32_e32 v29, 0x800000, v26
	v_lshlrev_b64 v[8:9], v8, -1
	v_cndmask_b32_e64 v26, v29, v26, s[28:29]
	v_not_b32_e32 v9, v9
	v_not_b32_e32 v8, v8
	v_add_u32_e32 v29, 19, v33
	v_and_b32_e32 v9, 0, v9
	v_and_b32_e32 v8, v26, v8
	v_lshlrev_b64 v[50:51], v29, 1
	v_cmp_eq_u64_e64 s[28:29], v[8:9], v[50:51]
	v_lshrrev_b64 v[8:9], v33, v[26:27]
	v_lshrrev_b32_e32 v26, 23, v8
	v_add3_u32 v39, v33, v32, v26
	v_bfe_u32 v26, v8, 20, 1
	v_add_u32_e32 v26, -1, v26
	v_cndmask_b32_e64 v26, 0, v26, s[28:29]
	v_add_u32_e32 v26, v26, v8
	v_and_b32_e32 v26, 0xfffff, v26
	v_add_co_u32_e64 v8, s[28:29], v26, v8
	v_add_u32_e32 v29, 6, v39
	v_addc_co_u32_e64 v9, s[28:29], 0, v9, s[28:29]
	v_cmp_ne_u32_e64 s[28:29], 0, v29
                                        ; implicit-def: $vgpr26
	s_and_saveexec_b64 s[30:31], s[28:29]
	s_xor_b64 s[30:31], exec, s[30:31]
; %bb.4955:                             ;   in Loop: Header=BB6_4675 Depth=3
	v_add_u32_e32 v26, 7, v39
	v_cmp_lt_u64_e64 s[28:29], s[56:57], v[8:9]
	v_cndmask_b32_e64 v26, v29, v26, s[28:29]
	v_cndmask_b32_e64 v29, 0, 1, s[28:29]
	v_lshrrev_b64 v[8:9], v29, v[8:9]
; %bb.4956:                             ;   in Loop: Header=BB6_4675 Depth=3
	s_andn2_saveexec_b64 s[28:29], s[30:31]
; %bb.4957:                             ;   in Loop: Header=BB6_4675 Depth=3
	v_bfe_u32 v26, v8, 23, 1
; %bb.4958:                             ;   in Loop: Header=BB6_4675 Depth=3
	s_or_b64 exec, exec, s[28:29]
	v_lshrrev_b64 v[8:9], 20, v[8:9]
	v_cmp_gt_i32_e64 s[28:29], 16, v26
	v_cndmask_b32_e64 v9, 0, v9, s[28:29]
	v_cndmask_b32_e64 v8, 7, v8, s[28:29]
	v_cmp_eq_u64_e64 s[30:31], 0, v[8:9]
	v_min_i32_e32 v9, 15, v26
	v_cmp_eq_u32_e64 s[28:29], 0, v26
	v_lshlrev_b32_e32 v9, 3, v9
	v_and_or_b32 v8, v8, 7, v9
	s_and_b64 s[28:29], s[28:29], s[30:31]
	v_cndmask_b32_e64 v8, v8, 0, s[28:29]
	v_or_b32_e32 v39, v8, v12
.LBB6_4959:                             ;   in Loop: Header=BB6_4675 Depth=3
	s_or_b64 exec, exec, s[72:73]
.LBB6_4960:                             ;   in Loop: Header=BB6_4675 Depth=3
	s_or_b64 exec, exec, s[70:71]
                                        ; implicit-def: $vgpr8
.LBB6_4961:                             ;   in Loop: Header=BB6_4675 Depth=3
	s_andn2_saveexec_b64 s[30:31], s[68:69]
; %bb.4962:                             ;   in Loop: Header=BB6_4675 Depth=3
	v_or_b32_sdwa v8, v8, s92 dst_sel:DWORD dst_unused:UNUSED_PAD src0_sel:BYTE_3 src1_sel:DWORD
	v_cmp_eq_u64_e64 s[28:29], 0, v[26:27]
	v_cndmask_b32_e64 v39, v8, v39, s[28:29]
; %bb.4963:                             ;   in Loop: Header=BB6_4675 Depth=3
	s_or_b64 exec, exec, s[30:31]
	v_mov_b32_e32 v26, v15
	v_cmp_ne_u16_sdwa s[28:29], v15, v27 src0_sel:BYTE_0 src1_sel:DWORD
	v_mov_b32_e32 v9, 0
	v_mov_b32_e32 v8, 0
	s_and_saveexec_b64 s[30:31], s[28:29]
	s_cbranch_execz .LBB6_4969
; %bb.4964:                             ;   in Loop: Header=BB6_4675 Depth=3
	v_cmp_ne_u16_sdwa s[28:29], v15, s91 src0_sel:BYTE_0 src1_sel:DWORD
	v_bfrev_b32_e32 v8, 1
	s_and_saveexec_b64 s[68:69], s[28:29]
	s_cbranch_execz .LBB6_4968
; %bb.4965:                             ;   in Loop: Header=BB6_4675 Depth=3
	v_and_b32_e32 v12, 0x7f, v15
	v_cmp_ne_u32_e64 s[28:29], s92, v12
	v_mov_b32_e32 v8, 0x7f800001
	s_and_saveexec_b64 s[70:71], s[28:29]
	s_cbranch_execz .LBB6_4967
; %bb.4966:                             ;   in Loop: Header=BB6_4675 Depth=3
	v_and_b32_e32 v8, 7, v15
	v_ffbh_u32_e32 v8, v8
	v_min_u32_e32 v8, 32, v8
	v_subrev_u32_e32 v32, 28, v8
	v_cmp_gt_u32_e64 s[28:29], 8, v12
	v_lshrrev_b32_e32 v29, 3, v12
	v_cndmask_b32_e64 v12, 0, v32, s[28:29]
	v_sub_u32_e32 v8, 29, v8
	v_lshlrev_b64 v[50:51], v12, v[26:27]
	v_cndmask_b32_e64 v8, v29, v8, s[28:29]
	v_lshlrev_b32_e32 v12, 20, v50
	v_lshlrev_b32_e32 v29, 24, v26
	v_and_b32_e32 v12, 0x700000, v12
	v_and_b32_e32 v29, 0x80000000, v29
	v_lshl_add_u32 v8, v8, 23, v31
	v_or3_b32 v8, v29, v8, v12
.LBB6_4967:                             ;   in Loop: Header=BB6_4675 Depth=3
	s_or_b64 exec, exec, s[70:71]
.LBB6_4968:                             ;   in Loop: Header=BB6_4675 Depth=3
	s_or_b64 exec, exec, s[68:69]
.LBB6_4969:                             ;   in Loop: Header=BB6_4675 Depth=3
	s_or_b64 exec, exec, s[30:31]
	v_cmp_ne_u16_sdwa s[28:29], v11, v27 src0_sel:BYTE_0 src1_sel:DWORD
	s_and_saveexec_b64 s[30:31], s[28:29]
	s_cbranch_execz .LBB6_4975
; %bb.4970:                             ;   in Loop: Header=BB6_4675 Depth=3
	v_cmp_ne_u16_sdwa s[28:29], v11, s91 src0_sel:BYTE_0 src1_sel:DWORD
	v_bfrev_b32_e32 v9, 1
	s_and_saveexec_b64 s[68:69], s[28:29]
	s_cbranch_execz .LBB6_4974
; %bb.4971:                             ;   in Loop: Header=BB6_4675 Depth=3
	v_and_b32_e32 v12, 0x7f, v11
	v_cmp_ne_u32_e64 s[28:29], s92, v12
	v_mov_b32_e32 v9, 0x7f800001
	s_and_saveexec_b64 s[70:71], s[28:29]
	s_cbranch_execz .LBB6_4973
; %bb.4972:                             ;   in Loop: Header=BB6_4675 Depth=3
	v_and_b32_e32 v9, 7, v11
	v_ffbh_u32_e32 v9, v9
	v_min_u32_e32 v9, 32, v9
	v_subrev_u32_e32 v32, 28, v9
	v_cmp_gt_u32_e64 s[28:29], 8, v12
	v_mov_b32_e32 v50, v11
	v_mov_b32_e32 v51, v27
	v_lshrrev_b32_e32 v29, 3, v12
	v_cndmask_b32_e64 v12, 0, v32, s[28:29]
	v_sub_u32_e32 v9, 29, v9
	v_lshlrev_b64 v[52:53], v12, v[50:51]
	v_cndmask_b32_e64 v9, v29, v9, s[28:29]
	v_lshlrev_b32_e32 v12, 20, v52
	v_lshlrev_b32_e32 v29, 24, v50
	v_and_b32_e32 v12, 0x700000, v12
	v_and_b32_e32 v29, 0x80000000, v29
	v_lshl_add_u32 v9, v9, 23, v31
	v_or3_b32 v9, v29, v9, v12
.LBB6_4973:                             ;   in Loop: Header=BB6_4675 Depth=3
	s_or_b64 exec, exec, s[70:71]
.LBB6_4974:                             ;   in Loop: Header=BB6_4675 Depth=3
	s_or_b64 exec, exec, s[68:69]
.LBB6_4975:                             ;   in Loop: Header=BB6_4675 Depth=3
	s_or_b64 exec, exec, s[30:31]
	v_add_f32_e32 v29, v8, v9
	v_and_b32_sdwa v12, v29, s91 dst_sel:DWORD dst_unused:UNUSED_PAD src0_sel:BYTE_3 src1_sel:DWORD
	v_and_b32_e32 v50, 0x7f800000, v29
	v_mov_b32_e32 v51, v27
	v_and_b32_e32 v8, 0x7fffff, v29
	v_mov_b32_e32 v9, v27
	v_or_b32_e32 v52, 0x7e, v12
	v_cmp_ne_u64_e64 s[28:29], s[52:53], v[50:51]
	s_and_saveexec_b64 s[30:31], s[28:29]
	s_xor_b64 s[68:69], exec, s[30:31]
	s_cbranch_execz .LBB6_4985
; %bb.4976:                             ;   in Loop: Header=BB6_4675 Depth=3
	v_and_b32_e32 v50, 0x7fffffff, v29
	v_mov_b32_e32 v51, v27
	v_cmp_gt_u64_e64 s[28:29], s[54:55], v[50:51]
	s_and_saveexec_b64 s[70:71], s[28:29]
	s_cbranch_execz .LBB6_4984
; %bb.4977:                             ;   in Loop: Header=BB6_4675 Depth=3
	v_cmp_ne_u32_e64 s[28:29], 0, v29
	v_mov_b32_e32 v52, 0
	s_and_saveexec_b64 s[72:73], s[28:29]
	s_cbranch_execz .LBB6_4983
; %bb.4978:                             ;   in Loop: Header=BB6_4675 Depth=3
	v_bfe_u32 v29, v29, 23, 8
	v_cmp_eq_u32_e64 s[28:29], 0, v29
	v_add_u32_e32 v32, 0xffffff81, v29
	v_cmp_gt_u32_e64 s[30:31], s93, v29
	v_sub_u32_e32 v29, 0x79, v29
	v_mov_b32_e32 v34, 0xffffff82
	v_cndmask_b32_e64 v29, 0, v29, s[30:31]
	v_cndmask_b32_e64 v32, v32, v34, s[28:29]
	v_mov_b32_e32 v34, 0x78
	v_or_b32_e32 v33, 0x800000, v8
	v_cndmask_b32_e64 v29, v29, v34, s[28:29]
	v_cndmask_b32_e64 v8, v33, v8, s[28:29]
	v_add_u32_e32 v33, 20, v29
	v_lshlrev_b64 v[50:51], v33, -1
	v_not_b32_e32 v33, v51
	v_not_b32_e32 v34, v50
	v_and_b32_e32 v51, 0, v33
	v_and_b32_e32 v50, v8, v34
	v_add_u32_e32 v33, 19, v29
	v_lshrrev_b64 v[8:9], v29, v[8:9]
	v_lshlrev_b64 v[52:53], v33, 1
	v_lshrrev_b32_e32 v33, 23, v8
	v_cmp_eq_u64_e64 s[28:29], v[50:51], v[52:53]
	v_add3_u32 v51, v29, v32, v33
	v_bfe_u32 v29, v8, 20, 1
	v_add_u32_e32 v29, -1, v29
	v_cndmask_b32_e64 v29, 0, v29, s[28:29]
	v_add_u32_e32 v29, v29, v8
	v_and_b32_e32 v29, 0xfffff, v29
	v_add_co_u32_e64 v8, s[28:29], v29, v8
	v_add_u32_e32 v50, 6, v51
	v_addc_co_u32_e64 v9, s[28:29], 0, v9, s[28:29]
	v_cmp_ne_u32_e64 s[28:29], 0, v50
                                        ; implicit-def: $vgpr29
	s_and_saveexec_b64 s[30:31], s[28:29]
	s_xor_b64 s[30:31], exec, s[30:31]
; %bb.4979:                             ;   in Loop: Header=BB6_4675 Depth=3
	v_cmp_lt_u64_e64 s[28:29], s[56:57], v[8:9]
	v_add_u32_e32 v29, 7, v51
	v_cndmask_b32_e64 v32, 0, 1, s[28:29]
	v_cndmask_b32_e64 v29, v50, v29, s[28:29]
	v_lshrrev_b64 v[8:9], v32, v[8:9]
; %bb.4980:                             ;   in Loop: Header=BB6_4675 Depth=3
	s_andn2_saveexec_b64 s[28:29], s[30:31]
; %bb.4981:                             ;   in Loop: Header=BB6_4675 Depth=3
	v_bfe_u32 v29, v8, 23, 1
; %bb.4982:                             ;   in Loop: Header=BB6_4675 Depth=3
	s_or_b64 exec, exec, s[28:29]
	v_lshrrev_b64 v[8:9], 20, v[8:9]
	v_cmp_gt_i32_e64 s[28:29], 16, v29
	v_cndmask_b32_e64 v9, 0, v9, s[28:29]
	v_cndmask_b32_e64 v8, 7, v8, s[28:29]
	v_cmp_eq_u64_e64 s[30:31], 0, v[8:9]
	v_min_i32_e32 v9, 15, v29
	v_cmp_eq_u32_e64 s[28:29], 0, v29
	v_lshlrev_b32_e32 v9, 3, v9
	v_and_or_b32 v8, v8, 7, v9
	s_and_b64 s[28:29], s[28:29], s[30:31]
	v_cndmask_b32_e64 v8, v8, 0, s[28:29]
	v_or_b32_e32 v52, v8, v12
.LBB6_4983:                             ;   in Loop: Header=BB6_4675 Depth=3
	s_or_b64 exec, exec, s[72:73]
.LBB6_4984:                             ;   in Loop: Header=BB6_4675 Depth=3
	s_or_b64 exec, exec, s[70:71]
                                        ; implicit-def: $vgpr29
                                        ; implicit-def: $vgpr8_vgpr9
.LBB6_4985:                             ;   in Loop: Header=BB6_4675 Depth=3
	s_andn2_saveexec_b64 s[30:31], s[68:69]
; %bb.4986:                             ;   in Loop: Header=BB6_4675 Depth=3
	v_or_b32_sdwa v12, v29, s92 dst_sel:DWORD dst_unused:UNUSED_PAD src0_sel:BYTE_3 src1_sel:DWORD
	v_cmp_eq_u64_e64 s[28:29], 0, v[8:9]
	v_cndmask_b32_e64 v52, v12, v52, s[28:29]
; %bb.4987:                             ;   in Loop: Header=BB6_4675 Depth=3
	s_or_b64 exec, exec, s[30:31]
	v_lshrrev_b16_e32 v8, 8, v26
	v_cmp_ne_u16_e64 s[28:29], 0, v8
	v_mov_b32_e32 v9, 0
	v_mov_b32_e32 v29, 0
	s_and_saveexec_b64 s[30:31], s[28:29]
	s_cbranch_execz .LBB6_4993
; %bb.4988:                             ;   in Loop: Header=BB6_4675 Depth=3
	v_cmp_ne_u16_e64 s[28:29], s91, v8
	v_bfrev_b32_e32 v29, 1
	s_and_saveexec_b64 s[68:69], s[28:29]
	s_cbranch_execz .LBB6_4992
; %bb.4989:                             ;   in Loop: Header=BB6_4675 Depth=3
	v_and_b32_e32 v12, 0x7f, v8
	v_cmp_ne_u32_e64 s[28:29], s92, v12
	v_mov_b32_e32 v29, 0x7f800001
	s_and_saveexec_b64 s[70:71], s[28:29]
	s_cbranch_execz .LBB6_4991
; %bb.4990:                             ;   in Loop: Header=BB6_4675 Depth=3
	v_and_b32_e32 v29, 7, v8
	v_ffbh_u32_e32 v33, v29
	v_min_u32_e32 v33, 32, v33
	v_subrev_u32_e32 v34, 28, v33
	v_lshlrev_b64 v[50:51], v34, v[8:9]
	v_lshrrev_b32_e32 v32, 3, v12
	v_sub_u32_e32 v8, 29, v33
	v_and_b32_e32 v33, 7, v50
	v_cmp_gt_u32_e64 s[28:29], 8, v12
	v_cndmask_b32_e64 v8, v32, v8, s[28:29]
	v_cndmask_b32_e64 v12, v29, v33, s[28:29]
	v_lshlrev_b32_e32 v26, 16, v26
	v_lshlrev_b32_e32 v12, 20, v12
	v_and_b32_e32 v26, 0x80000000, v26
	v_lshl_add_u32 v8, v8, 23, v31
	v_or3_b32 v29, v26, v8, v12
.LBB6_4991:                             ;   in Loop: Header=BB6_4675 Depth=3
	s_or_b64 exec, exec, s[70:71]
.LBB6_4992:                             ;   in Loop: Header=BB6_4675 Depth=3
	s_or_b64 exec, exec, s[68:69]
.LBB6_4993:                             ;   in Loop: Header=BB6_4675 Depth=3
	s_or_b64 exec, exec, s[30:31]
	v_mov_b32_e32 v8, v11
	v_lshrrev_b16_e32 v12, 8, v8
	v_cmp_ne_u16_e64 s[28:29], 0, v12
	s_and_saveexec_b64 s[30:31], s[28:29]
	s_cbranch_execz .LBB6_4999
; %bb.4994:                             ;   in Loop: Header=BB6_4675 Depth=3
	v_cmp_ne_u16_e64 s[28:29], s91, v12
	v_bfrev_b32_e32 v9, 1
	s_and_saveexec_b64 s[68:69], s[28:29]
	s_cbranch_execz .LBB6_4998
; %bb.4995:                             ;   in Loop: Header=BB6_4675 Depth=3
	v_and_b32_e32 v26, 0x7f, v12
	v_cmp_ne_u32_e64 s[28:29], s92, v26
	v_mov_b32_e32 v9, 0x7f800001
	s_and_saveexec_b64 s[70:71], s[28:29]
	s_cbranch_execz .LBB6_4997
; %bb.4996:                             ;   in Loop: Header=BB6_4675 Depth=3
	v_and_b32_e32 v9, 7, v12
	v_ffbh_u32_e32 v33, v9
	v_min_u32_e32 v33, 32, v33
	v_subrev_u32_e32 v34, 28, v33
	v_lshlrev_b64 v[50:51], v34, v[12:13]
	v_lshrrev_b32_e32 v32, 3, v26
	v_sub_u32_e32 v12, 29, v33
	v_and_b32_e32 v33, 7, v50
	v_cmp_gt_u32_e64 s[28:29], 8, v26
	v_cndmask_b32_e64 v12, v32, v12, s[28:29]
	v_cndmask_b32_e64 v9, v9, v33, s[28:29]
	v_lshlrev_b32_e32 v8, 16, v8
	v_lshlrev_b32_e32 v9, 20, v9
	v_and_b32_e32 v8, 0x80000000, v8
	v_lshl_add_u32 v12, v12, 23, v31
	v_or3_b32 v9, v8, v12, v9
.LBB6_4997:                             ;   in Loop: Header=BB6_4675 Depth=3
	s_or_b64 exec, exec, s[70:71]
.LBB6_4998:                             ;   in Loop: Header=BB6_4675 Depth=3
	s_or_b64 exec, exec, s[68:69]
.LBB6_4999:                             ;   in Loop: Header=BB6_4675 Depth=3
	s_or_b64 exec, exec, s[30:31]
	v_add_f32_e32 v8, v29, v9
	v_and_b32_sdwa v29, v8, s91 dst_sel:DWORD dst_unused:UNUSED_PAD src0_sel:BYTE_3 src1_sel:DWORD
	v_and_b32_e32 v50, 0x7f800000, v8
	v_mov_b32_e32 v51, v27
	v_and_b32_e32 v26, 0x7fffff, v8
	v_or_b32_e32 v12, 0x7e, v29
	v_cmp_ne_u64_e64 s[28:29], s[52:53], v[50:51]
	s_and_saveexec_b64 s[30:31], s[28:29]
	s_xor_b64 s[68:69], exec, s[30:31]
	s_cbranch_execz .LBB6_5009
; %bb.5000:                             ;   in Loop: Header=BB6_4675 Depth=3
	v_and_b32_e32 v50, 0x7fffffff, v8
	v_mov_b32_e32 v51, v27
	v_cmp_gt_u64_e64 s[28:29], s[54:55], v[50:51]
	s_and_saveexec_b64 s[70:71], s[28:29]
	s_cbranch_execz .LBB6_5008
; %bb.5001:                             ;   in Loop: Header=BB6_4675 Depth=3
	v_cmp_ne_u32_e64 s[28:29], 0, v8
	v_mov_b32_e32 v12, 0
	s_and_saveexec_b64 s[72:73], s[28:29]
	s_cbranch_execz .LBB6_5007
; %bb.5002:                             ;   in Loop: Header=BB6_4675 Depth=3
	v_bfe_u32 v8, v8, 23, 8
	v_cmp_eq_u32_e64 s[28:29], 0, v8
	v_add_u32_e32 v9, 0xffffff81, v8
	v_cmp_gt_u32_e64 s[30:31], s93, v8
	v_sub_u32_e32 v8, 0x79, v8
	v_mov_b32_e32 v32, 0xffffff82
	v_cndmask_b32_e64 v8, 0, v8, s[30:31]
	v_cndmask_b32_e64 v32, v9, v32, s[28:29]
	v_mov_b32_e32 v9, 0x78
	v_cndmask_b32_e64 v33, v8, v9, s[28:29]
	v_add_u32_e32 v8, 20, v33
	v_or_b32_e32 v12, 0x800000, v26
	v_lshlrev_b64 v[8:9], v8, -1
	v_cndmask_b32_e64 v26, v12, v26, s[28:29]
	v_not_b32_e32 v9, v9
	v_not_b32_e32 v8, v8
	v_add_u32_e32 v12, 19, v33
	v_and_b32_e32 v9, 0, v9
	v_and_b32_e32 v8, v26, v8
	v_lshlrev_b64 v[50:51], v12, 1
	v_cmp_eq_u64_e64 s[28:29], v[8:9], v[50:51]
	v_lshrrev_b64 v[8:9], v33, v[26:27]
	v_lshrrev_b32_e32 v12, 23, v8
	v_add3_u32 v50, v33, v32, v12
	v_bfe_u32 v12, v8, 20, 1
	v_add_u32_e32 v12, -1, v12
	v_cndmask_b32_e64 v12, 0, v12, s[28:29]
	v_add_u32_e32 v12, v12, v8
	v_and_b32_e32 v12, 0xfffff, v12
	v_add_co_u32_e64 v8, s[28:29], v12, v8
	v_add_u32_e32 v26, 6, v50
	v_addc_co_u32_e64 v9, s[28:29], 0, v9, s[28:29]
	v_cmp_ne_u32_e64 s[28:29], 0, v26
                                        ; implicit-def: $vgpr12
	s_and_saveexec_b64 s[30:31], s[28:29]
	s_xor_b64 s[30:31], exec, s[30:31]
; %bb.5003:                             ;   in Loop: Header=BB6_4675 Depth=3
	v_add_u32_e32 v12, 7, v50
	v_cmp_lt_u64_e64 s[28:29], s[56:57], v[8:9]
	v_cndmask_b32_e64 v12, v26, v12, s[28:29]
	v_cndmask_b32_e64 v26, 0, 1, s[28:29]
	v_lshrrev_b64 v[8:9], v26, v[8:9]
; %bb.5004:                             ;   in Loop: Header=BB6_4675 Depth=3
	s_andn2_saveexec_b64 s[28:29], s[30:31]
; %bb.5005:                             ;   in Loop: Header=BB6_4675 Depth=3
	v_bfe_u32 v12, v8, 23, 1
; %bb.5006:                             ;   in Loop: Header=BB6_4675 Depth=3
	s_or_b64 exec, exec, s[28:29]
	v_lshrrev_b64 v[8:9], 20, v[8:9]
	v_cmp_gt_i32_e64 s[28:29], 16, v12
	v_cndmask_b32_e64 v9, 0, v9, s[28:29]
	v_cndmask_b32_e64 v8, 7, v8, s[28:29]
	v_cmp_eq_u64_e64 s[30:31], 0, v[8:9]
	v_min_i32_e32 v9, 15, v12
	v_cmp_eq_u32_e64 s[28:29], 0, v12
	v_lshlrev_b32_e32 v9, 3, v9
	v_and_or_b32 v8, v8, 7, v9
	s_and_b64 s[28:29], s[28:29], s[30:31]
	v_cndmask_b32_e64 v8, v8, 0, s[28:29]
	v_or_b32_e32 v12, v8, v29
.LBB6_5007:                             ;   in Loop: Header=BB6_4675 Depth=3
	s_or_b64 exec, exec, s[72:73]
.LBB6_5008:                             ;   in Loop: Header=BB6_4675 Depth=3
	s_or_b64 exec, exec, s[70:71]
                                        ; implicit-def: $vgpr8
.LBB6_5009:                             ;   in Loop: Header=BB6_4675 Depth=3
	s_andn2_saveexec_b64 s[30:31], s[68:69]
; %bb.5010:                             ;   in Loop: Header=BB6_4675 Depth=3
	v_or_b32_sdwa v8, v8, s92 dst_sel:DWORD dst_unused:UNUSED_PAD src0_sel:BYTE_3 src1_sel:DWORD
	v_cmp_eq_u64_e64 s[28:29], 0, v[26:27]
	v_cndmask_b32_e64 v12, v8, v12, s[28:29]
; %bb.5011:                             ;   in Loop: Header=BB6_4675 Depth=3
	s_or_b64 exec, exec, s[30:31]
	v_lshrrev_b32_e32 v8, 16, v15
	v_cmp_ne_u16_sdwa s[28:29], v8, v27 src0_sel:BYTE_0 src1_sel:DWORD
	v_mov_b32_e32 v9, 0
	v_mov_b32_e32 v26, 0
	s_and_saveexec_b64 s[30:31], s[28:29]
	s_cbranch_execz .LBB6_5017
; %bb.5012:                             ;   in Loop: Header=BB6_4675 Depth=3
	v_cmp_ne_u16_sdwa s[28:29], v8, s91 src0_sel:BYTE_0 src1_sel:DWORD
	v_bfrev_b32_e32 v26, 1
	s_and_saveexec_b64 s[68:69], s[28:29]
	s_cbranch_execz .LBB6_5016
; %bb.5013:                             ;   in Loop: Header=BB6_4675 Depth=3
	v_bfe_u32 v29, v15, 16, 7
	v_cmp_ne_u32_e64 s[28:29], s92, v29
	v_mov_b32_e32 v26, 0x7f800001
	s_and_saveexec_b64 s[70:71], s[28:29]
	s_cbranch_execz .LBB6_5015
; %bb.5014:                             ;   in Loop: Header=BB6_4675 Depth=3
	v_and_b32_e32 v26, 7, v8
	v_ffbh_u32_e32 v33, v26
	v_min_u32_e32 v33, 32, v33
	v_subrev_u32_e32 v34, 28, v33
	v_lshlrev_b64 v[50:51], v34, v[8:9]
	v_lshrrev_b32_e32 v32, 3, v29
	v_sub_u32_e32 v33, 29, v33
	v_and_b32_e32 v34, 7, v50
	v_cmp_gt_u32_e64 s[28:29], 8, v29
	v_cndmask_b32_e64 v29, v32, v33, s[28:29]
	v_cndmask_b32_e64 v26, v26, v34, s[28:29]
	v_lshlrev_b32_e32 v8, 24, v8
	v_lshlrev_b32_e32 v26, 20, v26
	v_and_b32_e32 v8, 0x80000000, v8
	v_lshl_add_u32 v29, v29, 23, v31
	v_or3_b32 v26, v8, v29, v26
.LBB6_5015:                             ;   in Loop: Header=BB6_4675 Depth=3
	s_or_b64 exec, exec, s[70:71]
.LBB6_5016:                             ;   in Loop: Header=BB6_4675 Depth=3
	s_or_b64 exec, exec, s[68:69]
.LBB6_5017:                             ;   in Loop: Header=BB6_4675 Depth=3
	s_or_b64 exec, exec, s[30:31]
	v_lshrrev_b32_e32 v8, 16, v11
	v_cmp_ne_u16_sdwa s[28:29], v8, v27 src0_sel:BYTE_0 src1_sel:DWORD
	s_and_saveexec_b64 s[30:31], s[28:29]
	s_cbranch_execz .LBB6_5023
; %bb.5018:                             ;   in Loop: Header=BB6_4675 Depth=3
	v_cmp_ne_u16_sdwa s[28:29], v8, s91 src0_sel:BYTE_0 src1_sel:DWORD
	v_bfrev_b32_e32 v9, 1
	s_and_saveexec_b64 s[68:69], s[28:29]
	s_cbranch_execz .LBB6_5022
; %bb.5019:                             ;   in Loop: Header=BB6_4675 Depth=3
	v_bfe_u32 v29, v11, 16, 7
	v_cmp_ne_u32_e64 s[28:29], s92, v29
	v_mov_b32_e32 v9, 0x7f800001
	s_and_saveexec_b64 s[70:71], s[28:29]
	s_cbranch_execz .LBB6_5021
; %bb.5020:                             ;   in Loop: Header=BB6_4675 Depth=3
	v_and_b32_e32 v32, 7, v8
	v_ffbh_u32_e32 v9, v32
	v_min_u32_e32 v34, 32, v9
	v_subrev_u32_e32 v9, 28, v34
	v_lshlrev_b64 v[8:9], v9, v[8:9]
	v_lshrrev_b32_e32 v33, 3, v29
	v_sub_u32_e32 v9, 29, v34
	v_and_b32_e32 v8, 7, v8
	v_cmp_gt_u32_e64 s[28:29], 8, v29
	v_cndmask_b32_e64 v9, v33, v9, s[28:29]
	v_cndmask_b32_e64 v8, v32, v8, s[28:29]
	v_lshlrev_b32_e32 v29, 8, v11
	v_lshlrev_b32_e32 v8, 20, v8
	v_and_b32_e32 v29, 0x80000000, v29
	v_lshl_add_u32 v9, v9, 23, v31
	v_or3_b32 v9, v29, v9, v8
.LBB6_5021:                             ;   in Loop: Header=BB6_4675 Depth=3
	s_or_b64 exec, exec, s[70:71]
.LBB6_5022:                             ;   in Loop: Header=BB6_4675 Depth=3
	s_or_b64 exec, exec, s[68:69]
.LBB6_5023:                             ;   in Loop: Header=BB6_4675 Depth=3
	s_or_b64 exec, exec, s[30:31]
	v_add_f32_e32 v8, v26, v9
	v_and_b32_sdwa v53, v8, s91 dst_sel:DWORD dst_unused:UNUSED_PAD src0_sel:BYTE_3 src1_sel:DWORD
	v_and_b32_e32 v50, 0x7f800000, v8
	v_mov_b32_e32 v51, v27
	v_and_b32_e32 v26, 0x7fffff, v8
	v_or_b32_e32 v29, 0x7e, v53
	v_cmp_ne_u64_e64 s[28:29], s[52:53], v[50:51]
	s_and_saveexec_b64 s[30:31], s[28:29]
	s_xor_b64 s[68:69], exec, s[30:31]
	s_cbranch_execz .LBB6_5033
; %bb.5024:                             ;   in Loop: Header=BB6_4675 Depth=3
	v_and_b32_e32 v50, 0x7fffffff, v8
	v_mov_b32_e32 v51, v27
	v_cmp_gt_u64_e64 s[28:29], s[54:55], v[50:51]
	s_and_saveexec_b64 s[70:71], s[28:29]
	s_cbranch_execz .LBB6_5032
; %bb.5025:                             ;   in Loop: Header=BB6_4675 Depth=3
	v_cmp_ne_u32_e64 s[28:29], 0, v8
	v_mov_b32_e32 v29, 0
	s_and_saveexec_b64 s[72:73], s[28:29]
	s_cbranch_execz .LBB6_5031
; %bb.5026:                             ;   in Loop: Header=BB6_4675 Depth=3
	v_bfe_u32 v8, v8, 23, 8
	v_cmp_eq_u32_e64 s[28:29], 0, v8
	v_add_u32_e32 v9, 0xffffff81, v8
	v_cmp_gt_u32_e64 s[30:31], s93, v8
	v_sub_u32_e32 v8, 0x79, v8
	v_mov_b32_e32 v32, 0xffffff82
	v_cndmask_b32_e64 v8, 0, v8, s[30:31]
	v_cndmask_b32_e64 v32, v9, v32, s[28:29]
	v_mov_b32_e32 v9, 0x78
	v_cndmask_b32_e64 v33, v8, v9, s[28:29]
	v_add_u32_e32 v8, 20, v33
	v_or_b32_e32 v29, 0x800000, v26
	v_lshlrev_b64 v[8:9], v8, -1
	v_cndmask_b32_e64 v26, v29, v26, s[28:29]
	v_not_b32_e32 v9, v9
	v_not_b32_e32 v8, v8
	v_add_u32_e32 v29, 19, v33
	v_and_b32_e32 v9, 0, v9
	v_and_b32_e32 v8, v26, v8
	v_lshlrev_b64 v[50:51], v29, 1
	v_cmp_eq_u64_e64 s[28:29], v[8:9], v[50:51]
	v_lshrrev_b64 v[8:9], v33, v[26:27]
	v_lshrrev_b32_e32 v26, 23, v8
	v_add3_u32 v50, v33, v32, v26
	v_bfe_u32 v26, v8, 20, 1
	v_add_u32_e32 v26, -1, v26
	v_cndmask_b32_e64 v26, 0, v26, s[28:29]
	v_add_u32_e32 v26, v26, v8
	v_and_b32_e32 v26, 0xfffff, v26
	v_add_co_u32_e64 v8, s[28:29], v26, v8
	v_add_u32_e32 v29, 6, v50
	v_addc_co_u32_e64 v9, s[28:29], 0, v9, s[28:29]
	v_cmp_ne_u32_e64 s[28:29], 0, v29
                                        ; implicit-def: $vgpr26
	s_and_saveexec_b64 s[30:31], s[28:29]
	s_xor_b64 s[30:31], exec, s[30:31]
; %bb.5027:                             ;   in Loop: Header=BB6_4675 Depth=3
	v_add_u32_e32 v26, 7, v50
	v_cmp_lt_u64_e64 s[28:29], s[56:57], v[8:9]
	v_cndmask_b32_e64 v26, v29, v26, s[28:29]
	v_cndmask_b32_e64 v29, 0, 1, s[28:29]
	v_lshrrev_b64 v[8:9], v29, v[8:9]
; %bb.5028:                             ;   in Loop: Header=BB6_4675 Depth=3
	s_andn2_saveexec_b64 s[28:29], s[30:31]
; %bb.5029:                             ;   in Loop: Header=BB6_4675 Depth=3
	v_bfe_u32 v26, v8, 23, 1
; %bb.5030:                             ;   in Loop: Header=BB6_4675 Depth=3
	s_or_b64 exec, exec, s[28:29]
	v_lshrrev_b64 v[8:9], 20, v[8:9]
	v_cmp_gt_i32_e64 s[28:29], 16, v26
	v_cndmask_b32_e64 v9, 0, v9, s[28:29]
	v_cndmask_b32_e64 v8, 7, v8, s[28:29]
	v_cmp_eq_u64_e64 s[30:31], 0, v[8:9]
	v_min_i32_e32 v9, 15, v26
	v_lshlrev_b32_e32 v9, 3, v9
	v_cmp_eq_u32_e64 s[28:29], 0, v26
	v_and_b32_e32 v9, 0xf8, v9
	v_and_or_b32 v8, v8, 7, v9
	s_and_b64 s[28:29], s[28:29], s[30:31]
	v_cndmask_b32_e64 v8, v8, 0, s[28:29]
	v_or_b32_e32 v29, v8, v53
.LBB6_5031:                             ;   in Loop: Header=BB6_4675 Depth=3
	s_or_b64 exec, exec, s[72:73]
.LBB6_5032:                             ;   in Loop: Header=BB6_4675 Depth=3
	s_or_b64 exec, exec, s[70:71]
                                        ; implicit-def: $vgpr8
.LBB6_5033:                             ;   in Loop: Header=BB6_4675 Depth=3
	s_andn2_saveexec_b64 s[30:31], s[68:69]
; %bb.5034:                             ;   in Loop: Header=BB6_4675 Depth=3
	v_or_b32_sdwa v8, v8, s92 dst_sel:DWORD dst_unused:UNUSED_PAD src0_sel:BYTE_3 src1_sel:DWORD
	v_cmp_eq_u64_e64 s[28:29], 0, v[26:27]
	v_cndmask_b32_e64 v29, v8, v29, s[28:29]
; %bb.5035:                             ;   in Loop: Header=BB6_4675 Depth=3
	s_or_b64 exec, exec, s[30:31]
	v_cmp_lt_u64_e64 s[28:29], s[42:43], v[14:15]
	v_mov_b32_e32 v9, 0
	v_mov_b32_e32 v14, 0
	s_and_saveexec_b64 s[30:31], s[28:29]
	s_cbranch_execz .LBB6_5041
; %bb.5036:                             ;   in Loop: Header=BB6_4675 Depth=3
	v_lshrrev_b32_e32 v8, 24, v15
	v_cmp_ne_u32_e64 s[28:29], s91, v8
	v_bfrev_b32_e32 v14, 1
	s_and_saveexec_b64 s[68:69], s[28:29]
	s_cbranch_execz .LBB6_5040
; %bb.5037:                             ;   in Loop: Header=BB6_4675 Depth=3
	v_bfe_u32 v15, v15, 24, 7
	v_cmp_ne_u32_e64 s[28:29], s92, v15
	v_mov_b32_e32 v14, 0x7f800001
	s_and_saveexec_b64 s[70:71], s[28:29]
	s_cbranch_execz .LBB6_5039
; %bb.5038:                             ;   in Loop: Header=BB6_4675 Depth=3
	v_and_b32_e32 v14, 7, v8
	v_ffbh_u32_e32 v32, v14
	v_min_u32_e32 v32, 32, v32
	v_subrev_u32_e32 v33, 28, v32
	v_lshlrev_b64 v[50:51], v33, v[8:9]
	v_lshrrev_b32_e32 v26, 3, v15
	v_sub_u32_e32 v32, 29, v32
	v_and_b32_e32 v33, 7, v50
	v_cmp_gt_u32_e64 s[28:29], 8, v15
	v_cndmask_b32_e64 v15, v26, v32, s[28:29]
	v_cndmask_b32_e64 v14, v14, v33, s[28:29]
	v_lshlrev_b32_e32 v8, 24, v8
	v_lshlrev_b32_e32 v14, 20, v14
	v_and_b32_e32 v8, 0x80000000, v8
	v_lshl_add_u32 v15, v15, 23, v31
	v_or3_b32 v14, v8, v15, v14
.LBB6_5039:                             ;   in Loop: Header=BB6_4675 Depth=3
	s_or_b64 exec, exec, s[70:71]
.LBB6_5040:                             ;   in Loop: Header=BB6_4675 Depth=3
	s_or_b64 exec, exec, s[68:69]
.LBB6_5041:                             ;   in Loop: Header=BB6_4675 Depth=3
	s_or_b64 exec, exec, s[30:31]
	v_cmp_lt_u64_e64 s[28:29], s[42:43], v[10:11]
	s_and_saveexec_b64 s[30:31], s[28:29]
	s_cbranch_execz .LBB6_5047
; %bb.5042:                             ;   in Loop: Header=BB6_4675 Depth=3
	v_lshrrev_b32_e32 v8, 24, v11
	v_cmp_ne_u32_e64 s[28:29], s91, v8
	v_bfrev_b32_e32 v9, 1
	s_and_saveexec_b64 s[68:69], s[28:29]
	s_cbranch_execz .LBB6_5046
; %bb.5043:                             ;   in Loop: Header=BB6_4675 Depth=3
	v_bfe_u32 v10, v11, 24, 7
	v_cmp_ne_u32_e64 s[28:29], s92, v10
	v_mov_b32_e32 v9, 0x7f800001
	s_and_saveexec_b64 s[70:71], s[28:29]
	s_cbranch_execz .LBB6_5045
; %bb.5044:                             ;   in Loop: Header=BB6_4675 Depth=3
	v_and_b32_e32 v9, 7, v8
	v_ffbh_u32_e32 v15, v9
	v_min_u32_e32 v15, 32, v15
	v_subrev_u32_e32 v26, 28, v15
	v_lshlrev_b64 v[50:51], v26, v[8:9]
	v_lshrrev_b32_e32 v11, 3, v10
	v_sub_u32_e32 v15, 29, v15
	v_and_b32_e32 v26, 7, v50
	v_cmp_gt_u32_e64 s[28:29], 8, v10
	v_cndmask_b32_e64 v10, v11, v15, s[28:29]
	v_cndmask_b32_e64 v9, v9, v26, s[28:29]
	v_lshlrev_b32_e32 v8, 24, v8
	v_lshlrev_b32_e32 v9, 20, v9
	v_and_b32_e32 v8, 0x80000000, v8
	v_lshl_add_u32 v10, v10, 23, v31
	v_or3_b32 v9, v8, v10, v9
.LBB6_5045:                             ;   in Loop: Header=BB6_4675 Depth=3
	s_or_b64 exec, exec, s[70:71]
.LBB6_5046:                             ;   in Loop: Header=BB6_4675 Depth=3
	s_or_b64 exec, exec, s[68:69]
.LBB6_5047:                             ;   in Loop: Header=BB6_4675 Depth=3
	s_or_b64 exec, exec, s[30:31]
	v_add_f32_e32 v9, v14, v9
	v_and_b32_sdwa v10, v9, s91 dst_sel:DWORD dst_unused:UNUSED_PAD src0_sel:BYTE_3 src1_sel:DWORD
	v_and_b32_e32 v14, 0x7f800000, v9
	v_mov_b32_e32 v15, v27
	v_and_b32_e32 v26, 0x7fffff, v9
	v_or_b32_e32 v8, 0x7e, v10
	v_cmp_ne_u64_e64 s[28:29], s[52:53], v[14:15]
	s_and_saveexec_b64 s[30:31], s[28:29]
	s_xor_b64 s[68:69], exec, s[30:31]
	s_cbranch_execz .LBB6_5057
; %bb.5048:                             ;   in Loop: Header=BB6_4675 Depth=3
	v_and_b32_e32 v14, 0x7fffffff, v9
	v_mov_b32_e32 v15, v27
	v_cmp_gt_u64_e64 s[28:29], s[54:55], v[14:15]
	s_and_saveexec_b64 s[70:71], s[28:29]
	s_cbranch_execz .LBB6_5056
; %bb.5049:                             ;   in Loop: Header=BB6_4675 Depth=3
	v_cmp_ne_u32_e64 s[28:29], 0, v9
	v_mov_b32_e32 v8, 0
	s_and_saveexec_b64 s[72:73], s[28:29]
	s_cbranch_execz .LBB6_5055
; %bb.5050:                             ;   in Loop: Header=BB6_4675 Depth=3
	v_bfe_u32 v8, v9, 23, 8
	v_cmp_eq_u32_e64 s[28:29], 0, v8
	v_add_u32_e32 v9, 0xffffff81, v8
	v_cmp_gt_u32_e64 s[30:31], s93, v8
	v_sub_u32_e32 v8, 0x79, v8
	v_mov_b32_e32 v14, 0xffffff82
	v_cndmask_b32_e64 v8, 0, v8, s[30:31]
	v_cndmask_b32_e64 v32, v9, v14, s[28:29]
	v_mov_b32_e32 v9, 0x78
	v_cndmask_b32_e64 v33, v8, v9, s[28:29]
	v_add_u32_e32 v8, 20, v33
	v_or_b32_e32 v11, 0x800000, v26
	v_lshlrev_b64 v[8:9], v8, -1
	v_cndmask_b32_e64 v26, v11, v26, s[28:29]
	v_not_b32_e32 v9, v9
	v_not_b32_e32 v8, v8
	v_add_u32_e32 v11, 19, v33
	v_and_b32_e32 v9, 0, v9
	v_and_b32_e32 v8, v26, v8
	v_lshlrev_b64 v[14:15], v11, 1
	v_cmp_eq_u64_e64 s[28:29], v[8:9], v[14:15]
	v_lshrrev_b64 v[8:9], v33, v[26:27]
	v_lshrrev_b32_e32 v11, 23, v8
	v_add3_u32 v15, v33, v32, v11
	v_bfe_u32 v11, v8, 20, 1
	v_add_u32_e32 v11, -1, v11
	v_cndmask_b32_e64 v11, 0, v11, s[28:29]
	v_add_u32_e32 v11, v11, v8
	v_and_b32_e32 v11, 0xfffff, v11
	v_add_co_u32_e64 v8, s[28:29], v11, v8
	v_add_u32_e32 v14, 6, v15
	v_addc_co_u32_e64 v9, s[28:29], 0, v9, s[28:29]
	v_cmp_ne_u32_e64 s[28:29], 0, v14
                                        ; implicit-def: $vgpr11
	s_and_saveexec_b64 s[30:31], s[28:29]
	s_xor_b64 s[30:31], exec, s[30:31]
; %bb.5051:                             ;   in Loop: Header=BB6_4675 Depth=3
	v_add_u32_e32 v11, 7, v15
	v_cmp_lt_u64_e64 s[28:29], s[56:57], v[8:9]
	v_cndmask_b32_e64 v11, v14, v11, s[28:29]
	v_cndmask_b32_e64 v14, 0, 1, s[28:29]
	v_lshrrev_b64 v[8:9], v14, v[8:9]
; %bb.5052:                             ;   in Loop: Header=BB6_4675 Depth=3
	s_andn2_saveexec_b64 s[28:29], s[30:31]
; %bb.5053:                             ;   in Loop: Header=BB6_4675 Depth=3
	v_bfe_u32 v11, v8, 23, 1
; %bb.5054:                             ;   in Loop: Header=BB6_4675 Depth=3
	s_or_b64 exec, exec, s[28:29]
	v_lshrrev_b64 v[8:9], 20, v[8:9]
	v_cmp_gt_i32_e64 s[28:29], 16, v11
	v_cndmask_b32_e64 v9, 0, v9, s[28:29]
	v_cndmask_b32_e64 v8, 7, v8, s[28:29]
	v_cmp_eq_u64_e64 s[30:31], 0, v[8:9]
	v_min_i32_e32 v9, 15, v11
	v_lshlrev_b32_e32 v9, 3, v9
	v_cmp_eq_u32_e64 s[28:29], 0, v11
	v_and_b32_e32 v9, 0xf8, v9
	v_and_or_b32 v8, v8, 7, v9
	s_and_b64 s[28:29], s[28:29], s[30:31]
	v_cndmask_b32_e64 v8, v8, 0, s[28:29]
	v_or_b32_e32 v8, v8, v10
.LBB6_5055:                             ;   in Loop: Header=BB6_4675 Depth=3
	s_or_b64 exec, exec, s[72:73]
.LBB6_5056:                             ;   in Loop: Header=BB6_4675 Depth=3
	s_or_b64 exec, exec, s[70:71]
                                        ; implicit-def: $vgpr9
.LBB6_5057:                             ;   in Loop: Header=BB6_4675 Depth=3
	s_andn2_saveexec_b64 s[30:31], s[68:69]
	s_cbranch_execz .LBB6_4674
; %bb.5058:                             ;   in Loop: Header=BB6_4675 Depth=3
	v_or_b32_sdwa v9, v9, s92 dst_sel:DWORD dst_unused:UNUSED_PAD src0_sel:BYTE_3 src1_sel:DWORD
	v_cmp_eq_u64_e64 s[28:29], 0, v[26:27]
	v_cndmask_b32_e64 v8, v9, v8, s[28:29]
	s_branch .LBB6_4674
.LBB6_5059:                             ;   in Loop: Header=BB6_2119 Depth=2
	s_or_b64 exec, exec, s[66:67]
.LBB6_5060:                             ;   in Loop: Header=BB6_2119 Depth=2
	s_or_b64 exec, exec, s[64:65]
	v_accvgpr_read_b32 v0, a61
	v_and_b32_e32 v5, 15, v0
	v_cndmask_b32_e32 v42, v24, v5, vcc
	v_cmp_ne_u32_e64 s[28:29], 0, v42
	s_mov_b64 s[30:31], 0
	v_mov_b32_e32 v59, 0
                                        ; implicit-def: $vgpr0
                                        ; implicit-def: $vgpr4
	s_and_saveexec_b64 s[64:65], s[28:29]
	s_cbranch_execz .LBB6_5062
; %bb.5061:                             ;   in Loop: Header=BB6_2119 Depth=2
	v_sub_u32_e32 v4, v24, v5
	v_cndmask_b32_e32 v4, 0, v4, vcc
	v_cmp_lt_i32_e32 vcc, 0, v23
	v_accvgpr_read_b32 v0, a26
	v_add3_u32 v59, v3, v1, v4
	v_cndmask_b32_e32 v1, 0, v0, vcc
	v_sub_u32_e32 v1, v1, v23
	v_lshl_add_u32 v0, v1, 6, v2
	v_ashrrev_i32_e32 v1, 31, v0
	v_lshrrev_b32_e32 v1, 26, v1
	v_add_u32_e32 v1, v0, v1
	s_mov_b64 s[30:31], exec
	v_ashrrev_i32_e32 v4, 6, v1
.LBB6_5062:                             ;   in Loop: Header=BB6_2119 Depth=2
	s_or_b64 exec, exec, s[64:65]
	s_and_b64 s[28:29], s[30:31], exec
.LBB6_5063:                             ;   in Loop: Header=BB6_2119 Depth=2
	s_or_b64 exec, exec, s[34:35]
	v_accvgpr_read_b32 v33, a57
	v_accvgpr_read_b32 v34, a61
	s_and_saveexec_b64 s[30:31], s[28:29]
	s_cbranch_execz .LBB6_5549
.LBB6_5064:                             ;   in Loop: Header=BB6_2119 Depth=2
	v_ashrrev_i32_e32 v1, 31, v42
	v_lshrrev_b32_e32 v1, 22, v1
	v_add_u32_e32 v1, v42, v1
	v_ashrrev_i32_e32 v1, 10, v1
	v_sub_u32_e32 v3, v1, v4
	v_cmp_lt_i32_e32 vcc, 0, v3
	s_and_saveexec_b64 s[34:35], vcc
	s_cbranch_execz .LBB6_5516
; %bb.5065:                             ;   in Loop: Header=BB6_2119 Depth=2
	v_accvgpr_write_b32 a62, v1
	v_ashrrev_i32_e32 v1, 31, v0
	s_trap 2
	v_lshrrev_b32_e32 v1, 26, v1
	ds_read_b128 v[8:11], v0
	ds_read_b64 v[12:13], v0
	v_add_u32_e32 v1, v0, v1
	v_and_b32_e32 v1, 0xffffffc0, v1
	v_sub_u32_e32 v1, v0, v1
	v_lshlrev_b32_e32 v2, 10, v4
	v_add3_u32 v1, v59, v1, v2
	v_ashrrev_i32_e32 v2, 31, v1
	s_waitcnt lgkmcnt(0)
	v_add_co_u32_e32 v4, vcc, v8, v1
	v_addc_co_u32_e32 v5, vcc, v9, v2, vcc
	v_add_co_u32_e32 v8, vcc, v10, v1
	v_addc_co_u32_e32 v9, vcc, v11, v2, vcc
	;; [unrolled: 2-line block ×3, first 2 shown]
	v_add_co_u32_e32 v10, vcc, v6, v1
	v_accvgpr_write_b32 a57, v34
	v_mov_b32_e32 v34, v33
	v_accvgpr_write_b32 a61, v0
	v_addc_co_u32_e32 v11, vcc, v7, v2, vcc
	s_mov_b64 s[64:65], 0
	s_branch .LBB6_5067
.LBB6_5066:                             ;   in Loop: Header=BB6_5067 Depth=3
	s_or_b64 exec, exec, s[28:29]
	v_add_co_u32_e32 v6, vcc, 0xfffffc40, v10
	v_addc_co_u32_e32 v7, vcc, -1, v11, vcc
	flat_store_byte v[6:7], v16 glc slc
	v_add_co_u32_e32 v6, vcc, 0xfffffc80, v10
	v_addc_co_u32_e32 v7, vcc, -1, v11, vcc
	flat_store_byte v[6:7], v1 glc slc
	;; [unrolled: 3-line block ×14, first 2 shown]
	v_add_co_u32_e32 v6, vcc, s78, v10
	v_addc_co_u32_e32 v7, vcc, -1, v11, vcc
	v_accvgpr_read_b32 v55, a43
	v_add_co_u32_e32 v4, vcc, v4, v55
	v_accvgpr_read_b32 v41, a44
	v_addc_co_u32_e32 v5, vcc, v5, v41, vcc
	v_add_co_u32_e32 v8, vcc, v8, v55
	v_accvgpr_read_b32 v0, a26
	v_addc_co_u32_e32 v9, vcc, v9, v41, vcc
	v_sub_u32_e32 v3, v3, v0
	v_cmp_gt_i32_e32 vcc, 1, v3
	flat_store_byte v[6:7], v2 glc slc
	flat_store_byte v[10:11], v13 glc slc
	s_or_b64 s[64:65], vcc, s[64:65]
	v_add_co_u32_e32 v10, vcc, v10, v55
	v_addc_co_u32_e32 v11, vcc, v11, v41, vcc
	s_andn2_b64 exec, exec, s[64:65]
	s_cbranch_execz .LBB6_5515
.LBB6_5067:                             ;   Parent Loop BB6_47 Depth=1
                                        ;     Parent Loop BB6_2119 Depth=2
                                        ; =>    This Inner Loop Header: Depth=3
	flat_load_ubyte v50, v[4:5] glc slc
	flat_load_ubyte v58, v[4:5] offset:64 glc slc
	flat_load_ubyte v29, v[4:5] offset:128 glc slc
	;; [unrolled: 1-line block ×15, first 2 shown]
	flat_load_ubyte v13, v[8:9] glc slc
	flat_load_ubyte v1, v[8:9] offset:64 glc slc
	flat_load_ubyte v20, v[8:9] offset:128 glc slc
	;; [unrolled: 1-line block ×15, first 2 shown]
	v_mov_b32_e32 v16, 0
	v_mov_b32_e32 v26, 0
	s_waitcnt vmcnt(0) lgkmcnt(0)
	v_cmp_ne_u16_e32 vcc, 0, v50
	s_and_saveexec_b64 s[28:29], vcc
	s_cbranch_execz .LBB6_5073
; %bb.5068:                             ;   in Loop: Header=BB6_5067 Depth=3
	v_cmp_ne_u16_e32 vcc, s91, v50
	v_bfrev_b32_e32 v26, 1
	s_and_saveexec_b64 s[66:67], vcc
	s_cbranch_execz .LBB6_5072
; %bb.5069:                             ;   in Loop: Header=BB6_5067 Depth=3
	v_and_b32_e32 v12, 0xffff, v50
	v_and_b32_e32 v51, 0x7f, v12
	v_cmp_ne_u32_e32 vcc, s92, v51
	v_mov_b32_e32 v26, 0x7f800001
	s_and_saveexec_b64 s[68:69], vcc
	s_cbranch_execz .LBB6_5071
; %bb.5070:                             ;   in Loop: Header=BB6_5067 Depth=3
	v_and_b32_e32 v6, 7, v12
	v_ffbh_u32_e32 v14, v6
	v_min_u32_e32 v26, 32, v14
	v_subrev_u32_e32 v14, 28, v26
	v_lshlrev_b64 v[14:15], v14, v[12:13]
	v_lshrrev_b32_e32 v7, 3, v51
	v_sub_u32_e32 v12, 29, v26
	v_and_b32_e32 v14, 7, v14
	v_cmp_gt_u32_e32 vcc, 8, v51
	v_cndmask_b32_e32 v7, v7, v12, vcc
	v_cndmask_b32_e32 v6, v6, v14, vcc
	v_lshlrev_b32_e32 v12, 24, v50
	v_lshlrev_b32_e32 v6, 20, v6
	v_and_b32_e32 v12, 0x80000000, v12
	v_lshl_add_u32 v7, v7, 23, v31
	v_or3_b32 v26, v12, v7, v6
.LBB6_5071:                             ;   in Loop: Header=BB6_5067 Depth=3
	s_or_b64 exec, exec, s[68:69]
.LBB6_5072:                             ;   in Loop: Header=BB6_5067 Depth=3
	s_or_b64 exec, exec, s[66:67]
.LBB6_5073:                             ;   in Loop: Header=BB6_5067 Depth=3
	s_or_b64 exec, exec, s[28:29]
	v_and_b32_e32 v12, 0xff, v13
	v_cmp_ne_u16_e32 vcc, 0, v12
	s_and_saveexec_b64 s[28:29], vcc
	s_cbranch_execz .LBB6_5079
; %bb.5074:                             ;   in Loop: Header=BB6_5067 Depth=3
	v_cmp_ne_u16_e32 vcc, s91, v12
	v_bfrev_b32_e32 v16, 1
	s_and_saveexec_b64 s[66:67], vcc
	s_cbranch_execz .LBB6_5078
; %bb.5075:                             ;   in Loop: Header=BB6_5067 Depth=3
	v_and_b32_e32 v50, 0x7f, v13
	v_cmp_ne_u32_e32 vcc, s92, v50
	v_mov_b32_e32 v16, 0x7f800001
	s_and_saveexec_b64 s[68:69], vcc
	s_cbranch_execz .LBB6_5077
; %bb.5076:                             ;   in Loop: Header=BB6_5067 Depth=3
	v_and_b32_e32 v6, 7, v12
	v_ffbh_u32_e32 v14, v6
	v_min_u32_e32 v16, 32, v14
	v_subrev_u32_e32 v14, 28, v16
	v_lshlrev_b64 v[14:15], v14, v[12:13]
	v_lshrrev_b32_e32 v7, 3, v50
	v_sub_u32_e32 v12, 29, v16
	v_and_b32_e32 v14, 7, v14
	v_cmp_gt_u32_e32 vcc, 8, v50
	v_cndmask_b32_e32 v7, v7, v12, vcc
	v_cndmask_b32_e32 v6, v6, v14, vcc
	v_lshlrev_b32_e32 v12, 24, v13
	v_lshlrev_b32_e32 v6, 20, v6
	v_and_b32_e32 v12, 0x80000000, v12
	v_lshl_add_u32 v7, v7, 23, v31
	v_or3_b32 v16, v12, v7, v6
.LBB6_5077:                             ;   in Loop: Header=BB6_5067 Depth=3
	s_or_b64 exec, exec, s[68:69]
.LBB6_5078:                             ;   in Loop: Header=BB6_5067 Depth=3
	s_or_b64 exec, exec, s[66:67]
.LBB6_5079:                             ;   in Loop: Header=BB6_5067 Depth=3
	s_or_b64 exec, exec, s[28:29]
	v_add_f32_e32 v12, v26, v16
	v_and_b32_sdwa v45, v12, s91 dst_sel:DWORD dst_unused:UNUSED_PAD src0_sel:BYTE_3 src1_sel:DWORD
	v_and_b32_e32 v14, 0x7f800000, v12
	v_mov_b32_e32 v15, v27
	v_and_b32_e32 v26, 0x7fffff, v12
	v_or_b32_e32 v16, 0x7e, v45
	v_cmp_ne_u64_e32 vcc, s[52:53], v[14:15]
	s_and_saveexec_b64 s[28:29], vcc
	s_xor_b64 s[66:67], exec, s[28:29]
	s_cbranch_execz .LBB6_5093
; %bb.5080:                             ;   in Loop: Header=BB6_5067 Depth=3
	v_and_b32_e32 v14, 0x7fffffff, v12
	v_mov_b32_e32 v15, v27
	v_cmp_gt_u64_e32 vcc, s[54:55], v[14:15]
	s_and_saveexec_b64 s[28:29], vcc
	s_xor_b64 s[68:69], exec, s[28:29]
	s_cbranch_execz .LBB6_5092
; %bb.5081:                             ;   in Loop: Header=BB6_5067 Depth=3
	v_cmp_ne_u32_e32 vcc, 0, v12
	v_mov_b32_e32 v16, 0
	s_and_saveexec_b64 s[70:71], vcc
	s_cbranch_execz .LBB6_5091
; %bb.5082:                             ;   in Loop: Header=BB6_5067 Depth=3
	v_bfe_u32 v6, v12, 23, 8
	v_sub_u32_e32 v12, 0x79, v6
	v_cmp_gt_u32_e32 vcc, s93, v6
	v_add_u32_e32 v7, 0xffffff81, v6
	v_cndmask_b32_e32 v12, 0, v12, vcc
	v_cmp_eq_u32_e32 vcc, 0, v6
	v_mov_b32_e32 v0, 0xffffff82
	v_cndmask_b32_e32 v16, v7, v0, vcc
	v_mov_b32_e32 v0, 0x78
	v_cndmask_b32_e32 v32, v12, v0, vcc
	v_or_b32_e32 v13, 0x800000, v26
	v_add_u32_e32 v6, 20, v32
	v_cndmask_b32_e32 v26, v13, v26, vcc
	v_lshlrev_b64 v[12:13], v6, -1
	v_not_b32_e32 v6, v13
	v_not_b32_e32 v7, v12
	v_and_b32_e32 v13, 0, v6
	v_add_u32_e32 v6, 19, v32
	v_and_b32_e32 v12, v26, v7
	v_lshlrev_b64 v[14:15], v6, 1
	v_lshrrev_b64 v[6:7], v32, v[26:27]
	v_lshrrev_b32_e32 v26, 23, v6
	v_add3_u32 v50, v32, v16, v26
	v_bfe_u32 v26, v6, 20, 1
	v_add_u32_e32 v26, -1, v26
	v_cmp_eq_u64_e32 vcc, v[12:13], v[14:15]
	v_cndmask_b32_e32 v12, 0, v26, vcc
	v_add_u32_e32 v12, v12, v6
	v_and_b32_e32 v12, 0xfffff, v12
	v_add_co_u32_e32 v12, vcc, v12, v6
	v_add_u32_e32 v16, 6, v50
	v_addc_co_u32_e32 v13, vcc, 0, v7, vcc
	v_cmp_ne_u32_e32 vcc, 0, v16
                                        ; implicit-def: $vgpr26
	s_and_saveexec_b64 s[28:29], vcc
	s_xor_b64 s[28:29], exec, s[28:29]
; %bb.5083:                             ;   in Loop: Header=BB6_5067 Depth=3
	v_add_u32_e32 v6, 7, v50
	v_cmp_lt_u64_e32 vcc, s[56:57], v[12:13]
	v_cndmask_b32_e32 v26, v16, v6, vcc
	v_cndmask_b32_e64 v6, 0, 1, vcc
	v_lshrrev_b64 v[12:13], v6, v[12:13]
; %bb.5084:                             ;   in Loop: Header=BB6_5067 Depth=3
	s_andn2_saveexec_b64 s[28:29], s[28:29]
; %bb.5085:                             ;   in Loop: Header=BB6_5067 Depth=3
	v_bfe_u32 v26, v12, 23, 1
; %bb.5086:                             ;   in Loop: Header=BB6_5067 Depth=3
	s_or_b64 exec, exec, s[28:29]
	v_lshrrev_b64 v[6:7], 20, v[12:13]
	v_cmp_gt_i32_e32 vcc, 16, v26
	v_cndmask_b32_e32 v13, 0, v7, vcc
	v_cndmask_b32_e32 v12, 7, v6, vcc
	v_cmp_ne_u32_e32 vcc, 0, v26
	v_cmp_ne_u64_e64 s[28:29], 0, v[12:13]
	s_or_b64 s[28:29], vcc, s[28:29]
                                        ; implicit-def: $vgpr16
	s_and_saveexec_b64 vcc, s[28:29]
	s_xor_b64 s[28:29], exec, vcc
; %bb.5087:                             ;   in Loop: Header=BB6_5067 Depth=3
	v_min_i32_e32 v6, 15, v26
	v_lshl_or_b32 v6, v6, 3, v45
	v_and_or_b32 v16, v12, 7, v6
                                        ; implicit-def: $vgpr45
; %bb.5088:                             ;   in Loop: Header=BB6_5067 Depth=3
	s_andn2_saveexec_b64 s[28:29], s[28:29]
; %bb.5089:                             ;   in Loop: Header=BB6_5067 Depth=3
	v_mov_b32_e32 v16, v45
; %bb.5090:                             ;   in Loop: Header=BB6_5067 Depth=3
	s_or_b64 exec, exec, s[28:29]
.LBB6_5091:                             ;   in Loop: Header=BB6_5067 Depth=3
	s_or_b64 exec, exec, s[70:71]
.LBB6_5092:                             ;   in Loop: Header=BB6_5067 Depth=3
	s_andn2_saveexec_b64 s[28:29], s[68:69]
	s_or_b64 exec, exec, s[28:29]
                                        ; implicit-def: $vgpr12
.LBB6_5093:                             ;   in Loop: Header=BB6_5067 Depth=3
	s_andn2_saveexec_b64 s[28:29], s[66:67]
; %bb.5094:                             ;   in Loop: Header=BB6_5067 Depth=3
	v_or_b32_sdwa v6, v12, s92 dst_sel:DWORD dst_unused:UNUSED_PAD src0_sel:BYTE_3 src1_sel:DWORD
	v_cmp_eq_u64_e32 vcc, 0, v[26:27]
	v_cndmask_b32_e32 v16, v6, v16, vcc
; %bb.5095:                             ;   in Loop: Header=BB6_5067 Depth=3
	s_or_b64 exec, exec, s[28:29]
	v_and_b32_e32 v12, 0xff, v58
	v_cmp_ne_u16_e32 vcc, 0, v12
	v_mov_b32_e32 v13, 0
	v_mov_b32_e32 v26, 0
	s_and_saveexec_b64 s[28:29], vcc
	s_cbranch_execz .LBB6_5101
; %bb.5096:                             ;   in Loop: Header=BB6_5067 Depth=3
	v_cmp_ne_u16_e32 vcc, s91, v12
	v_bfrev_b32_e32 v26, 1
	s_and_saveexec_b64 s[66:67], vcc
	s_cbranch_execz .LBB6_5100
; %bb.5097:                             ;   in Loop: Header=BB6_5067 Depth=3
	v_and_b32_e32 v50, 0x7f, v58
	v_cmp_ne_u32_e32 vcc, s92, v50
	v_mov_b32_e32 v26, 0x7f800001
	s_and_saveexec_b64 s[68:69], vcc
	s_cbranch_execz .LBB6_5099
; %bb.5098:                             ;   in Loop: Header=BB6_5067 Depth=3
	v_and_b32_e32 v14, 7, v12
	v_ffbh_u32_e32 v6, v14
	v_min_u32_e32 v26, 32, v6
	v_subrev_u32_e32 v6, 28, v26
	v_lshlrev_b64 v[6:7], v6, v[12:13]
	v_lshrrev_b32_e32 v15, 3, v50
	v_sub_u32_e32 v7, 29, v26
	v_and_b32_e32 v6, 7, v6
	v_cmp_gt_u32_e32 vcc, 8, v50
	v_cndmask_b32_e32 v7, v15, v7, vcc
	v_cndmask_b32_e32 v6, v14, v6, vcc
	v_lshlrev_b32_e32 v12, 24, v58
	v_lshlrev_b32_e32 v6, 20, v6
	v_and_b32_e32 v12, 0x80000000, v12
	v_lshl_add_u32 v7, v7, 23, v31
	v_or3_b32 v26, v12, v7, v6
.LBB6_5099:                             ;   in Loop: Header=BB6_5067 Depth=3
	s_or_b64 exec, exec, s[68:69]
.LBB6_5100:                             ;   in Loop: Header=BB6_5067 Depth=3
	s_or_b64 exec, exec, s[66:67]
.LBB6_5101:                             ;   in Loop: Header=BB6_5067 Depth=3
	s_or_b64 exec, exec, s[28:29]
	v_and_b32_e32 v12, 0xff, v1
	v_cmp_ne_u16_e32 vcc, 0, v12
	s_and_saveexec_b64 s[28:29], vcc
	s_cbranch_execz .LBB6_5107
; %bb.5102:                             ;   in Loop: Header=BB6_5067 Depth=3
	v_cmp_ne_u16_e32 vcc, s91, v12
	v_bfrev_b32_e32 v13, 1
	s_and_saveexec_b64 s[66:67], vcc
	s_cbranch_execz .LBB6_5106
; %bb.5103:                             ;   in Loop: Header=BB6_5067 Depth=3
	v_and_b32_e32 v50, 0x7f, v1
	v_cmp_ne_u32_e32 vcc, s92, v50
	v_mov_b32_e32 v13, 0x7f800001
	s_and_saveexec_b64 s[68:69], vcc
	s_cbranch_execz .LBB6_5105
; %bb.5104:                             ;   in Loop: Header=BB6_5067 Depth=3
	v_and_b32_e32 v13, 7, v12
	v_ffbh_u32_e32 v6, v13
	v_min_u32_e32 v15, 32, v6
	v_subrev_u32_e32 v6, 28, v15
	v_lshlrev_b64 v[6:7], v6, v[12:13]
	v_lshrrev_b32_e32 v14, 3, v50
	v_sub_u32_e32 v7, 29, v15
	v_and_b32_e32 v6, 7, v6
	v_cmp_gt_u32_e32 vcc, 8, v50
	v_cndmask_b32_e32 v7, v14, v7, vcc
	v_cndmask_b32_e32 v6, v13, v6, vcc
	v_lshlrev_b32_e32 v1, 24, v1
	v_lshlrev_b32_e32 v6, 20, v6
	v_and_b32_e32 v1, 0x80000000, v1
	v_lshl_add_u32 v7, v7, 23, v31
	v_or3_b32 v13, v1, v7, v6
.LBB6_5105:                             ;   in Loop: Header=BB6_5067 Depth=3
	s_or_b64 exec, exec, s[68:69]
.LBB6_5106:                             ;   in Loop: Header=BB6_5067 Depth=3
	s_or_b64 exec, exec, s[66:67]
.LBB6_5107:                             ;   in Loop: Header=BB6_5067 Depth=3
	s_or_b64 exec, exec, s[28:29]
	v_add_f32_e32 v12, v26, v13
	v_and_b32_sdwa v45, v12, s91 dst_sel:DWORD dst_unused:UNUSED_PAD src0_sel:BYTE_3 src1_sel:DWORD
	v_and_b32_e32 v6, 0x7f800000, v12
	v_mov_b32_e32 v7, v27
	v_and_b32_e32 v26, 0x7fffff, v12
	v_or_b32_e32 v1, 0x7e, v45
	v_cmp_ne_u64_e32 vcc, s[52:53], v[6:7]
	s_and_saveexec_b64 s[28:29], vcc
	s_xor_b64 s[66:67], exec, s[28:29]
	s_cbranch_execz .LBB6_5121
; %bb.5108:                             ;   in Loop: Header=BB6_5067 Depth=3
	v_and_b32_e32 v6, 0x7fffffff, v12
	v_mov_b32_e32 v7, v27
	v_cmp_gt_u64_e32 vcc, s[54:55], v[6:7]
	s_and_saveexec_b64 s[28:29], vcc
	s_xor_b64 s[68:69], exec, s[28:29]
	s_cbranch_execz .LBB6_5120
; %bb.5109:                             ;   in Loop: Header=BB6_5067 Depth=3
	v_cmp_ne_u32_e32 vcc, 0, v12
	v_mov_b32_e32 v1, 0
	s_and_saveexec_b64 s[70:71], vcc
	s_cbranch_execz .LBB6_5119
; %bb.5110:                             ;   in Loop: Header=BB6_5067 Depth=3
	v_bfe_u32 v1, v12, 23, 8
	v_sub_u32_e32 v7, 0x79, v1
	v_cmp_gt_u32_e32 vcc, s93, v1
	v_add_u32_e32 v6, 0xffffff81, v1
	v_cndmask_b32_e32 v7, 0, v7, vcc
	v_cmp_eq_u32_e32 vcc, 0, v1
	v_mov_b32_e32 v0, 0xffffff82
	v_cndmask_b32_e32 v1, v6, v0, vcc
	v_mov_b32_e32 v0, 0x78
	v_cndmask_b32_e32 v32, v7, v0, vcc
	v_or_b32_e32 v12, 0x800000, v26
	v_add_u32_e32 v6, 20, v32
	v_cndmask_b32_e32 v26, v12, v26, vcc
	v_lshlrev_b64 v[6:7], v6, -1
	v_not_b32_e32 v6, v6
	v_lshrrev_b64 v[14:15], v32, v[26:27]
	v_not_b32_e32 v7, v7
	v_and_b32_e32 v6, v26, v6
	v_add_u32_e32 v12, 19, v32
	v_lshrrev_b32_e32 v26, 23, v14
	v_and_b32_e32 v7, 0, v7
	v_lshlrev_b64 v[12:13], v12, 1
	v_add3_u32 v50, v32, v1, v26
	v_bfe_u32 v26, v14, 20, 1
	v_add_u32_e32 v26, -1, v26
	v_cmp_eq_u64_e32 vcc, v[6:7], v[12:13]
	v_cndmask_b32_e32 v6, 0, v26, vcc
	v_add_u32_e32 v6, v6, v14
	v_and_b32_e32 v6, 0xfffff, v6
	v_add_co_u32_e32 v12, vcc, v6, v14
	v_add_u32_e32 v1, 6, v50
	v_addc_co_u32_e32 v13, vcc, 0, v15, vcc
	v_cmp_ne_u32_e32 vcc, 0, v1
                                        ; implicit-def: $vgpr26
	s_and_saveexec_b64 s[28:29], vcc
	s_xor_b64 s[28:29], exec, s[28:29]
; %bb.5111:                             ;   in Loop: Header=BB6_5067 Depth=3
	v_add_u32_e32 v6, 7, v50
	v_cmp_lt_u64_e32 vcc, s[56:57], v[12:13]
	v_cndmask_b32_e32 v26, v1, v6, vcc
	v_cndmask_b32_e64 v1, 0, 1, vcc
	v_lshrrev_b64 v[12:13], v1, v[12:13]
; %bb.5112:                             ;   in Loop: Header=BB6_5067 Depth=3
	s_andn2_saveexec_b64 s[28:29], s[28:29]
; %bb.5113:                             ;   in Loop: Header=BB6_5067 Depth=3
	v_bfe_u32 v26, v12, 23, 1
; %bb.5114:                             ;   in Loop: Header=BB6_5067 Depth=3
	s_or_b64 exec, exec, s[28:29]
	v_lshrrev_b64 v[6:7], 20, v[12:13]
	v_cmp_gt_i32_e32 vcc, 16, v26
	v_cndmask_b32_e32 v13, 0, v7, vcc
	v_cndmask_b32_e32 v12, 7, v6, vcc
	v_cmp_ne_u32_e32 vcc, 0, v26
	v_cmp_ne_u64_e64 s[28:29], 0, v[12:13]
	s_or_b64 s[28:29], vcc, s[28:29]
                                        ; implicit-def: $vgpr1
	s_and_saveexec_b64 vcc, s[28:29]
	s_xor_b64 s[28:29], exec, vcc
; %bb.5115:                             ;   in Loop: Header=BB6_5067 Depth=3
	v_min_i32_e32 v1, 15, v26
	v_lshl_or_b32 v1, v1, 3, v45
	v_and_or_b32 v1, v12, 7, v1
                                        ; implicit-def: $vgpr45
; %bb.5116:                             ;   in Loop: Header=BB6_5067 Depth=3
	s_andn2_saveexec_b64 s[28:29], s[28:29]
; %bb.5117:                             ;   in Loop: Header=BB6_5067 Depth=3
	v_mov_b32_e32 v1, v45
; %bb.5118:                             ;   in Loop: Header=BB6_5067 Depth=3
	s_or_b64 exec, exec, s[28:29]
.LBB6_5119:                             ;   in Loop: Header=BB6_5067 Depth=3
	s_or_b64 exec, exec, s[70:71]
.LBB6_5120:                             ;   in Loop: Header=BB6_5067 Depth=3
	s_andn2_saveexec_b64 s[28:29], s[68:69]
	s_or_b64 exec, exec, s[28:29]
                                        ; implicit-def: $vgpr12
.LBB6_5121:                             ;   in Loop: Header=BB6_5067 Depth=3
	s_andn2_saveexec_b64 s[28:29], s[66:67]
; %bb.5122:                             ;   in Loop: Header=BB6_5067 Depth=3
	v_or_b32_sdwa v6, v12, s92 dst_sel:DWORD dst_unused:UNUSED_PAD src0_sel:BYTE_3 src1_sel:DWORD
	v_cmp_eq_u64_e32 vcc, 0, v[26:27]
	v_cndmask_b32_e32 v1, v6, v1, vcc
; %bb.5123:                             ;   in Loop: Header=BB6_5067 Depth=3
	s_or_b64 exec, exec, s[28:29]
	v_and_b32_e32 v12, 0xff, v29
	v_cmp_ne_u16_e32 vcc, 0, v12
	v_mov_b32_e32 v13, 0
	v_mov_b32_e32 v26, 0
	s_and_saveexec_b64 s[28:29], vcc
	s_cbranch_execz .LBB6_5129
; %bb.5124:                             ;   in Loop: Header=BB6_5067 Depth=3
	v_cmp_ne_u16_e32 vcc, s91, v12
	v_bfrev_b32_e32 v26, 1
	s_and_saveexec_b64 s[66:67], vcc
	s_cbranch_execz .LBB6_5128
; %bb.5125:                             ;   in Loop: Header=BB6_5067 Depth=3
	v_and_b32_e32 v50, 0x7f, v29
	v_cmp_ne_u32_e32 vcc, s92, v50
	v_mov_b32_e32 v26, 0x7f800001
	s_and_saveexec_b64 s[68:69], vcc
	s_cbranch_execz .LBB6_5127
; %bb.5126:                             ;   in Loop: Header=BB6_5067 Depth=3
	v_and_b32_e32 v14, 7, v12
	v_ffbh_u32_e32 v6, v14
	v_min_u32_e32 v26, 32, v6
	v_subrev_u32_e32 v6, 28, v26
	v_lshlrev_b64 v[6:7], v6, v[12:13]
	v_lshrrev_b32_e32 v15, 3, v50
	v_sub_u32_e32 v7, 29, v26
	v_and_b32_e32 v6, 7, v6
	v_cmp_gt_u32_e32 vcc, 8, v50
	v_cndmask_b32_e32 v7, v15, v7, vcc
	v_cndmask_b32_e32 v6, v14, v6, vcc
	v_lshlrev_b32_e32 v12, 24, v29
	v_lshlrev_b32_e32 v6, 20, v6
	v_and_b32_e32 v12, 0x80000000, v12
	v_lshl_add_u32 v7, v7, 23, v31
	v_or3_b32 v26, v12, v7, v6
.LBB6_5127:                             ;   in Loop: Header=BB6_5067 Depth=3
	s_or_b64 exec, exec, s[68:69]
.LBB6_5128:                             ;   in Loop: Header=BB6_5067 Depth=3
	s_or_b64 exec, exec, s[66:67]
.LBB6_5129:                             ;   in Loop: Header=BB6_5067 Depth=3
	s_or_b64 exec, exec, s[28:29]
	v_and_b32_e32 v12, 0xff, v20
	v_cmp_ne_u16_e32 vcc, 0, v12
	s_and_saveexec_b64 s[28:29], vcc
	s_cbranch_execz .LBB6_5135
; %bb.5130:                             ;   in Loop: Header=BB6_5067 Depth=3
	v_cmp_ne_u16_e32 vcc, s91, v12
	v_bfrev_b32_e32 v13, 1
	s_and_saveexec_b64 s[66:67], vcc
	s_cbranch_execz .LBB6_5134
; %bb.5131:                             ;   in Loop: Header=BB6_5067 Depth=3
	v_and_b32_e32 v29, 0x7f, v20
	v_cmp_ne_u32_e32 vcc, s92, v29
	v_mov_b32_e32 v13, 0x7f800001
	s_and_saveexec_b64 s[68:69], vcc
	s_cbranch_execz .LBB6_5133
; %bb.5132:                             ;   in Loop: Header=BB6_5067 Depth=3
	v_and_b32_e32 v13, 7, v12
	v_ffbh_u32_e32 v6, v13
	v_min_u32_e32 v15, 32, v6
	v_subrev_u32_e32 v6, 28, v15
	v_lshlrev_b64 v[6:7], v6, v[12:13]
	v_lshrrev_b32_e32 v14, 3, v29
	v_sub_u32_e32 v7, 29, v15
	v_and_b32_e32 v6, 7, v6
	v_cmp_gt_u32_e32 vcc, 8, v29
	v_cndmask_b32_e32 v7, v14, v7, vcc
	v_cndmask_b32_e32 v6, v13, v6, vcc
	v_lshlrev_b32_e32 v12, 24, v20
	v_lshlrev_b32_e32 v6, 20, v6
	v_and_b32_e32 v12, 0x80000000, v12
	v_lshl_add_u32 v7, v7, 23, v31
	v_or3_b32 v13, v12, v7, v6
.LBB6_5133:                             ;   in Loop: Header=BB6_5067 Depth=3
	s_or_b64 exec, exec, s[68:69]
.LBB6_5134:                             ;   in Loop: Header=BB6_5067 Depth=3
	s_or_b64 exec, exec, s[66:67]
.LBB6_5135:                             ;   in Loop: Header=BB6_5067 Depth=3
	s_or_b64 exec, exec, s[28:29]
	v_add_f32_e32 v12, v26, v13
	v_and_b32_sdwa v29, v12, s91 dst_sel:DWORD dst_unused:UNUSED_PAD src0_sel:BYTE_3 src1_sel:DWORD
	v_and_b32_e32 v6, 0x7f800000, v12
	v_mov_b32_e32 v7, v27
	v_and_b32_e32 v26, 0x7fffff, v12
	v_or_b32_e32 v20, 0x7e, v29
	v_cmp_ne_u64_e32 vcc, s[52:53], v[6:7]
	s_and_saveexec_b64 s[28:29], vcc
	s_xor_b64 s[66:67], exec, s[28:29]
	s_cbranch_execz .LBB6_5149
; %bb.5136:                             ;   in Loop: Header=BB6_5067 Depth=3
	v_and_b32_e32 v6, 0x7fffffff, v12
	v_mov_b32_e32 v7, v27
	v_cmp_gt_u64_e32 vcc, s[54:55], v[6:7]
	s_and_saveexec_b64 s[28:29], vcc
	s_xor_b64 s[68:69], exec, s[28:29]
	s_cbranch_execz .LBB6_5148
; %bb.5137:                             ;   in Loop: Header=BB6_5067 Depth=3
	v_cmp_ne_u32_e32 vcc, 0, v12
	v_mov_b32_e32 v20, 0
	s_and_saveexec_b64 s[70:71], vcc
	s_cbranch_execz .LBB6_5147
; %bb.5138:                             ;   in Loop: Header=BB6_5067 Depth=3
	v_bfe_u32 v6, v12, 23, 8
	v_sub_u32_e32 v12, 0x79, v6
	v_cmp_gt_u32_e32 vcc, s93, v6
	v_add_u32_e32 v7, 0xffffff81, v6
	v_cndmask_b32_e32 v12, 0, v12, vcc
	v_cmp_eq_u32_e32 vcc, 0, v6
	v_mov_b32_e32 v0, 0xffffff82
	v_cndmask_b32_e32 v20, v7, v0, vcc
	v_mov_b32_e32 v0, 0x78
	v_cndmask_b32_e32 v32, v12, v0, vcc
	v_or_b32_e32 v13, 0x800000, v26
	v_add_u32_e32 v6, 20, v32
	v_cndmask_b32_e32 v26, v13, v26, vcc
	v_lshlrev_b64 v[6:7], v6, -1
	v_not_b32_e32 v6, v6
	v_lshrrev_b64 v[14:15], v32, v[26:27]
	v_not_b32_e32 v7, v7
	v_and_b32_e32 v6, v26, v6
	v_add_u32_e32 v12, 19, v32
	v_lshrrev_b32_e32 v26, 23, v14
	v_and_b32_e32 v7, 0, v7
	v_lshlrev_b64 v[12:13], v12, 1
	v_add3_u32 v50, v32, v20, v26
	v_bfe_u32 v26, v14, 20, 1
	v_add_u32_e32 v26, -1, v26
	v_cmp_eq_u64_e32 vcc, v[6:7], v[12:13]
	v_cndmask_b32_e32 v6, 0, v26, vcc
	v_add_u32_e32 v6, v6, v14
	v_and_b32_e32 v6, 0xfffff, v6
	v_add_co_u32_e32 v12, vcc, v6, v14
	v_add_u32_e32 v20, 6, v50
	v_addc_co_u32_e32 v13, vcc, 0, v15, vcc
	v_cmp_ne_u32_e32 vcc, 0, v20
                                        ; implicit-def: $vgpr26
	s_and_saveexec_b64 s[28:29], vcc
	s_xor_b64 s[28:29], exec, s[28:29]
; %bb.5139:                             ;   in Loop: Header=BB6_5067 Depth=3
	v_add_u32_e32 v6, 7, v50
	v_cmp_lt_u64_e32 vcc, s[56:57], v[12:13]
	v_cndmask_b32_e32 v26, v20, v6, vcc
	v_cndmask_b32_e64 v6, 0, 1, vcc
	v_lshrrev_b64 v[12:13], v6, v[12:13]
; %bb.5140:                             ;   in Loop: Header=BB6_5067 Depth=3
	s_andn2_saveexec_b64 s[28:29], s[28:29]
; %bb.5141:                             ;   in Loop: Header=BB6_5067 Depth=3
	v_bfe_u32 v26, v12, 23, 1
; %bb.5142:                             ;   in Loop: Header=BB6_5067 Depth=3
	s_or_b64 exec, exec, s[28:29]
	v_lshrrev_b64 v[6:7], 20, v[12:13]
	v_cmp_gt_i32_e32 vcc, 16, v26
	v_cndmask_b32_e32 v13, 0, v7, vcc
	v_cndmask_b32_e32 v12, 7, v6, vcc
	v_cmp_ne_u32_e32 vcc, 0, v26
	v_cmp_ne_u64_e64 s[28:29], 0, v[12:13]
	s_or_b64 s[28:29], vcc, s[28:29]
                                        ; implicit-def: $vgpr20
	s_and_saveexec_b64 vcc, s[28:29]
	s_xor_b64 s[28:29], exec, vcc
; %bb.5143:                             ;   in Loop: Header=BB6_5067 Depth=3
	v_min_i32_e32 v6, 15, v26
	v_lshl_or_b32 v6, v6, 3, v29
	v_and_or_b32 v20, v12, 7, v6
                                        ; implicit-def: $vgpr29
; %bb.5144:                             ;   in Loop: Header=BB6_5067 Depth=3
	s_andn2_saveexec_b64 s[28:29], s[28:29]
; %bb.5145:                             ;   in Loop: Header=BB6_5067 Depth=3
	v_mov_b32_e32 v20, v29
; %bb.5146:                             ;   in Loop: Header=BB6_5067 Depth=3
	s_or_b64 exec, exec, s[28:29]
.LBB6_5147:                             ;   in Loop: Header=BB6_5067 Depth=3
	s_or_b64 exec, exec, s[70:71]
.LBB6_5148:                             ;   in Loop: Header=BB6_5067 Depth=3
	s_andn2_saveexec_b64 s[28:29], s[68:69]
	s_or_b64 exec, exec, s[28:29]
                                        ; implicit-def: $vgpr12
.LBB6_5149:                             ;   in Loop: Header=BB6_5067 Depth=3
	s_andn2_saveexec_b64 s[28:29], s[66:67]
; %bb.5150:                             ;   in Loop: Header=BB6_5067 Depth=3
	v_or_b32_sdwa v6, v12, s92 dst_sel:DWORD dst_unused:UNUSED_PAD src0_sel:BYTE_3 src1_sel:DWORD
	v_cmp_eq_u64_e32 vcc, 0, v[26:27]
	v_cndmask_b32_e32 v20, v6, v20, vcc
; %bb.5151:                             ;   in Loop: Header=BB6_5067 Depth=3
	s_or_b64 exec, exec, s[28:29]
	v_and_b32_e32 v12, 0xff, v43
	v_cmp_ne_u16_e32 vcc, 0, v12
	v_mov_b32_e32 v13, 0
	v_mov_b32_e32 v26, 0
	s_and_saveexec_b64 s[28:29], vcc
	s_cbranch_execz .LBB6_5157
; %bb.5152:                             ;   in Loop: Header=BB6_5067 Depth=3
	v_cmp_ne_u16_e32 vcc, s91, v12
	v_bfrev_b32_e32 v26, 1
	s_and_saveexec_b64 s[66:67], vcc
	s_cbranch_execz .LBB6_5156
; %bb.5153:                             ;   in Loop: Header=BB6_5067 Depth=3
	v_and_b32_e32 v29, 0x7f, v43
	v_cmp_ne_u32_e32 vcc, s92, v29
	v_mov_b32_e32 v26, 0x7f800001
	s_and_saveexec_b64 s[68:69], vcc
	s_cbranch_execz .LBB6_5155
; %bb.5154:                             ;   in Loop: Header=BB6_5067 Depth=3
	v_and_b32_e32 v14, 7, v12
	v_ffbh_u32_e32 v6, v14
	v_min_u32_e32 v26, 32, v6
	v_subrev_u32_e32 v6, 28, v26
	v_lshlrev_b64 v[6:7], v6, v[12:13]
	v_lshrrev_b32_e32 v15, 3, v29
	v_sub_u32_e32 v7, 29, v26
	v_and_b32_e32 v6, 7, v6
	v_cmp_gt_u32_e32 vcc, 8, v29
	v_cndmask_b32_e32 v7, v15, v7, vcc
	v_cndmask_b32_e32 v6, v14, v6, vcc
	v_lshlrev_b32_e32 v12, 24, v43
	v_lshlrev_b32_e32 v6, 20, v6
	v_and_b32_e32 v12, 0x80000000, v12
	v_lshl_add_u32 v7, v7, 23, v31
	v_or3_b32 v26, v12, v7, v6
.LBB6_5155:                             ;   in Loop: Header=BB6_5067 Depth=3
	s_or_b64 exec, exec, s[68:69]
.LBB6_5156:                             ;   in Loop: Header=BB6_5067 Depth=3
	s_or_b64 exec, exec, s[66:67]
.LBB6_5157:                             ;   in Loop: Header=BB6_5067 Depth=3
	s_or_b64 exec, exec, s[28:29]
	v_and_b32_e32 v12, 0xff, v23
	v_cmp_ne_u16_e32 vcc, 0, v12
	s_and_saveexec_b64 s[28:29], vcc
	s_cbranch_execz .LBB6_5163
; %bb.5158:                             ;   in Loop: Header=BB6_5067 Depth=3
	v_cmp_ne_u16_e32 vcc, s91, v12
	v_bfrev_b32_e32 v13, 1
	s_and_saveexec_b64 s[66:67], vcc
	s_cbranch_execz .LBB6_5162
; %bb.5159:                             ;   in Loop: Header=BB6_5067 Depth=3
	v_and_b32_e32 v29, 0x7f, v23
	v_cmp_ne_u32_e32 vcc, s92, v29
	v_mov_b32_e32 v13, 0x7f800001
	s_and_saveexec_b64 s[68:69], vcc
	s_cbranch_execz .LBB6_5161
; %bb.5160:                             ;   in Loop: Header=BB6_5067 Depth=3
	v_and_b32_e32 v13, 7, v12
	v_ffbh_u32_e32 v6, v13
	v_min_u32_e32 v15, 32, v6
	v_subrev_u32_e32 v6, 28, v15
	v_lshlrev_b64 v[6:7], v6, v[12:13]
	v_lshrrev_b32_e32 v14, 3, v29
	v_sub_u32_e32 v7, 29, v15
	v_and_b32_e32 v6, 7, v6
	v_cmp_gt_u32_e32 vcc, 8, v29
	v_cndmask_b32_e32 v7, v14, v7, vcc
	v_cndmask_b32_e32 v6, v13, v6, vcc
	v_lshlrev_b32_e32 v12, 24, v23
	v_lshlrev_b32_e32 v6, 20, v6
	v_and_b32_e32 v12, 0x80000000, v12
	v_lshl_add_u32 v7, v7, 23, v31
	v_or3_b32 v13, v12, v7, v6
.LBB6_5161:                             ;   in Loop: Header=BB6_5067 Depth=3
	s_or_b64 exec, exec, s[68:69]
.LBB6_5162:                             ;   in Loop: Header=BB6_5067 Depth=3
	s_or_b64 exec, exec, s[66:67]
.LBB6_5163:                             ;   in Loop: Header=BB6_5067 Depth=3
	s_or_b64 exec, exec, s[28:29]
	v_add_f32_e32 v12, v26, v13
	v_and_b32_sdwa v29, v12, s91 dst_sel:DWORD dst_unused:UNUSED_PAD src0_sel:BYTE_3 src1_sel:DWORD
	v_and_b32_e32 v6, 0x7f800000, v12
	v_mov_b32_e32 v7, v27
	v_and_b32_e32 v26, 0x7fffff, v12
	v_or_b32_e32 v23, 0x7e, v29
	v_cmp_ne_u64_e32 vcc, s[52:53], v[6:7]
	s_and_saveexec_b64 s[28:29], vcc
	s_xor_b64 s[66:67], exec, s[28:29]
	s_cbranch_execz .LBB6_5177
; %bb.5164:                             ;   in Loop: Header=BB6_5067 Depth=3
	v_and_b32_e32 v6, 0x7fffffff, v12
	v_mov_b32_e32 v7, v27
	v_cmp_gt_u64_e32 vcc, s[54:55], v[6:7]
	s_and_saveexec_b64 s[28:29], vcc
	s_xor_b64 s[68:69], exec, s[28:29]
	s_cbranch_execz .LBB6_5176
; %bb.5165:                             ;   in Loop: Header=BB6_5067 Depth=3
	v_cmp_ne_u32_e32 vcc, 0, v12
	v_mov_b32_e32 v23, 0
	s_and_saveexec_b64 s[70:71], vcc
	s_cbranch_execz .LBB6_5175
; %bb.5166:                             ;   in Loop: Header=BB6_5067 Depth=3
	v_bfe_u32 v6, v12, 23, 8
	v_sub_u32_e32 v12, 0x79, v6
	v_cmp_gt_u32_e32 vcc, s93, v6
	v_add_u32_e32 v7, 0xffffff81, v6
	v_cndmask_b32_e32 v12, 0, v12, vcc
	v_cmp_eq_u32_e32 vcc, 0, v6
	v_mov_b32_e32 v0, 0xffffff82
	v_cndmask_b32_e32 v23, v7, v0, vcc
	v_mov_b32_e32 v0, 0x78
	v_cndmask_b32_e32 v32, v12, v0, vcc
	v_or_b32_e32 v13, 0x800000, v26
	v_add_u32_e32 v6, 20, v32
	v_cndmask_b32_e32 v26, v13, v26, vcc
	v_lshlrev_b64 v[6:7], v6, -1
	v_not_b32_e32 v6, v6
	v_lshrrev_b64 v[14:15], v32, v[26:27]
	v_not_b32_e32 v7, v7
	v_and_b32_e32 v6, v26, v6
	v_add_u32_e32 v12, 19, v32
	v_lshrrev_b32_e32 v26, 23, v14
	v_and_b32_e32 v7, 0, v7
	v_lshlrev_b64 v[12:13], v12, 1
	v_add3_u32 v50, v32, v23, v26
	v_bfe_u32 v26, v14, 20, 1
	v_add_u32_e32 v26, -1, v26
	v_cmp_eq_u64_e32 vcc, v[6:7], v[12:13]
	v_cndmask_b32_e32 v6, 0, v26, vcc
	v_add_u32_e32 v6, v6, v14
	v_and_b32_e32 v6, 0xfffff, v6
	v_add_co_u32_e32 v12, vcc, v6, v14
	v_add_u32_e32 v23, 6, v50
	v_addc_co_u32_e32 v13, vcc, 0, v15, vcc
	v_cmp_ne_u32_e32 vcc, 0, v23
                                        ; implicit-def: $vgpr26
	s_and_saveexec_b64 s[28:29], vcc
	s_xor_b64 s[28:29], exec, s[28:29]
; %bb.5167:                             ;   in Loop: Header=BB6_5067 Depth=3
	v_add_u32_e32 v6, 7, v50
	v_cmp_lt_u64_e32 vcc, s[56:57], v[12:13]
	v_cndmask_b32_e32 v26, v23, v6, vcc
	v_cndmask_b32_e64 v6, 0, 1, vcc
	v_lshrrev_b64 v[12:13], v6, v[12:13]
; %bb.5168:                             ;   in Loop: Header=BB6_5067 Depth=3
	s_andn2_saveexec_b64 s[28:29], s[28:29]
; %bb.5169:                             ;   in Loop: Header=BB6_5067 Depth=3
	v_bfe_u32 v26, v12, 23, 1
; %bb.5170:                             ;   in Loop: Header=BB6_5067 Depth=3
	s_or_b64 exec, exec, s[28:29]
	v_lshrrev_b64 v[6:7], 20, v[12:13]
	v_cmp_gt_i32_e32 vcc, 16, v26
	v_cndmask_b32_e32 v13, 0, v7, vcc
	v_cndmask_b32_e32 v12, 7, v6, vcc
	v_cmp_ne_u32_e32 vcc, 0, v26
	v_cmp_ne_u64_e64 s[28:29], 0, v[12:13]
	s_or_b64 s[28:29], vcc, s[28:29]
                                        ; implicit-def: $vgpr23
	s_and_saveexec_b64 vcc, s[28:29]
	s_xor_b64 s[28:29], exec, vcc
; %bb.5171:                             ;   in Loop: Header=BB6_5067 Depth=3
	v_min_i32_e32 v6, 15, v26
	v_lshl_or_b32 v6, v6, 3, v29
	v_and_or_b32 v23, v12, 7, v6
                                        ; implicit-def: $vgpr29
; %bb.5172:                             ;   in Loop: Header=BB6_5067 Depth=3
	s_andn2_saveexec_b64 s[28:29], s[28:29]
; %bb.5173:                             ;   in Loop: Header=BB6_5067 Depth=3
	v_mov_b32_e32 v23, v29
; %bb.5174:                             ;   in Loop: Header=BB6_5067 Depth=3
	s_or_b64 exec, exec, s[28:29]
.LBB6_5175:                             ;   in Loop: Header=BB6_5067 Depth=3
	s_or_b64 exec, exec, s[70:71]
.LBB6_5176:                             ;   in Loop: Header=BB6_5067 Depth=3
	s_andn2_saveexec_b64 s[28:29], s[68:69]
	s_or_b64 exec, exec, s[28:29]
                                        ; implicit-def: $vgpr12
.LBB6_5177:                             ;   in Loop: Header=BB6_5067 Depth=3
	s_andn2_saveexec_b64 s[28:29], s[66:67]
; %bb.5178:                             ;   in Loop: Header=BB6_5067 Depth=3
	v_or_b32_sdwa v6, v12, s92 dst_sel:DWORD dst_unused:UNUSED_PAD src0_sel:BYTE_3 src1_sel:DWORD
	v_cmp_eq_u64_e32 vcc, 0, v[26:27]
	v_cndmask_b32_e32 v23, v6, v23, vcc
; %bb.5179:                             ;   in Loop: Header=BB6_5067 Depth=3
	s_or_b64 exec, exec, s[28:29]
	v_and_b32_e32 v12, 0xff, v57
	v_cmp_ne_u16_e32 vcc, 0, v12
	v_mov_b32_e32 v13, 0
	v_mov_b32_e32 v26, 0
	s_and_saveexec_b64 s[28:29], vcc
	s_cbranch_execz .LBB6_5185
; %bb.5180:                             ;   in Loop: Header=BB6_5067 Depth=3
	v_cmp_ne_u16_e32 vcc, s91, v12
	v_bfrev_b32_e32 v26, 1
	s_and_saveexec_b64 s[66:67], vcc
	s_cbranch_execz .LBB6_5184
; %bb.5181:                             ;   in Loop: Header=BB6_5067 Depth=3
	v_and_b32_e32 v29, 0x7f, v57
	v_cmp_ne_u32_e32 vcc, s92, v29
	v_mov_b32_e32 v26, 0x7f800001
	s_and_saveexec_b64 s[68:69], vcc
	s_cbranch_execz .LBB6_5183
; %bb.5182:                             ;   in Loop: Header=BB6_5067 Depth=3
	v_and_b32_e32 v14, 7, v12
	v_ffbh_u32_e32 v6, v14
	v_min_u32_e32 v26, 32, v6
	v_subrev_u32_e32 v6, 28, v26
	v_lshlrev_b64 v[6:7], v6, v[12:13]
	v_lshrrev_b32_e32 v15, 3, v29
	v_sub_u32_e32 v7, 29, v26
	v_and_b32_e32 v6, 7, v6
	v_cmp_gt_u32_e32 vcc, 8, v29
	v_cndmask_b32_e32 v7, v15, v7, vcc
	v_cndmask_b32_e32 v6, v14, v6, vcc
	v_lshlrev_b32_e32 v12, 24, v57
	v_lshlrev_b32_e32 v6, 20, v6
	v_and_b32_e32 v12, 0x80000000, v12
	v_lshl_add_u32 v7, v7, 23, v31
	v_or3_b32 v26, v12, v7, v6
.LBB6_5183:                             ;   in Loop: Header=BB6_5067 Depth=3
	s_or_b64 exec, exec, s[68:69]
.LBB6_5184:                             ;   in Loop: Header=BB6_5067 Depth=3
	s_or_b64 exec, exec, s[66:67]
.LBB6_5185:                             ;   in Loop: Header=BB6_5067 Depth=3
	s_or_b64 exec, exec, s[28:29]
	v_and_b32_e32 v12, 0xff, v28
	v_cmp_ne_u16_e32 vcc, 0, v12
	s_and_saveexec_b64 s[28:29], vcc
	s_cbranch_execz .LBB6_5191
; %bb.5186:                             ;   in Loop: Header=BB6_5067 Depth=3
	v_cmp_ne_u16_e32 vcc, s91, v12
	v_bfrev_b32_e32 v13, 1
	s_and_saveexec_b64 s[66:67], vcc
	s_cbranch_execz .LBB6_5190
; %bb.5187:                             ;   in Loop: Header=BB6_5067 Depth=3
	v_and_b32_e32 v29, 0x7f, v28
	v_cmp_ne_u32_e32 vcc, s92, v29
	v_mov_b32_e32 v13, 0x7f800001
	s_and_saveexec_b64 s[68:69], vcc
	s_cbranch_execz .LBB6_5189
; %bb.5188:                             ;   in Loop: Header=BB6_5067 Depth=3
	v_and_b32_e32 v13, 7, v12
	v_ffbh_u32_e32 v6, v13
	v_min_u32_e32 v15, 32, v6
	v_subrev_u32_e32 v6, 28, v15
	v_lshlrev_b64 v[6:7], v6, v[12:13]
	v_lshrrev_b32_e32 v14, 3, v29
	v_sub_u32_e32 v7, 29, v15
	v_and_b32_e32 v6, 7, v6
	v_cmp_gt_u32_e32 vcc, 8, v29
	v_cndmask_b32_e32 v7, v14, v7, vcc
	v_cndmask_b32_e32 v6, v13, v6, vcc
	v_lshlrev_b32_e32 v12, 24, v28
	v_lshlrev_b32_e32 v6, 20, v6
	v_and_b32_e32 v12, 0x80000000, v12
	v_lshl_add_u32 v7, v7, 23, v31
	v_or3_b32 v13, v12, v7, v6
.LBB6_5189:                             ;   in Loop: Header=BB6_5067 Depth=3
	s_or_b64 exec, exec, s[68:69]
.LBB6_5190:                             ;   in Loop: Header=BB6_5067 Depth=3
	s_or_b64 exec, exec, s[66:67]
.LBB6_5191:                             ;   in Loop: Header=BB6_5067 Depth=3
	s_or_b64 exec, exec, s[28:29]
	v_add_f32_e32 v12, v26, v13
	v_and_b32_sdwa v29, v12, s91 dst_sel:DWORD dst_unused:UNUSED_PAD src0_sel:BYTE_3 src1_sel:DWORD
	v_and_b32_e32 v6, 0x7f800000, v12
	v_mov_b32_e32 v7, v27
	v_and_b32_e32 v26, 0x7fffff, v12
	v_or_b32_e32 v28, 0x7e, v29
	v_cmp_ne_u64_e32 vcc, s[52:53], v[6:7]
	s_and_saveexec_b64 s[28:29], vcc
	s_xor_b64 s[66:67], exec, s[28:29]
	s_cbranch_execz .LBB6_5205
; %bb.5192:                             ;   in Loop: Header=BB6_5067 Depth=3
	v_and_b32_e32 v6, 0x7fffffff, v12
	v_mov_b32_e32 v7, v27
	v_cmp_gt_u64_e32 vcc, s[54:55], v[6:7]
	s_and_saveexec_b64 s[28:29], vcc
	s_xor_b64 s[68:69], exec, s[28:29]
	s_cbranch_execz .LBB6_5204
; %bb.5193:                             ;   in Loop: Header=BB6_5067 Depth=3
	v_cmp_ne_u32_e32 vcc, 0, v12
	v_mov_b32_e32 v28, 0
	s_and_saveexec_b64 s[70:71], vcc
	s_cbranch_execz .LBB6_5203
; %bb.5194:                             ;   in Loop: Header=BB6_5067 Depth=3
	v_bfe_u32 v6, v12, 23, 8
	v_sub_u32_e32 v12, 0x79, v6
	v_cmp_gt_u32_e32 vcc, s93, v6
	v_add_u32_e32 v7, 0xffffff81, v6
	v_cndmask_b32_e32 v12, 0, v12, vcc
	v_cmp_eq_u32_e32 vcc, 0, v6
	v_mov_b32_e32 v0, 0xffffff82
	v_cndmask_b32_e32 v28, v7, v0, vcc
	v_mov_b32_e32 v0, 0x78
	v_cndmask_b32_e32 v32, v12, v0, vcc
	v_or_b32_e32 v13, 0x800000, v26
	v_add_u32_e32 v6, 20, v32
	v_cndmask_b32_e32 v26, v13, v26, vcc
	v_lshlrev_b64 v[6:7], v6, -1
	v_not_b32_e32 v6, v6
	v_lshrrev_b64 v[14:15], v32, v[26:27]
	v_not_b32_e32 v7, v7
	v_and_b32_e32 v6, v26, v6
	v_add_u32_e32 v12, 19, v32
	v_lshrrev_b32_e32 v26, 23, v14
	v_and_b32_e32 v7, 0, v7
	v_lshlrev_b64 v[12:13], v12, 1
	v_add3_u32 v50, v32, v28, v26
	v_bfe_u32 v26, v14, 20, 1
	v_add_u32_e32 v26, -1, v26
	v_cmp_eq_u64_e32 vcc, v[6:7], v[12:13]
	v_cndmask_b32_e32 v6, 0, v26, vcc
	v_add_u32_e32 v6, v6, v14
	v_and_b32_e32 v6, 0xfffff, v6
	v_add_co_u32_e32 v12, vcc, v6, v14
	v_add_u32_e32 v28, 6, v50
	v_addc_co_u32_e32 v13, vcc, 0, v15, vcc
	v_cmp_ne_u32_e32 vcc, 0, v28
                                        ; implicit-def: $vgpr26
	s_and_saveexec_b64 s[28:29], vcc
	s_xor_b64 s[28:29], exec, s[28:29]
; %bb.5195:                             ;   in Loop: Header=BB6_5067 Depth=3
	v_add_u32_e32 v6, 7, v50
	v_cmp_lt_u64_e32 vcc, s[56:57], v[12:13]
	v_cndmask_b32_e32 v26, v28, v6, vcc
	v_cndmask_b32_e64 v6, 0, 1, vcc
	v_lshrrev_b64 v[12:13], v6, v[12:13]
; %bb.5196:                             ;   in Loop: Header=BB6_5067 Depth=3
	s_andn2_saveexec_b64 s[28:29], s[28:29]
; %bb.5197:                             ;   in Loop: Header=BB6_5067 Depth=3
	v_bfe_u32 v26, v12, 23, 1
; %bb.5198:                             ;   in Loop: Header=BB6_5067 Depth=3
	s_or_b64 exec, exec, s[28:29]
	v_lshrrev_b64 v[6:7], 20, v[12:13]
	v_cmp_gt_i32_e32 vcc, 16, v26
	v_cndmask_b32_e32 v13, 0, v7, vcc
	v_cndmask_b32_e32 v12, 7, v6, vcc
	v_cmp_ne_u32_e32 vcc, 0, v26
	v_cmp_ne_u64_e64 s[28:29], 0, v[12:13]
	s_or_b64 s[28:29], vcc, s[28:29]
                                        ; implicit-def: $vgpr28
	s_and_saveexec_b64 vcc, s[28:29]
	s_xor_b64 s[28:29], exec, vcc
; %bb.5199:                             ;   in Loop: Header=BB6_5067 Depth=3
	v_min_i32_e32 v6, 15, v26
	v_lshl_or_b32 v6, v6, 3, v29
	v_and_or_b32 v28, v12, 7, v6
                                        ; implicit-def: $vgpr29
; %bb.5200:                             ;   in Loop: Header=BB6_5067 Depth=3
	s_andn2_saveexec_b64 s[28:29], s[28:29]
; %bb.5201:                             ;   in Loop: Header=BB6_5067 Depth=3
	v_mov_b32_e32 v28, v29
; %bb.5202:                             ;   in Loop: Header=BB6_5067 Depth=3
	s_or_b64 exec, exec, s[28:29]
.LBB6_5203:                             ;   in Loop: Header=BB6_5067 Depth=3
	s_or_b64 exec, exec, s[70:71]
.LBB6_5204:                             ;   in Loop: Header=BB6_5067 Depth=3
	s_andn2_saveexec_b64 s[28:29], s[68:69]
	s_or_b64 exec, exec, s[28:29]
                                        ; implicit-def: $vgpr12
.LBB6_5205:                             ;   in Loop: Header=BB6_5067 Depth=3
	s_andn2_saveexec_b64 s[28:29], s[66:67]
; %bb.5206:                             ;   in Loop: Header=BB6_5067 Depth=3
	v_or_b32_sdwa v6, v12, s92 dst_sel:DWORD dst_unused:UNUSED_PAD src0_sel:BYTE_3 src1_sel:DWORD
	v_cmp_eq_u64_e32 vcc, 0, v[26:27]
	v_cndmask_b32_e32 v28, v6, v28, vcc
; %bb.5207:                             ;   in Loop: Header=BB6_5067 Depth=3
	s_or_b64 exec, exec, s[28:29]
	v_and_b32_e32 v12, 0xff, v54
	v_cmp_ne_u16_e32 vcc, 0, v12
	v_mov_b32_e32 v13, 0
	v_mov_b32_e32 v26, 0
	s_and_saveexec_b64 s[28:29], vcc
	s_cbranch_execz .LBB6_5213
; %bb.5208:                             ;   in Loop: Header=BB6_5067 Depth=3
	v_cmp_ne_u16_e32 vcc, s91, v12
	v_bfrev_b32_e32 v26, 1
	s_and_saveexec_b64 s[66:67], vcc
	s_cbranch_execz .LBB6_5212
; %bb.5209:                             ;   in Loop: Header=BB6_5067 Depth=3
	v_and_b32_e32 v29, 0x7f, v54
	v_cmp_ne_u32_e32 vcc, s92, v29
	v_mov_b32_e32 v26, 0x7f800001
	s_and_saveexec_b64 s[68:69], vcc
	s_cbranch_execz .LBB6_5211
; %bb.5210:                             ;   in Loop: Header=BB6_5067 Depth=3
	v_and_b32_e32 v14, 7, v12
	v_ffbh_u32_e32 v6, v14
	v_min_u32_e32 v26, 32, v6
	v_subrev_u32_e32 v6, 28, v26
	v_lshlrev_b64 v[6:7], v6, v[12:13]
	v_lshrrev_b32_e32 v15, 3, v29
	v_sub_u32_e32 v7, 29, v26
	v_and_b32_e32 v6, 7, v6
	v_cmp_gt_u32_e32 vcc, 8, v29
	v_cndmask_b32_e32 v7, v15, v7, vcc
	v_cndmask_b32_e32 v6, v14, v6, vcc
	v_lshlrev_b32_e32 v12, 24, v54
	v_lshlrev_b32_e32 v6, 20, v6
	v_and_b32_e32 v12, 0x80000000, v12
	v_lshl_add_u32 v7, v7, 23, v31
	v_or3_b32 v26, v12, v7, v6
.LBB6_5211:                             ;   in Loop: Header=BB6_5067 Depth=3
	s_or_b64 exec, exec, s[68:69]
.LBB6_5212:                             ;   in Loop: Header=BB6_5067 Depth=3
	s_or_b64 exec, exec, s[66:67]
.LBB6_5213:                             ;   in Loop: Header=BB6_5067 Depth=3
	s_or_b64 exec, exec, s[28:29]
	v_and_b32_e32 v12, 0xff, v37
	v_cmp_ne_u16_e32 vcc, 0, v12
	s_and_saveexec_b64 s[28:29], vcc
	s_cbranch_execz .LBB6_5219
; %bb.5214:                             ;   in Loop: Header=BB6_5067 Depth=3
	v_cmp_ne_u16_e32 vcc, s91, v12
	v_bfrev_b32_e32 v13, 1
	s_and_saveexec_b64 s[66:67], vcc
	s_cbranch_execz .LBB6_5218
; %bb.5215:                             ;   in Loop: Header=BB6_5067 Depth=3
	v_and_b32_e32 v29, 0x7f, v37
	v_cmp_ne_u32_e32 vcc, s92, v29
	v_mov_b32_e32 v13, 0x7f800001
	s_and_saveexec_b64 s[68:69], vcc
	s_cbranch_execz .LBB6_5217
; %bb.5216:                             ;   in Loop: Header=BB6_5067 Depth=3
	v_and_b32_e32 v13, 7, v12
	v_ffbh_u32_e32 v6, v13
	v_min_u32_e32 v15, 32, v6
	v_subrev_u32_e32 v6, 28, v15
	v_lshlrev_b64 v[6:7], v6, v[12:13]
	v_lshrrev_b32_e32 v14, 3, v29
	v_sub_u32_e32 v7, 29, v15
	v_and_b32_e32 v6, 7, v6
	v_cmp_gt_u32_e32 vcc, 8, v29
	v_cndmask_b32_e32 v7, v14, v7, vcc
	v_cndmask_b32_e32 v6, v13, v6, vcc
	v_lshlrev_b32_e32 v12, 24, v37
	v_lshlrev_b32_e32 v6, 20, v6
	v_and_b32_e32 v12, 0x80000000, v12
	v_lshl_add_u32 v7, v7, 23, v31
	v_or3_b32 v13, v12, v7, v6
.LBB6_5217:                             ;   in Loop: Header=BB6_5067 Depth=3
	s_or_b64 exec, exec, s[68:69]
.LBB6_5218:                             ;   in Loop: Header=BB6_5067 Depth=3
	s_or_b64 exec, exec, s[66:67]
.LBB6_5219:                             ;   in Loop: Header=BB6_5067 Depth=3
	s_or_b64 exec, exec, s[28:29]
	v_add_f32_e32 v12, v26, v13
	v_and_b32_sdwa v29, v12, s91 dst_sel:DWORD dst_unused:UNUSED_PAD src0_sel:BYTE_3 src1_sel:DWORD
	v_and_b32_e32 v6, 0x7f800000, v12
	v_mov_b32_e32 v7, v27
	v_and_b32_e32 v26, 0x7fffff, v12
	v_or_b32_e32 v37, 0x7e, v29
	v_cmp_ne_u64_e32 vcc, s[52:53], v[6:7]
	s_and_saveexec_b64 s[28:29], vcc
	s_xor_b64 s[66:67], exec, s[28:29]
	s_cbranch_execz .LBB6_5233
; %bb.5220:                             ;   in Loop: Header=BB6_5067 Depth=3
	v_and_b32_e32 v6, 0x7fffffff, v12
	v_mov_b32_e32 v7, v27
	v_cmp_gt_u64_e32 vcc, s[54:55], v[6:7]
	s_and_saveexec_b64 s[28:29], vcc
	s_xor_b64 s[68:69], exec, s[28:29]
	s_cbranch_execz .LBB6_5232
; %bb.5221:                             ;   in Loop: Header=BB6_5067 Depth=3
	v_cmp_ne_u32_e32 vcc, 0, v12
	v_mov_b32_e32 v37, 0
	s_and_saveexec_b64 s[70:71], vcc
	s_cbranch_execz .LBB6_5231
; %bb.5222:                             ;   in Loop: Header=BB6_5067 Depth=3
	v_bfe_u32 v6, v12, 23, 8
	v_sub_u32_e32 v12, 0x79, v6
	v_cmp_gt_u32_e32 vcc, s93, v6
	v_add_u32_e32 v7, 0xffffff81, v6
	v_cndmask_b32_e32 v12, 0, v12, vcc
	v_cmp_eq_u32_e32 vcc, 0, v6
	v_mov_b32_e32 v0, 0xffffff82
	v_cndmask_b32_e32 v32, v7, v0, vcc
	v_mov_b32_e32 v0, 0x78
	v_cndmask_b32_e32 v33, v12, v0, vcc
	v_or_b32_e32 v13, 0x800000, v26
	v_add_u32_e32 v6, 20, v33
	v_cndmask_b32_e32 v26, v13, v26, vcc
	v_lshlrev_b64 v[6:7], v6, -1
	v_not_b32_e32 v6, v6
	v_lshrrev_b64 v[14:15], v33, v[26:27]
	v_not_b32_e32 v7, v7
	v_and_b32_e32 v6, v26, v6
	v_add_u32_e32 v12, 19, v33
	v_lshrrev_b32_e32 v26, 23, v14
	v_and_b32_e32 v7, 0, v7
	v_lshlrev_b64 v[12:13], v12, 1
	v_add3_u32 v50, v33, v32, v26
	v_bfe_u32 v26, v14, 20, 1
	v_add_u32_e32 v26, -1, v26
	v_cmp_eq_u64_e32 vcc, v[6:7], v[12:13]
	v_cndmask_b32_e32 v6, 0, v26, vcc
	v_add_u32_e32 v6, v6, v14
	v_and_b32_e32 v6, 0xfffff, v6
	v_add_co_u32_e32 v12, vcc, v6, v14
	v_add_u32_e32 v37, 6, v50
	v_addc_co_u32_e32 v13, vcc, 0, v15, vcc
	v_cmp_ne_u32_e32 vcc, 0, v37
                                        ; implicit-def: $vgpr26
	s_and_saveexec_b64 s[28:29], vcc
	s_xor_b64 s[28:29], exec, s[28:29]
; %bb.5223:                             ;   in Loop: Header=BB6_5067 Depth=3
	v_add_u32_e32 v6, 7, v50
	v_cmp_lt_u64_e32 vcc, s[56:57], v[12:13]
	v_cndmask_b32_e32 v26, v37, v6, vcc
	v_cndmask_b32_e64 v6, 0, 1, vcc
	v_lshrrev_b64 v[12:13], v6, v[12:13]
; %bb.5224:                             ;   in Loop: Header=BB6_5067 Depth=3
	s_andn2_saveexec_b64 s[28:29], s[28:29]
; %bb.5225:                             ;   in Loop: Header=BB6_5067 Depth=3
	v_bfe_u32 v26, v12, 23, 1
; %bb.5226:                             ;   in Loop: Header=BB6_5067 Depth=3
	s_or_b64 exec, exec, s[28:29]
	v_lshrrev_b64 v[6:7], 20, v[12:13]
	v_cmp_gt_i32_e32 vcc, 16, v26
	v_cndmask_b32_e32 v13, 0, v7, vcc
	v_cndmask_b32_e32 v12, 7, v6, vcc
	v_cmp_ne_u32_e32 vcc, 0, v26
	v_cmp_ne_u64_e64 s[28:29], 0, v[12:13]
	s_or_b64 s[28:29], vcc, s[28:29]
                                        ; implicit-def: $vgpr37
	s_and_saveexec_b64 vcc, s[28:29]
	s_xor_b64 s[28:29], exec, vcc
; %bb.5227:                             ;   in Loop: Header=BB6_5067 Depth=3
	v_min_i32_e32 v6, 15, v26
	v_lshl_or_b32 v6, v6, 3, v29
	v_and_or_b32 v37, v12, 7, v6
                                        ; implicit-def: $vgpr29
; %bb.5228:                             ;   in Loop: Header=BB6_5067 Depth=3
	s_andn2_saveexec_b64 s[28:29], s[28:29]
; %bb.5229:                             ;   in Loop: Header=BB6_5067 Depth=3
	v_mov_b32_e32 v37, v29
; %bb.5230:                             ;   in Loop: Header=BB6_5067 Depth=3
	s_or_b64 exec, exec, s[28:29]
.LBB6_5231:                             ;   in Loop: Header=BB6_5067 Depth=3
	s_or_b64 exec, exec, s[70:71]
.LBB6_5232:                             ;   in Loop: Header=BB6_5067 Depth=3
	s_andn2_saveexec_b64 s[28:29], s[68:69]
	s_or_b64 exec, exec, s[28:29]
                                        ; implicit-def: $vgpr12
.LBB6_5233:                             ;   in Loop: Header=BB6_5067 Depth=3
	s_andn2_saveexec_b64 s[28:29], s[66:67]
; %bb.5234:                             ;   in Loop: Header=BB6_5067 Depth=3
	v_or_b32_sdwa v6, v12, s92 dst_sel:DWORD dst_unused:UNUSED_PAD src0_sel:BYTE_3 src1_sel:DWORD
	v_cmp_eq_u64_e32 vcc, 0, v[26:27]
	v_cndmask_b32_e32 v37, v6, v37, vcc
; %bb.5235:                             ;   in Loop: Header=BB6_5067 Depth=3
	s_or_b64 exec, exec, s[28:29]
	v_and_b32_e32 v12, 0xff, v56
	v_cmp_ne_u16_e32 vcc, 0, v12
	v_mov_b32_e32 v13, 0
	v_mov_b32_e32 v26, 0
	s_and_saveexec_b64 s[28:29], vcc
	s_cbranch_execz .LBB6_5241
; %bb.5236:                             ;   in Loop: Header=BB6_5067 Depth=3
	v_cmp_ne_u16_e32 vcc, s91, v12
	v_bfrev_b32_e32 v26, 1
	s_and_saveexec_b64 s[66:67], vcc
	s_cbranch_execz .LBB6_5240
; %bb.5237:                             ;   in Loop: Header=BB6_5067 Depth=3
	v_and_b32_e32 v29, 0x7f, v56
	v_cmp_ne_u32_e32 vcc, s92, v29
	v_mov_b32_e32 v26, 0x7f800001
	s_and_saveexec_b64 s[68:69], vcc
	s_cbranch_execz .LBB6_5239
; %bb.5238:                             ;   in Loop: Header=BB6_5067 Depth=3
	v_and_b32_e32 v14, 7, v12
	v_ffbh_u32_e32 v6, v14
	v_min_u32_e32 v26, 32, v6
	v_subrev_u32_e32 v6, 28, v26
	v_lshlrev_b64 v[6:7], v6, v[12:13]
	v_lshrrev_b32_e32 v15, 3, v29
	v_sub_u32_e32 v7, 29, v26
	v_and_b32_e32 v6, 7, v6
	v_cmp_gt_u32_e32 vcc, 8, v29
	v_cndmask_b32_e32 v7, v15, v7, vcc
	v_cndmask_b32_e32 v6, v14, v6, vcc
	v_lshlrev_b32_e32 v12, 24, v56
	v_lshlrev_b32_e32 v6, 20, v6
	v_and_b32_e32 v12, 0x80000000, v12
	v_lshl_add_u32 v7, v7, 23, v31
	v_or3_b32 v26, v12, v7, v6
.LBB6_5239:                             ;   in Loop: Header=BB6_5067 Depth=3
	s_or_b64 exec, exec, s[68:69]
.LBB6_5240:                             ;   in Loop: Header=BB6_5067 Depth=3
	s_or_b64 exec, exec, s[66:67]
.LBB6_5241:                             ;   in Loop: Header=BB6_5067 Depth=3
	s_or_b64 exec, exec, s[28:29]
	v_and_b32_e32 v12, 0xff, v52
	v_cmp_ne_u16_e32 vcc, 0, v12
	s_and_saveexec_b64 s[28:29], vcc
	s_cbranch_execz .LBB6_5247
; %bb.5242:                             ;   in Loop: Header=BB6_5067 Depth=3
	v_cmp_ne_u16_e32 vcc, s91, v12
	v_bfrev_b32_e32 v13, 1
	s_and_saveexec_b64 s[66:67], vcc
	s_cbranch_execz .LBB6_5246
; %bb.5243:                             ;   in Loop: Header=BB6_5067 Depth=3
	v_and_b32_e32 v29, 0x7f, v52
	v_cmp_ne_u32_e32 vcc, s92, v29
	v_mov_b32_e32 v13, 0x7f800001
	s_and_saveexec_b64 s[68:69], vcc
	s_cbranch_execz .LBB6_5245
; %bb.5244:                             ;   in Loop: Header=BB6_5067 Depth=3
	v_and_b32_e32 v13, 7, v12
	v_ffbh_u32_e32 v6, v13
	v_min_u32_e32 v15, 32, v6
	v_subrev_u32_e32 v6, 28, v15
	v_lshlrev_b64 v[6:7], v6, v[12:13]
	v_lshrrev_b32_e32 v14, 3, v29
	v_sub_u32_e32 v7, 29, v15
	v_and_b32_e32 v6, 7, v6
	v_cmp_gt_u32_e32 vcc, 8, v29
	v_cndmask_b32_e32 v7, v14, v7, vcc
	v_cndmask_b32_e32 v6, v13, v6, vcc
	v_lshlrev_b32_e32 v12, 24, v52
	v_lshlrev_b32_e32 v6, 20, v6
	v_and_b32_e32 v12, 0x80000000, v12
	v_lshl_add_u32 v7, v7, 23, v31
	v_or3_b32 v13, v12, v7, v6
.LBB6_5245:                             ;   in Loop: Header=BB6_5067 Depth=3
	s_or_b64 exec, exec, s[68:69]
.LBB6_5246:                             ;   in Loop: Header=BB6_5067 Depth=3
	s_or_b64 exec, exec, s[66:67]
.LBB6_5247:                             ;   in Loop: Header=BB6_5067 Depth=3
	s_or_b64 exec, exec, s[28:29]
	v_add_f32_e32 v12, v26, v13
	v_and_b32_sdwa v29, v12, s91 dst_sel:DWORD dst_unused:UNUSED_PAD src0_sel:BYTE_3 src1_sel:DWORD
	v_and_b32_e32 v6, 0x7f800000, v12
	v_mov_b32_e32 v7, v27
	v_and_b32_e32 v26, 0x7fffff, v12
	v_or_b32_e32 v52, 0x7e, v29
	v_cmp_ne_u64_e32 vcc, s[52:53], v[6:7]
	s_and_saveexec_b64 s[28:29], vcc
	s_xor_b64 s[66:67], exec, s[28:29]
	s_cbranch_execz .LBB6_5261
; %bb.5248:                             ;   in Loop: Header=BB6_5067 Depth=3
	v_and_b32_e32 v6, 0x7fffffff, v12
	v_mov_b32_e32 v7, v27
	v_cmp_gt_u64_e32 vcc, s[54:55], v[6:7]
	s_and_saveexec_b64 s[28:29], vcc
	s_xor_b64 s[68:69], exec, s[28:29]
	s_cbranch_execz .LBB6_5260
; %bb.5249:                             ;   in Loop: Header=BB6_5067 Depth=3
	v_cmp_ne_u32_e32 vcc, 0, v12
	v_mov_b32_e32 v52, 0
	s_and_saveexec_b64 s[70:71], vcc
	s_cbranch_execz .LBB6_5259
; %bb.5250:                             ;   in Loop: Header=BB6_5067 Depth=3
	v_bfe_u32 v6, v12, 23, 8
	v_sub_u32_e32 v12, 0x79, v6
	v_cmp_gt_u32_e32 vcc, s93, v6
	v_add_u32_e32 v7, 0xffffff81, v6
	v_cndmask_b32_e32 v12, 0, v12, vcc
	v_cmp_eq_u32_e32 vcc, 0, v6
	v_mov_b32_e32 v0, 0xffffff82
	v_cndmask_b32_e32 v32, v7, v0, vcc
	v_mov_b32_e32 v0, 0x78
	v_cndmask_b32_e32 v33, v12, v0, vcc
	v_or_b32_e32 v13, 0x800000, v26
	v_add_u32_e32 v6, 20, v33
	v_cndmask_b32_e32 v26, v13, v26, vcc
	v_lshlrev_b64 v[6:7], v6, -1
	v_not_b32_e32 v6, v6
	v_lshrrev_b64 v[14:15], v33, v[26:27]
	v_not_b32_e32 v7, v7
	v_and_b32_e32 v6, v26, v6
	v_add_u32_e32 v12, 19, v33
	v_lshrrev_b32_e32 v26, 23, v14
	v_and_b32_e32 v7, 0, v7
	v_lshlrev_b64 v[12:13], v12, 1
	v_add3_u32 v51, v33, v32, v26
	v_bfe_u32 v26, v14, 20, 1
	v_add_u32_e32 v26, -1, v26
	v_cmp_eq_u64_e32 vcc, v[6:7], v[12:13]
	v_cndmask_b32_e32 v6, 0, v26, vcc
	v_add_u32_e32 v6, v6, v14
	v_and_b32_e32 v6, 0xfffff, v6
	v_add_co_u32_e32 v12, vcc, v6, v14
	v_add_u32_e32 v50, 6, v51
	v_addc_co_u32_e32 v13, vcc, 0, v15, vcc
	v_cmp_ne_u32_e32 vcc, 0, v50
                                        ; implicit-def: $vgpr26
	s_and_saveexec_b64 s[28:29], vcc
	s_xor_b64 s[28:29], exec, s[28:29]
; %bb.5251:                             ;   in Loop: Header=BB6_5067 Depth=3
	v_add_u32_e32 v6, 7, v51
	v_cmp_lt_u64_e32 vcc, s[56:57], v[12:13]
	v_cndmask_b32_e32 v26, v50, v6, vcc
	v_cndmask_b32_e64 v6, 0, 1, vcc
	v_lshrrev_b64 v[12:13], v6, v[12:13]
; %bb.5252:                             ;   in Loop: Header=BB6_5067 Depth=3
	s_andn2_saveexec_b64 s[28:29], s[28:29]
; %bb.5253:                             ;   in Loop: Header=BB6_5067 Depth=3
	v_bfe_u32 v26, v12, 23, 1
; %bb.5254:                             ;   in Loop: Header=BB6_5067 Depth=3
	s_or_b64 exec, exec, s[28:29]
	v_lshrrev_b64 v[6:7], 20, v[12:13]
	v_cmp_gt_i32_e32 vcc, 16, v26
	v_cndmask_b32_e32 v13, 0, v7, vcc
	v_cndmask_b32_e32 v12, 7, v6, vcc
	v_cmp_ne_u32_e32 vcc, 0, v26
	v_cmp_ne_u64_e64 s[28:29], 0, v[12:13]
	s_or_b64 s[28:29], vcc, s[28:29]
                                        ; implicit-def: $vgpr52
	s_and_saveexec_b64 vcc, s[28:29]
	s_xor_b64 s[28:29], exec, vcc
; %bb.5255:                             ;   in Loop: Header=BB6_5067 Depth=3
	v_min_i32_e32 v6, 15, v26
	v_lshl_or_b32 v6, v6, 3, v29
	v_and_or_b32 v52, v12, 7, v6
                                        ; implicit-def: $vgpr29
; %bb.5256:                             ;   in Loop: Header=BB6_5067 Depth=3
	s_andn2_saveexec_b64 s[28:29], s[28:29]
; %bb.5257:                             ;   in Loop: Header=BB6_5067 Depth=3
	v_mov_b32_e32 v52, v29
; %bb.5258:                             ;   in Loop: Header=BB6_5067 Depth=3
	s_or_b64 exec, exec, s[28:29]
.LBB6_5259:                             ;   in Loop: Header=BB6_5067 Depth=3
	s_or_b64 exec, exec, s[70:71]
.LBB6_5260:                             ;   in Loop: Header=BB6_5067 Depth=3
	s_andn2_saveexec_b64 s[28:29], s[68:69]
	s_or_b64 exec, exec, s[28:29]
                                        ; implicit-def: $vgpr12
.LBB6_5261:                             ;   in Loop: Header=BB6_5067 Depth=3
	s_andn2_saveexec_b64 s[28:29], s[66:67]
; %bb.5262:                             ;   in Loop: Header=BB6_5067 Depth=3
	v_or_b32_sdwa v6, v12, s92 dst_sel:DWORD dst_unused:UNUSED_PAD src0_sel:BYTE_3 src1_sel:DWORD
	v_cmp_eq_u64_e32 vcc, 0, v[26:27]
	v_cndmask_b32_e32 v52, v6, v52, vcc
; %bb.5263:                             ;   in Loop: Header=BB6_5067 Depth=3
	s_or_b64 exec, exec, s[28:29]
	v_and_b32_e32 v12, 0xff, v47
	v_cmp_ne_u16_e32 vcc, 0, v12
	v_mov_b32_e32 v13, 0
	v_mov_b32_e32 v26, 0
	s_and_saveexec_b64 s[28:29], vcc
	s_cbranch_execz .LBB6_5269
; %bb.5264:                             ;   in Loop: Header=BB6_5067 Depth=3
	v_cmp_ne_u16_e32 vcc, s91, v12
	v_bfrev_b32_e32 v26, 1
	s_and_saveexec_b64 s[66:67], vcc
	s_cbranch_execz .LBB6_5268
; %bb.5265:                             ;   in Loop: Header=BB6_5067 Depth=3
	v_and_b32_e32 v29, 0x7f, v47
	v_cmp_ne_u32_e32 vcc, s92, v29
	v_mov_b32_e32 v26, 0x7f800001
	s_and_saveexec_b64 s[68:69], vcc
	s_cbranch_execz .LBB6_5267
; %bb.5266:                             ;   in Loop: Header=BB6_5067 Depth=3
	v_and_b32_e32 v14, 7, v12
	v_ffbh_u32_e32 v6, v14
	v_min_u32_e32 v26, 32, v6
	v_subrev_u32_e32 v6, 28, v26
	v_lshlrev_b64 v[6:7], v6, v[12:13]
	v_lshrrev_b32_e32 v15, 3, v29
	v_sub_u32_e32 v7, 29, v26
	v_and_b32_e32 v6, 7, v6
	v_cmp_gt_u32_e32 vcc, 8, v29
	v_cndmask_b32_e32 v7, v15, v7, vcc
	v_cndmask_b32_e32 v6, v14, v6, vcc
	v_lshlrev_b32_e32 v12, 24, v47
	v_lshlrev_b32_e32 v6, 20, v6
	v_and_b32_e32 v12, 0x80000000, v12
	v_lshl_add_u32 v7, v7, 23, v31
	v_or3_b32 v26, v12, v7, v6
.LBB6_5267:                             ;   in Loop: Header=BB6_5067 Depth=3
	s_or_b64 exec, exec, s[68:69]
.LBB6_5268:                             ;   in Loop: Header=BB6_5067 Depth=3
	s_or_b64 exec, exec, s[66:67]
.LBB6_5269:                             ;   in Loop: Header=BB6_5067 Depth=3
	s_or_b64 exec, exec, s[28:29]
	v_and_b32_e32 v12, 0xff, v41
	v_cmp_ne_u16_e32 vcc, 0, v12
	s_and_saveexec_b64 s[28:29], vcc
	s_cbranch_execz .LBB6_5275
; %bb.5270:                             ;   in Loop: Header=BB6_5067 Depth=3
	v_cmp_ne_u16_e32 vcc, s91, v12
	v_bfrev_b32_e32 v13, 1
	s_and_saveexec_b64 s[66:67], vcc
	s_cbranch_execz .LBB6_5274
; %bb.5271:                             ;   in Loop: Header=BB6_5067 Depth=3
	v_and_b32_e32 v29, 0x7f, v41
	v_cmp_ne_u32_e32 vcc, s92, v29
	v_mov_b32_e32 v13, 0x7f800001
	s_and_saveexec_b64 s[68:69], vcc
	s_cbranch_execz .LBB6_5273
; %bb.5272:                             ;   in Loop: Header=BB6_5067 Depth=3
	v_and_b32_e32 v13, 7, v12
	v_ffbh_u32_e32 v6, v13
	v_min_u32_e32 v15, 32, v6
	v_subrev_u32_e32 v6, 28, v15
	v_lshlrev_b64 v[6:7], v6, v[12:13]
	v_lshrrev_b32_e32 v14, 3, v29
	v_sub_u32_e32 v7, 29, v15
	v_and_b32_e32 v6, 7, v6
	v_cmp_gt_u32_e32 vcc, 8, v29
	v_cndmask_b32_e32 v7, v14, v7, vcc
	v_cndmask_b32_e32 v6, v13, v6, vcc
	v_lshlrev_b32_e32 v12, 24, v41
	v_lshlrev_b32_e32 v6, 20, v6
	v_and_b32_e32 v12, 0x80000000, v12
	v_lshl_add_u32 v7, v7, 23, v31
	v_or3_b32 v13, v12, v7, v6
.LBB6_5273:                             ;   in Loop: Header=BB6_5067 Depth=3
	s_or_b64 exec, exec, s[68:69]
.LBB6_5274:                             ;   in Loop: Header=BB6_5067 Depth=3
	s_or_b64 exec, exec, s[66:67]
.LBB6_5275:                             ;   in Loop: Header=BB6_5067 Depth=3
	s_or_b64 exec, exec, s[28:29]
	v_add_f32_e32 v12, v26, v13
	v_and_b32_sdwa v29, v12, s91 dst_sel:DWORD dst_unused:UNUSED_PAD src0_sel:BYTE_3 src1_sel:DWORD
	v_and_b32_e32 v6, 0x7f800000, v12
	v_mov_b32_e32 v7, v27
	v_and_b32_e32 v26, 0x7fffff, v12
	v_or_b32_e32 v41, 0x7e, v29
	v_cmp_ne_u64_e32 vcc, s[52:53], v[6:7]
	s_and_saveexec_b64 s[28:29], vcc
	s_xor_b64 s[66:67], exec, s[28:29]
	s_cbranch_execz .LBB6_5289
; %bb.5276:                             ;   in Loop: Header=BB6_5067 Depth=3
	v_and_b32_e32 v6, 0x7fffffff, v12
	v_mov_b32_e32 v7, v27
	v_cmp_gt_u64_e32 vcc, s[54:55], v[6:7]
	s_and_saveexec_b64 s[28:29], vcc
	s_xor_b64 s[68:69], exec, s[28:29]
	s_cbranch_execz .LBB6_5288
; %bb.5277:                             ;   in Loop: Header=BB6_5067 Depth=3
	v_cmp_ne_u32_e32 vcc, 0, v12
	v_mov_b32_e32 v41, 0
	s_and_saveexec_b64 s[70:71], vcc
	s_cbranch_execz .LBB6_5287
; %bb.5278:                             ;   in Loop: Header=BB6_5067 Depth=3
	v_bfe_u32 v6, v12, 23, 8
	v_sub_u32_e32 v12, 0x79, v6
	v_cmp_gt_u32_e32 vcc, s93, v6
	v_add_u32_e32 v7, 0xffffff81, v6
	v_cndmask_b32_e32 v12, 0, v12, vcc
	v_cmp_eq_u32_e32 vcc, 0, v6
	v_mov_b32_e32 v0, 0xffffff82
	v_cndmask_b32_e32 v32, v7, v0, vcc
	v_mov_b32_e32 v0, 0x78
	v_cndmask_b32_e32 v33, v12, v0, vcc
	v_or_b32_e32 v13, 0x800000, v26
	v_add_u32_e32 v6, 20, v33
	v_cndmask_b32_e32 v26, v13, v26, vcc
	v_lshlrev_b64 v[6:7], v6, -1
	v_not_b32_e32 v6, v6
	v_lshrrev_b64 v[14:15], v33, v[26:27]
	v_not_b32_e32 v7, v7
	v_and_b32_e32 v6, v26, v6
	v_add_u32_e32 v12, 19, v33
	v_lshrrev_b32_e32 v26, 23, v14
	v_and_b32_e32 v7, 0, v7
	v_lshlrev_b64 v[12:13], v12, 1
	v_add3_u32 v51, v33, v32, v26
	v_bfe_u32 v26, v14, 20, 1
	v_add_u32_e32 v26, -1, v26
	v_cmp_eq_u64_e32 vcc, v[6:7], v[12:13]
	v_cndmask_b32_e32 v6, 0, v26, vcc
	v_add_u32_e32 v6, v6, v14
	v_and_b32_e32 v6, 0xfffff, v6
	v_add_co_u32_e32 v12, vcc, v6, v14
	v_add_u32_e32 v50, 6, v51
	v_addc_co_u32_e32 v13, vcc, 0, v15, vcc
	v_cmp_ne_u32_e32 vcc, 0, v50
                                        ; implicit-def: $vgpr26
	s_and_saveexec_b64 s[28:29], vcc
	s_xor_b64 s[28:29], exec, s[28:29]
; %bb.5279:                             ;   in Loop: Header=BB6_5067 Depth=3
	v_add_u32_e32 v6, 7, v51
	v_cmp_lt_u64_e32 vcc, s[56:57], v[12:13]
	v_cndmask_b32_e32 v26, v50, v6, vcc
	v_cndmask_b32_e64 v6, 0, 1, vcc
	v_lshrrev_b64 v[12:13], v6, v[12:13]
; %bb.5280:                             ;   in Loop: Header=BB6_5067 Depth=3
	s_andn2_saveexec_b64 s[28:29], s[28:29]
; %bb.5281:                             ;   in Loop: Header=BB6_5067 Depth=3
	v_bfe_u32 v26, v12, 23, 1
; %bb.5282:                             ;   in Loop: Header=BB6_5067 Depth=3
	s_or_b64 exec, exec, s[28:29]
	v_lshrrev_b64 v[6:7], 20, v[12:13]
	v_cmp_gt_i32_e32 vcc, 16, v26
	v_cndmask_b32_e32 v13, 0, v7, vcc
	v_cndmask_b32_e32 v12, 7, v6, vcc
	v_cmp_ne_u32_e32 vcc, 0, v26
	v_cmp_ne_u64_e64 s[28:29], 0, v[12:13]
	s_or_b64 s[28:29], vcc, s[28:29]
                                        ; implicit-def: $vgpr41
	s_and_saveexec_b64 vcc, s[28:29]
	s_xor_b64 s[28:29], exec, vcc
; %bb.5283:                             ;   in Loop: Header=BB6_5067 Depth=3
	v_min_i32_e32 v6, 15, v26
	v_lshl_or_b32 v6, v6, 3, v29
	v_and_or_b32 v41, v12, 7, v6
                                        ; implicit-def: $vgpr29
; %bb.5284:                             ;   in Loop: Header=BB6_5067 Depth=3
	s_andn2_saveexec_b64 s[28:29], s[28:29]
; %bb.5285:                             ;   in Loop: Header=BB6_5067 Depth=3
	v_mov_b32_e32 v41, v29
; %bb.5286:                             ;   in Loop: Header=BB6_5067 Depth=3
	s_or_b64 exec, exec, s[28:29]
.LBB6_5287:                             ;   in Loop: Header=BB6_5067 Depth=3
	s_or_b64 exec, exec, s[70:71]
.LBB6_5288:                             ;   in Loop: Header=BB6_5067 Depth=3
	s_andn2_saveexec_b64 s[28:29], s[68:69]
	s_or_b64 exec, exec, s[28:29]
                                        ; implicit-def: $vgpr12
.LBB6_5289:                             ;   in Loop: Header=BB6_5067 Depth=3
	s_andn2_saveexec_b64 s[28:29], s[66:67]
; %bb.5290:                             ;   in Loop: Header=BB6_5067 Depth=3
	v_or_b32_sdwa v6, v12, s92 dst_sel:DWORD dst_unused:UNUSED_PAD src0_sel:BYTE_3 src1_sel:DWORD
	v_cmp_eq_u64_e32 vcc, 0, v[26:27]
	v_cndmask_b32_e32 v41, v6, v41, vcc
; %bb.5291:                             ;   in Loop: Header=BB6_5067 Depth=3
	s_or_b64 exec, exec, s[28:29]
	v_and_b32_e32 v12, 0xff, v46
	v_cmp_ne_u16_e32 vcc, 0, v12
	v_mov_b32_e32 v13, 0
	v_mov_b32_e32 v26, 0
	s_and_saveexec_b64 s[28:29], vcc
	s_cbranch_execz .LBB6_5297
; %bb.5292:                             ;   in Loop: Header=BB6_5067 Depth=3
	v_cmp_ne_u16_e32 vcc, s91, v12
	v_bfrev_b32_e32 v26, 1
	s_and_saveexec_b64 s[66:67], vcc
	s_cbranch_execz .LBB6_5296
; %bb.5293:                             ;   in Loop: Header=BB6_5067 Depth=3
	v_and_b32_e32 v29, 0x7f, v46
	v_cmp_ne_u32_e32 vcc, s92, v29
	v_mov_b32_e32 v26, 0x7f800001
	s_and_saveexec_b64 s[68:69], vcc
	s_cbranch_execz .LBB6_5295
; %bb.5294:                             ;   in Loop: Header=BB6_5067 Depth=3
	v_and_b32_e32 v14, 7, v12
	v_ffbh_u32_e32 v6, v14
	v_min_u32_e32 v26, 32, v6
	v_subrev_u32_e32 v6, 28, v26
	v_lshlrev_b64 v[6:7], v6, v[12:13]
	v_lshrrev_b32_e32 v15, 3, v29
	v_sub_u32_e32 v7, 29, v26
	v_and_b32_e32 v6, 7, v6
	v_cmp_gt_u32_e32 vcc, 8, v29
	v_cndmask_b32_e32 v7, v15, v7, vcc
	v_cndmask_b32_e32 v6, v14, v6, vcc
	v_lshlrev_b32_e32 v12, 24, v46
	v_lshlrev_b32_e32 v6, 20, v6
	v_and_b32_e32 v12, 0x80000000, v12
	v_lshl_add_u32 v7, v7, 23, v31
	v_or3_b32 v26, v12, v7, v6
.LBB6_5295:                             ;   in Loop: Header=BB6_5067 Depth=3
	s_or_b64 exec, exec, s[68:69]
.LBB6_5296:                             ;   in Loop: Header=BB6_5067 Depth=3
	s_or_b64 exec, exec, s[66:67]
.LBB6_5297:                             ;   in Loop: Header=BB6_5067 Depth=3
	s_or_b64 exec, exec, s[28:29]
	v_and_b32_e32 v12, 0xff, v44
	v_cmp_ne_u16_e32 vcc, 0, v12
	s_and_saveexec_b64 s[28:29], vcc
	s_cbranch_execz .LBB6_5303
; %bb.5298:                             ;   in Loop: Header=BB6_5067 Depth=3
	v_cmp_ne_u16_e32 vcc, s91, v12
	v_bfrev_b32_e32 v13, 1
	s_and_saveexec_b64 s[66:67], vcc
	s_cbranch_execz .LBB6_5302
; %bb.5299:                             ;   in Loop: Header=BB6_5067 Depth=3
	v_and_b32_e32 v29, 0x7f, v44
	v_cmp_ne_u32_e32 vcc, s92, v29
	v_mov_b32_e32 v13, 0x7f800001
	s_and_saveexec_b64 s[68:69], vcc
	s_cbranch_execz .LBB6_5301
; %bb.5300:                             ;   in Loop: Header=BB6_5067 Depth=3
	v_and_b32_e32 v13, 7, v12
	v_ffbh_u32_e32 v6, v13
	v_min_u32_e32 v15, 32, v6
	v_subrev_u32_e32 v6, 28, v15
	v_lshlrev_b64 v[6:7], v6, v[12:13]
	v_lshrrev_b32_e32 v14, 3, v29
	v_sub_u32_e32 v7, 29, v15
	v_and_b32_e32 v6, 7, v6
	v_cmp_gt_u32_e32 vcc, 8, v29
	v_cndmask_b32_e32 v7, v14, v7, vcc
	v_cndmask_b32_e32 v6, v13, v6, vcc
	v_lshlrev_b32_e32 v12, 24, v44
	v_lshlrev_b32_e32 v6, 20, v6
	v_and_b32_e32 v12, 0x80000000, v12
	v_lshl_add_u32 v7, v7, 23, v31
	v_or3_b32 v13, v12, v7, v6
.LBB6_5301:                             ;   in Loop: Header=BB6_5067 Depth=3
	s_or_b64 exec, exec, s[68:69]
.LBB6_5302:                             ;   in Loop: Header=BB6_5067 Depth=3
	s_or_b64 exec, exec, s[66:67]
.LBB6_5303:                             ;   in Loop: Header=BB6_5067 Depth=3
	s_or_b64 exec, exec, s[28:29]
	v_add_f32_e32 v12, v26, v13
	v_and_b32_sdwa v29, v12, s91 dst_sel:DWORD dst_unused:UNUSED_PAD src0_sel:BYTE_3 src1_sel:DWORD
	v_and_b32_e32 v6, 0x7f800000, v12
	v_mov_b32_e32 v7, v27
	v_and_b32_e32 v26, 0x7fffff, v12
	v_or_b32_e32 v44, 0x7e, v29
	v_cmp_ne_u64_e32 vcc, s[52:53], v[6:7]
	s_and_saveexec_b64 s[28:29], vcc
	s_xor_b64 s[66:67], exec, s[28:29]
	s_cbranch_execz .LBB6_5317
; %bb.5304:                             ;   in Loop: Header=BB6_5067 Depth=3
	v_and_b32_e32 v6, 0x7fffffff, v12
	v_mov_b32_e32 v7, v27
	v_cmp_gt_u64_e32 vcc, s[54:55], v[6:7]
	s_and_saveexec_b64 s[28:29], vcc
	s_xor_b64 s[68:69], exec, s[28:29]
	s_cbranch_execz .LBB6_5316
; %bb.5305:                             ;   in Loop: Header=BB6_5067 Depth=3
	v_cmp_ne_u32_e32 vcc, 0, v12
	v_mov_b32_e32 v44, 0
	s_and_saveexec_b64 s[70:71], vcc
	s_cbranch_execz .LBB6_5315
; %bb.5306:                             ;   in Loop: Header=BB6_5067 Depth=3
	v_bfe_u32 v6, v12, 23, 8
	v_sub_u32_e32 v12, 0x79, v6
	v_cmp_gt_u32_e32 vcc, s93, v6
	v_add_u32_e32 v7, 0xffffff81, v6
	v_cndmask_b32_e32 v12, 0, v12, vcc
	v_cmp_eq_u32_e32 vcc, 0, v6
	v_mov_b32_e32 v0, 0xffffff82
	v_cndmask_b32_e32 v32, v7, v0, vcc
	v_mov_b32_e32 v0, 0x78
	v_cndmask_b32_e32 v33, v12, v0, vcc
	v_or_b32_e32 v13, 0x800000, v26
	v_add_u32_e32 v6, 20, v33
	v_cndmask_b32_e32 v26, v13, v26, vcc
	v_lshlrev_b64 v[6:7], v6, -1
	v_not_b32_e32 v6, v6
	v_lshrrev_b64 v[14:15], v33, v[26:27]
	v_not_b32_e32 v7, v7
	v_and_b32_e32 v6, v26, v6
	v_add_u32_e32 v12, 19, v33
	v_lshrrev_b32_e32 v26, 23, v14
	v_and_b32_e32 v7, 0, v7
	v_lshlrev_b64 v[12:13], v12, 1
	v_add3_u32 v51, v33, v32, v26
	v_bfe_u32 v26, v14, 20, 1
	v_add_u32_e32 v26, -1, v26
	v_cmp_eq_u64_e32 vcc, v[6:7], v[12:13]
	v_cndmask_b32_e32 v6, 0, v26, vcc
	v_add_u32_e32 v6, v6, v14
	v_and_b32_e32 v6, 0xfffff, v6
	v_add_co_u32_e32 v12, vcc, v6, v14
	v_add_u32_e32 v50, 6, v51
	v_addc_co_u32_e32 v13, vcc, 0, v15, vcc
	v_cmp_ne_u32_e32 vcc, 0, v50
                                        ; implicit-def: $vgpr26
	s_and_saveexec_b64 s[28:29], vcc
	s_xor_b64 s[28:29], exec, s[28:29]
; %bb.5307:                             ;   in Loop: Header=BB6_5067 Depth=3
	v_add_u32_e32 v6, 7, v51
	v_cmp_lt_u64_e32 vcc, s[56:57], v[12:13]
	v_cndmask_b32_e32 v26, v50, v6, vcc
	v_cndmask_b32_e64 v6, 0, 1, vcc
	v_lshrrev_b64 v[12:13], v6, v[12:13]
; %bb.5308:                             ;   in Loop: Header=BB6_5067 Depth=3
	s_andn2_saveexec_b64 s[28:29], s[28:29]
; %bb.5309:                             ;   in Loop: Header=BB6_5067 Depth=3
	v_bfe_u32 v26, v12, 23, 1
; %bb.5310:                             ;   in Loop: Header=BB6_5067 Depth=3
	s_or_b64 exec, exec, s[28:29]
	v_lshrrev_b64 v[6:7], 20, v[12:13]
	v_cmp_gt_i32_e32 vcc, 16, v26
	v_cndmask_b32_e32 v13, 0, v7, vcc
	v_cndmask_b32_e32 v12, 7, v6, vcc
	v_cmp_ne_u32_e32 vcc, 0, v26
	v_cmp_ne_u64_e64 s[28:29], 0, v[12:13]
	s_or_b64 s[28:29], vcc, s[28:29]
                                        ; implicit-def: $vgpr44
	s_and_saveexec_b64 vcc, s[28:29]
	s_xor_b64 s[28:29], exec, vcc
; %bb.5311:                             ;   in Loop: Header=BB6_5067 Depth=3
	v_min_i32_e32 v6, 15, v26
	v_lshl_or_b32 v6, v6, 3, v29
	v_and_or_b32 v44, v12, 7, v6
                                        ; implicit-def: $vgpr29
; %bb.5312:                             ;   in Loop: Header=BB6_5067 Depth=3
	s_andn2_saveexec_b64 s[28:29], s[28:29]
; %bb.5313:                             ;   in Loop: Header=BB6_5067 Depth=3
	v_mov_b32_e32 v44, v29
; %bb.5314:                             ;   in Loop: Header=BB6_5067 Depth=3
	s_or_b64 exec, exec, s[28:29]
.LBB6_5315:                             ;   in Loop: Header=BB6_5067 Depth=3
	s_or_b64 exec, exec, s[70:71]
.LBB6_5316:                             ;   in Loop: Header=BB6_5067 Depth=3
	s_andn2_saveexec_b64 s[28:29], s[68:69]
	s_or_b64 exec, exec, s[28:29]
                                        ; implicit-def: $vgpr12
.LBB6_5317:                             ;   in Loop: Header=BB6_5067 Depth=3
	s_andn2_saveexec_b64 s[28:29], s[66:67]
; %bb.5318:                             ;   in Loop: Header=BB6_5067 Depth=3
	v_or_b32_sdwa v6, v12, s92 dst_sel:DWORD dst_unused:UNUSED_PAD src0_sel:BYTE_3 src1_sel:DWORD
	v_cmp_eq_u64_e32 vcc, 0, v[26:27]
	v_cndmask_b32_e32 v44, v6, v44, vcc
; %bb.5319:                             ;   in Loop: Header=BB6_5067 Depth=3
	s_or_b64 exec, exec, s[28:29]
	v_and_b32_e32 v12, 0xff, v40
	v_cmp_ne_u16_e32 vcc, 0, v12
	v_mov_b32_e32 v13, 0
	v_mov_b32_e32 v26, 0
	s_and_saveexec_b64 s[28:29], vcc
	s_cbranch_execz .LBB6_5325
; %bb.5320:                             ;   in Loop: Header=BB6_5067 Depth=3
	v_cmp_ne_u16_e32 vcc, s91, v12
	v_bfrev_b32_e32 v26, 1
	s_and_saveexec_b64 s[66:67], vcc
	s_cbranch_execz .LBB6_5324
; %bb.5321:                             ;   in Loop: Header=BB6_5067 Depth=3
	v_and_b32_e32 v29, 0x7f, v40
	v_cmp_ne_u32_e32 vcc, s92, v29
	v_mov_b32_e32 v26, 0x7f800001
	s_and_saveexec_b64 s[68:69], vcc
	s_cbranch_execz .LBB6_5323
; %bb.5322:                             ;   in Loop: Header=BB6_5067 Depth=3
	v_and_b32_e32 v14, 7, v12
	v_ffbh_u32_e32 v6, v14
	v_min_u32_e32 v26, 32, v6
	v_subrev_u32_e32 v6, 28, v26
	v_lshlrev_b64 v[6:7], v6, v[12:13]
	v_lshrrev_b32_e32 v15, 3, v29
	v_sub_u32_e32 v7, 29, v26
	v_and_b32_e32 v6, 7, v6
	v_cmp_gt_u32_e32 vcc, 8, v29
	v_cndmask_b32_e32 v7, v15, v7, vcc
	v_cndmask_b32_e32 v6, v14, v6, vcc
	v_lshlrev_b32_e32 v12, 24, v40
	v_lshlrev_b32_e32 v6, 20, v6
	v_and_b32_e32 v12, 0x80000000, v12
	v_lshl_add_u32 v7, v7, 23, v31
	v_or3_b32 v26, v12, v7, v6
.LBB6_5323:                             ;   in Loop: Header=BB6_5067 Depth=3
	s_or_b64 exec, exec, s[68:69]
.LBB6_5324:                             ;   in Loop: Header=BB6_5067 Depth=3
	s_or_b64 exec, exec, s[66:67]
.LBB6_5325:                             ;   in Loop: Header=BB6_5067 Depth=3
	s_or_b64 exec, exec, s[28:29]
	v_and_b32_e32 v12, 0xff, v53
	v_cmp_ne_u16_e32 vcc, 0, v12
	s_and_saveexec_b64 s[28:29], vcc
	s_cbranch_execz .LBB6_5331
; %bb.5326:                             ;   in Loop: Header=BB6_5067 Depth=3
	v_cmp_ne_u16_e32 vcc, s91, v12
	v_bfrev_b32_e32 v13, 1
	s_and_saveexec_b64 s[66:67], vcc
	s_cbranch_execz .LBB6_5330
; %bb.5327:                             ;   in Loop: Header=BB6_5067 Depth=3
	v_and_b32_e32 v29, 0x7f, v53
	v_cmp_ne_u32_e32 vcc, s92, v29
	v_mov_b32_e32 v13, 0x7f800001
	s_and_saveexec_b64 s[68:69], vcc
	s_cbranch_execz .LBB6_5329
; %bb.5328:                             ;   in Loop: Header=BB6_5067 Depth=3
	v_and_b32_e32 v13, 7, v12
	v_ffbh_u32_e32 v6, v13
	v_min_u32_e32 v15, 32, v6
	v_subrev_u32_e32 v6, 28, v15
	v_lshlrev_b64 v[6:7], v6, v[12:13]
	v_lshrrev_b32_e32 v14, 3, v29
	v_sub_u32_e32 v7, 29, v15
	v_and_b32_e32 v6, 7, v6
	v_cmp_gt_u32_e32 vcc, 8, v29
	v_cndmask_b32_e32 v7, v14, v7, vcc
	v_cndmask_b32_e32 v6, v13, v6, vcc
	v_lshlrev_b32_e32 v12, 24, v53
	v_lshlrev_b32_e32 v6, 20, v6
	v_and_b32_e32 v12, 0x80000000, v12
	v_lshl_add_u32 v7, v7, 23, v31
	v_or3_b32 v13, v12, v7, v6
.LBB6_5329:                             ;   in Loop: Header=BB6_5067 Depth=3
	s_or_b64 exec, exec, s[68:69]
.LBB6_5330:                             ;   in Loop: Header=BB6_5067 Depth=3
	s_or_b64 exec, exec, s[66:67]
.LBB6_5331:                             ;   in Loop: Header=BB6_5067 Depth=3
	s_or_b64 exec, exec, s[28:29]
	v_add_f32_e32 v12, v26, v13
	v_and_b32_sdwa v29, v12, s91 dst_sel:DWORD dst_unused:UNUSED_PAD src0_sel:BYTE_3 src1_sel:DWORD
	v_and_b32_e32 v6, 0x7f800000, v12
	v_mov_b32_e32 v7, v27
	v_and_b32_e32 v26, 0x7fffff, v12
	v_or_b32_e32 v53, 0x7e, v29
	v_cmp_ne_u64_e32 vcc, s[52:53], v[6:7]
	s_and_saveexec_b64 s[28:29], vcc
	s_xor_b64 s[66:67], exec, s[28:29]
	s_cbranch_execz .LBB6_5345
; %bb.5332:                             ;   in Loop: Header=BB6_5067 Depth=3
	v_and_b32_e32 v6, 0x7fffffff, v12
	v_mov_b32_e32 v7, v27
	v_cmp_gt_u64_e32 vcc, s[54:55], v[6:7]
	s_and_saveexec_b64 s[28:29], vcc
	s_xor_b64 s[68:69], exec, s[28:29]
	s_cbranch_execz .LBB6_5344
; %bb.5333:                             ;   in Loop: Header=BB6_5067 Depth=3
	v_cmp_ne_u32_e32 vcc, 0, v12
	v_mov_b32_e32 v53, 0
	s_and_saveexec_b64 s[70:71], vcc
	s_cbranch_execz .LBB6_5343
; %bb.5334:                             ;   in Loop: Header=BB6_5067 Depth=3
	v_bfe_u32 v6, v12, 23, 8
	v_sub_u32_e32 v12, 0x79, v6
	v_cmp_gt_u32_e32 vcc, s93, v6
	v_add_u32_e32 v7, 0xffffff81, v6
	v_cndmask_b32_e32 v12, 0, v12, vcc
	v_cmp_eq_u32_e32 vcc, 0, v6
	v_mov_b32_e32 v0, 0xffffff82
	v_cndmask_b32_e32 v32, v7, v0, vcc
	v_mov_b32_e32 v0, 0x78
	v_cndmask_b32_e32 v33, v12, v0, vcc
	v_or_b32_e32 v13, 0x800000, v26
	v_add_u32_e32 v6, 20, v33
	v_cndmask_b32_e32 v26, v13, v26, vcc
	v_lshlrev_b64 v[6:7], v6, -1
	v_not_b32_e32 v6, v6
	v_lshrrev_b64 v[14:15], v33, v[26:27]
	v_not_b32_e32 v7, v7
	v_and_b32_e32 v6, v26, v6
	v_add_u32_e32 v12, 19, v33
	v_lshrrev_b32_e32 v26, 23, v14
	v_and_b32_e32 v7, 0, v7
	v_lshlrev_b64 v[12:13], v12, 1
	v_add3_u32 v51, v33, v32, v26
	v_bfe_u32 v26, v14, 20, 1
	v_add_u32_e32 v26, -1, v26
	v_cmp_eq_u64_e32 vcc, v[6:7], v[12:13]
	v_cndmask_b32_e32 v6, 0, v26, vcc
	v_add_u32_e32 v6, v6, v14
	v_and_b32_e32 v6, 0xfffff, v6
	v_add_co_u32_e32 v12, vcc, v6, v14
	v_add_u32_e32 v50, 6, v51
	v_addc_co_u32_e32 v13, vcc, 0, v15, vcc
	v_cmp_ne_u32_e32 vcc, 0, v50
                                        ; implicit-def: $vgpr26
	s_and_saveexec_b64 s[28:29], vcc
	s_xor_b64 s[28:29], exec, s[28:29]
; %bb.5335:                             ;   in Loop: Header=BB6_5067 Depth=3
	v_add_u32_e32 v6, 7, v51
	v_cmp_lt_u64_e32 vcc, s[56:57], v[12:13]
	v_cndmask_b32_e32 v26, v50, v6, vcc
	v_cndmask_b32_e64 v6, 0, 1, vcc
	v_lshrrev_b64 v[12:13], v6, v[12:13]
; %bb.5336:                             ;   in Loop: Header=BB6_5067 Depth=3
	s_andn2_saveexec_b64 s[28:29], s[28:29]
; %bb.5337:                             ;   in Loop: Header=BB6_5067 Depth=3
	v_bfe_u32 v26, v12, 23, 1
; %bb.5338:                             ;   in Loop: Header=BB6_5067 Depth=3
	s_or_b64 exec, exec, s[28:29]
	v_lshrrev_b64 v[6:7], 20, v[12:13]
	v_cmp_gt_i32_e32 vcc, 16, v26
	v_cndmask_b32_e32 v13, 0, v7, vcc
	v_cndmask_b32_e32 v12, 7, v6, vcc
	v_cmp_ne_u32_e32 vcc, 0, v26
	v_cmp_ne_u64_e64 s[28:29], 0, v[12:13]
	s_or_b64 s[28:29], vcc, s[28:29]
                                        ; implicit-def: $vgpr53
	s_and_saveexec_b64 vcc, s[28:29]
	s_xor_b64 s[28:29], exec, vcc
; %bb.5339:                             ;   in Loop: Header=BB6_5067 Depth=3
	v_min_i32_e32 v6, 15, v26
	v_lshl_or_b32 v6, v6, 3, v29
	v_and_or_b32 v53, v12, 7, v6
                                        ; implicit-def: $vgpr29
; %bb.5340:                             ;   in Loop: Header=BB6_5067 Depth=3
	s_andn2_saveexec_b64 s[28:29], s[28:29]
; %bb.5341:                             ;   in Loop: Header=BB6_5067 Depth=3
	v_mov_b32_e32 v53, v29
; %bb.5342:                             ;   in Loop: Header=BB6_5067 Depth=3
	s_or_b64 exec, exec, s[28:29]
.LBB6_5343:                             ;   in Loop: Header=BB6_5067 Depth=3
	s_or_b64 exec, exec, s[70:71]
.LBB6_5344:                             ;   in Loop: Header=BB6_5067 Depth=3
	s_andn2_saveexec_b64 s[28:29], s[68:69]
	s_or_b64 exec, exec, s[28:29]
                                        ; implicit-def: $vgpr12
.LBB6_5345:                             ;   in Loop: Header=BB6_5067 Depth=3
	s_andn2_saveexec_b64 s[28:29], s[66:67]
; %bb.5346:                             ;   in Loop: Header=BB6_5067 Depth=3
	v_or_b32_sdwa v6, v12, s92 dst_sel:DWORD dst_unused:UNUSED_PAD src0_sel:BYTE_3 src1_sel:DWORD
	v_cmp_eq_u64_e32 vcc, 0, v[26:27]
	v_cndmask_b32_e32 v53, v6, v53, vcc
; %bb.5347:                             ;   in Loop: Header=BB6_5067 Depth=3
	s_or_b64 exec, exec, s[28:29]
	v_and_b32_e32 v12, 0xff, v39
	v_cmp_ne_u16_e32 vcc, 0, v12
	v_mov_b32_e32 v13, 0
	v_mov_b32_e32 v26, 0
	s_and_saveexec_b64 s[28:29], vcc
	s_cbranch_execz .LBB6_5353
; %bb.5348:                             ;   in Loop: Header=BB6_5067 Depth=3
	v_cmp_ne_u16_e32 vcc, s91, v12
	v_bfrev_b32_e32 v26, 1
	s_and_saveexec_b64 s[66:67], vcc
	s_cbranch_execz .LBB6_5352
; %bb.5349:                             ;   in Loop: Header=BB6_5067 Depth=3
	v_and_b32_e32 v29, 0x7f, v39
	v_cmp_ne_u32_e32 vcc, s92, v29
	v_mov_b32_e32 v26, 0x7f800001
	s_and_saveexec_b64 s[68:69], vcc
	s_cbranch_execz .LBB6_5351
; %bb.5350:                             ;   in Loop: Header=BB6_5067 Depth=3
	v_and_b32_e32 v14, 7, v12
	v_ffbh_u32_e32 v6, v14
	v_min_u32_e32 v26, 32, v6
	v_subrev_u32_e32 v6, 28, v26
	v_lshlrev_b64 v[6:7], v6, v[12:13]
	v_lshrrev_b32_e32 v15, 3, v29
	v_sub_u32_e32 v7, 29, v26
	v_and_b32_e32 v6, 7, v6
	v_cmp_gt_u32_e32 vcc, 8, v29
	v_cndmask_b32_e32 v7, v15, v7, vcc
	v_cndmask_b32_e32 v6, v14, v6, vcc
	v_lshlrev_b32_e32 v12, 24, v39
	v_lshlrev_b32_e32 v6, 20, v6
	v_and_b32_e32 v12, 0x80000000, v12
	v_lshl_add_u32 v7, v7, 23, v31
	v_or3_b32 v26, v12, v7, v6
.LBB6_5351:                             ;   in Loop: Header=BB6_5067 Depth=3
	s_or_b64 exec, exec, s[68:69]
.LBB6_5352:                             ;   in Loop: Header=BB6_5067 Depth=3
	s_or_b64 exec, exec, s[66:67]
.LBB6_5353:                             ;   in Loop: Header=BB6_5067 Depth=3
	s_or_b64 exec, exec, s[28:29]
	v_and_b32_e32 v12, 0xff, v38
	v_cmp_ne_u16_e32 vcc, 0, v12
	s_and_saveexec_b64 s[28:29], vcc
	s_cbranch_execz .LBB6_5359
; %bb.5354:                             ;   in Loop: Header=BB6_5067 Depth=3
	v_cmp_ne_u16_e32 vcc, s91, v12
	v_bfrev_b32_e32 v13, 1
	s_and_saveexec_b64 s[66:67], vcc
	s_cbranch_execz .LBB6_5358
; %bb.5355:                             ;   in Loop: Header=BB6_5067 Depth=3
	v_and_b32_e32 v29, 0x7f, v38
	v_cmp_ne_u32_e32 vcc, s92, v29
	v_mov_b32_e32 v13, 0x7f800001
	s_and_saveexec_b64 s[68:69], vcc
	s_cbranch_execz .LBB6_5357
; %bb.5356:                             ;   in Loop: Header=BB6_5067 Depth=3
	v_and_b32_e32 v13, 7, v12
	v_ffbh_u32_e32 v6, v13
	v_min_u32_e32 v15, 32, v6
	v_subrev_u32_e32 v6, 28, v15
	v_lshlrev_b64 v[6:7], v6, v[12:13]
	v_lshrrev_b32_e32 v14, 3, v29
	v_sub_u32_e32 v7, 29, v15
	v_and_b32_e32 v6, 7, v6
	v_cmp_gt_u32_e32 vcc, 8, v29
	v_cndmask_b32_e32 v7, v14, v7, vcc
	v_cndmask_b32_e32 v6, v13, v6, vcc
	v_lshlrev_b32_e32 v12, 24, v38
	v_lshlrev_b32_e32 v6, 20, v6
	v_and_b32_e32 v12, 0x80000000, v12
	v_lshl_add_u32 v7, v7, 23, v31
	v_or3_b32 v13, v12, v7, v6
.LBB6_5357:                             ;   in Loop: Header=BB6_5067 Depth=3
	s_or_b64 exec, exec, s[68:69]
.LBB6_5358:                             ;   in Loop: Header=BB6_5067 Depth=3
	s_or_b64 exec, exec, s[66:67]
.LBB6_5359:                             ;   in Loop: Header=BB6_5067 Depth=3
	s_or_b64 exec, exec, s[28:29]
	v_add_f32_e32 v12, v26, v13
	v_and_b32_sdwa v29, v12, s91 dst_sel:DWORD dst_unused:UNUSED_PAD src0_sel:BYTE_3 src1_sel:DWORD
	v_and_b32_e32 v6, 0x7f800000, v12
	v_mov_b32_e32 v7, v27
	v_and_b32_e32 v26, 0x7fffff, v12
	v_or_b32_e32 v38, 0x7e, v29
	v_cmp_ne_u64_e32 vcc, s[52:53], v[6:7]
	s_and_saveexec_b64 s[28:29], vcc
	s_xor_b64 s[66:67], exec, s[28:29]
	s_cbranch_execz .LBB6_5373
; %bb.5360:                             ;   in Loop: Header=BB6_5067 Depth=3
	v_and_b32_e32 v6, 0x7fffffff, v12
	v_mov_b32_e32 v7, v27
	v_cmp_gt_u64_e32 vcc, s[54:55], v[6:7]
	s_and_saveexec_b64 s[28:29], vcc
	s_xor_b64 s[68:69], exec, s[28:29]
	s_cbranch_execz .LBB6_5372
; %bb.5361:                             ;   in Loop: Header=BB6_5067 Depth=3
	v_cmp_ne_u32_e32 vcc, 0, v12
	v_mov_b32_e32 v38, 0
	s_and_saveexec_b64 s[70:71], vcc
	s_cbranch_execz .LBB6_5371
; %bb.5362:                             ;   in Loop: Header=BB6_5067 Depth=3
	v_bfe_u32 v6, v12, 23, 8
	v_sub_u32_e32 v12, 0x79, v6
	v_cmp_gt_u32_e32 vcc, s93, v6
	v_add_u32_e32 v7, 0xffffff81, v6
	v_cndmask_b32_e32 v12, 0, v12, vcc
	v_cmp_eq_u32_e32 vcc, 0, v6
	v_mov_b32_e32 v0, 0xffffff82
	v_cndmask_b32_e32 v32, v7, v0, vcc
	v_mov_b32_e32 v0, 0x78
	v_cndmask_b32_e32 v33, v12, v0, vcc
	v_or_b32_e32 v13, 0x800000, v26
	v_add_u32_e32 v6, 20, v33
	v_cndmask_b32_e32 v26, v13, v26, vcc
	v_lshlrev_b64 v[6:7], v6, -1
	v_not_b32_e32 v6, v6
	v_lshrrev_b64 v[14:15], v33, v[26:27]
	v_not_b32_e32 v7, v7
	v_and_b32_e32 v6, v26, v6
	v_add_u32_e32 v12, 19, v33
	v_lshrrev_b32_e32 v26, 23, v14
	v_and_b32_e32 v7, 0, v7
	v_lshlrev_b64 v[12:13], v12, 1
	v_add3_u32 v39, v33, v32, v26
	v_bfe_u32 v26, v14, 20, 1
	v_add_u32_e32 v26, -1, v26
	v_cmp_eq_u64_e32 vcc, v[6:7], v[12:13]
	v_cndmask_b32_e32 v6, 0, v26, vcc
	v_add_u32_e32 v6, v6, v14
	v_and_b32_e32 v6, 0xfffff, v6
	v_add_co_u32_e32 v12, vcc, v6, v14
	v_add_u32_e32 v38, 6, v39
	v_addc_co_u32_e32 v13, vcc, 0, v15, vcc
	v_cmp_ne_u32_e32 vcc, 0, v38
                                        ; implicit-def: $vgpr26
	s_and_saveexec_b64 s[28:29], vcc
	s_xor_b64 s[28:29], exec, s[28:29]
; %bb.5363:                             ;   in Loop: Header=BB6_5067 Depth=3
	v_add_u32_e32 v6, 7, v39
	v_cmp_lt_u64_e32 vcc, s[56:57], v[12:13]
	v_cndmask_b32_e32 v26, v38, v6, vcc
	v_cndmask_b32_e64 v6, 0, 1, vcc
	v_lshrrev_b64 v[12:13], v6, v[12:13]
; %bb.5364:                             ;   in Loop: Header=BB6_5067 Depth=3
	s_andn2_saveexec_b64 s[28:29], s[28:29]
; %bb.5365:                             ;   in Loop: Header=BB6_5067 Depth=3
	v_bfe_u32 v26, v12, 23, 1
; %bb.5366:                             ;   in Loop: Header=BB6_5067 Depth=3
	s_or_b64 exec, exec, s[28:29]
	v_lshrrev_b64 v[6:7], 20, v[12:13]
	v_cmp_gt_i32_e32 vcc, 16, v26
	v_cndmask_b32_e32 v13, 0, v7, vcc
	v_cndmask_b32_e32 v12, 7, v6, vcc
	v_cmp_ne_u32_e32 vcc, 0, v26
	v_cmp_ne_u64_e64 s[28:29], 0, v[12:13]
	s_or_b64 s[28:29], vcc, s[28:29]
                                        ; implicit-def: $vgpr38
	s_and_saveexec_b64 vcc, s[28:29]
	s_xor_b64 s[28:29], exec, vcc
; %bb.5367:                             ;   in Loop: Header=BB6_5067 Depth=3
	v_min_i32_e32 v6, 15, v26
	v_lshl_or_b32 v6, v6, 3, v29
	v_and_or_b32 v38, v12, 7, v6
                                        ; implicit-def: $vgpr29
; %bb.5368:                             ;   in Loop: Header=BB6_5067 Depth=3
	s_andn2_saveexec_b64 s[28:29], s[28:29]
; %bb.5369:                             ;   in Loop: Header=BB6_5067 Depth=3
	v_mov_b32_e32 v38, v29
; %bb.5370:                             ;   in Loop: Header=BB6_5067 Depth=3
	s_or_b64 exec, exec, s[28:29]
.LBB6_5371:                             ;   in Loop: Header=BB6_5067 Depth=3
	s_or_b64 exec, exec, s[70:71]
.LBB6_5372:                             ;   in Loop: Header=BB6_5067 Depth=3
	s_andn2_saveexec_b64 s[28:29], s[68:69]
	s_or_b64 exec, exec, s[28:29]
                                        ; implicit-def: $vgpr12
.LBB6_5373:                             ;   in Loop: Header=BB6_5067 Depth=3
	s_andn2_saveexec_b64 s[28:29], s[66:67]
; %bb.5374:                             ;   in Loop: Header=BB6_5067 Depth=3
	v_or_b32_sdwa v6, v12, s92 dst_sel:DWORD dst_unused:UNUSED_PAD src0_sel:BYTE_3 src1_sel:DWORD
	v_cmp_eq_u64_e32 vcc, 0, v[26:27]
	v_cndmask_b32_e32 v38, v6, v38, vcc
; %bb.5375:                             ;   in Loop: Header=BB6_5067 Depth=3
	s_or_b64 exec, exec, s[28:29]
	v_and_b32_e32 v12, 0xff, v36
	v_cmp_ne_u16_e32 vcc, 0, v12
	v_mov_b32_e32 v13, 0
	v_mov_b32_e32 v26, 0
	s_and_saveexec_b64 s[28:29], vcc
	s_cbranch_execz .LBB6_5381
; %bb.5376:                             ;   in Loop: Header=BB6_5067 Depth=3
	v_cmp_ne_u16_e32 vcc, s91, v12
	v_bfrev_b32_e32 v26, 1
	s_and_saveexec_b64 s[66:67], vcc
	s_cbranch_execz .LBB6_5380
; %bb.5377:                             ;   in Loop: Header=BB6_5067 Depth=3
	v_and_b32_e32 v29, 0x7f, v36
	v_cmp_ne_u32_e32 vcc, s92, v29
	v_mov_b32_e32 v26, 0x7f800001
	s_and_saveexec_b64 s[68:69], vcc
	s_cbranch_execz .LBB6_5379
; %bb.5378:                             ;   in Loop: Header=BB6_5067 Depth=3
	v_and_b32_e32 v14, 7, v12
	v_ffbh_u32_e32 v6, v14
	v_min_u32_e32 v26, 32, v6
	v_subrev_u32_e32 v6, 28, v26
	v_lshlrev_b64 v[6:7], v6, v[12:13]
	v_lshrrev_b32_e32 v15, 3, v29
	v_sub_u32_e32 v7, 29, v26
	v_and_b32_e32 v6, 7, v6
	v_cmp_gt_u32_e32 vcc, 8, v29
	v_cndmask_b32_e32 v7, v15, v7, vcc
	v_cndmask_b32_e32 v6, v14, v6, vcc
	v_lshlrev_b32_e32 v12, 24, v36
	v_lshlrev_b32_e32 v6, 20, v6
	v_and_b32_e32 v12, 0x80000000, v12
	v_lshl_add_u32 v7, v7, 23, v31
	v_or3_b32 v26, v12, v7, v6
.LBB6_5379:                             ;   in Loop: Header=BB6_5067 Depth=3
	s_or_b64 exec, exec, s[68:69]
.LBB6_5380:                             ;   in Loop: Header=BB6_5067 Depth=3
	s_or_b64 exec, exec, s[66:67]
.LBB6_5381:                             ;   in Loop: Header=BB6_5067 Depth=3
	s_or_b64 exec, exec, s[28:29]
	v_and_b32_e32 v12, 0xff, v30
	v_cmp_ne_u16_e32 vcc, 0, v12
	s_and_saveexec_b64 s[28:29], vcc
	s_cbranch_execz .LBB6_5387
; %bb.5382:                             ;   in Loop: Header=BB6_5067 Depth=3
	v_cmp_ne_u16_e32 vcc, s91, v12
	v_bfrev_b32_e32 v13, 1
	s_and_saveexec_b64 s[66:67], vcc
	s_cbranch_execz .LBB6_5386
; %bb.5383:                             ;   in Loop: Header=BB6_5067 Depth=3
	v_and_b32_e32 v29, 0x7f, v30
	v_cmp_ne_u32_e32 vcc, s92, v29
	v_mov_b32_e32 v13, 0x7f800001
	s_and_saveexec_b64 s[68:69], vcc
	s_cbranch_execz .LBB6_5385
; %bb.5384:                             ;   in Loop: Header=BB6_5067 Depth=3
	v_and_b32_e32 v13, 7, v12
	v_ffbh_u32_e32 v6, v13
	v_min_u32_e32 v15, 32, v6
	v_subrev_u32_e32 v6, 28, v15
	v_lshlrev_b64 v[6:7], v6, v[12:13]
	v_lshrrev_b32_e32 v14, 3, v29
	v_sub_u32_e32 v7, 29, v15
	v_and_b32_e32 v6, 7, v6
	v_cmp_gt_u32_e32 vcc, 8, v29
	v_cndmask_b32_e32 v7, v14, v7, vcc
	v_cndmask_b32_e32 v6, v13, v6, vcc
	v_lshlrev_b32_e32 v12, 24, v30
	v_lshlrev_b32_e32 v6, 20, v6
	v_and_b32_e32 v12, 0x80000000, v12
	v_lshl_add_u32 v7, v7, 23, v31
	v_or3_b32 v13, v12, v7, v6
.LBB6_5385:                             ;   in Loop: Header=BB6_5067 Depth=3
	s_or_b64 exec, exec, s[68:69]
.LBB6_5386:                             ;   in Loop: Header=BB6_5067 Depth=3
	s_or_b64 exec, exec, s[66:67]
.LBB6_5387:                             ;   in Loop: Header=BB6_5067 Depth=3
	s_or_b64 exec, exec, s[28:29]
	v_add_f32_e32 v12, v26, v13
	v_and_b32_sdwa v29, v12, s91 dst_sel:DWORD dst_unused:UNUSED_PAD src0_sel:BYTE_3 src1_sel:DWORD
	v_and_b32_e32 v6, 0x7f800000, v12
	v_mov_b32_e32 v7, v27
	v_and_b32_e32 v26, 0x7fffff, v12
	v_or_b32_e32 v30, 0x7e, v29
	v_cmp_ne_u64_e32 vcc, s[52:53], v[6:7]
	s_and_saveexec_b64 s[28:29], vcc
	s_xor_b64 s[66:67], exec, s[28:29]
	s_cbranch_execz .LBB6_5401
; %bb.5388:                             ;   in Loop: Header=BB6_5067 Depth=3
	v_and_b32_e32 v6, 0x7fffffff, v12
	v_mov_b32_e32 v7, v27
	v_cmp_gt_u64_e32 vcc, s[54:55], v[6:7]
	s_and_saveexec_b64 s[28:29], vcc
	s_xor_b64 s[68:69], exec, s[28:29]
	s_cbranch_execz .LBB6_5400
; %bb.5389:                             ;   in Loop: Header=BB6_5067 Depth=3
	v_cmp_ne_u32_e32 vcc, 0, v12
	v_mov_b32_e32 v30, 0
	s_and_saveexec_b64 s[70:71], vcc
	s_cbranch_execz .LBB6_5399
; %bb.5390:                             ;   in Loop: Header=BB6_5067 Depth=3
	v_bfe_u32 v6, v12, 23, 8
	v_sub_u32_e32 v12, 0x79, v6
	v_cmp_gt_u32_e32 vcc, s93, v6
	v_add_u32_e32 v7, 0xffffff81, v6
	v_cndmask_b32_e32 v12, 0, v12, vcc
	v_cmp_eq_u32_e32 vcc, 0, v6
	v_mov_b32_e32 v0, 0xffffff82
	v_cndmask_b32_e32 v30, v7, v0, vcc
	v_mov_b32_e32 v0, 0x78
	v_cndmask_b32_e32 v32, v12, v0, vcc
	v_or_b32_e32 v13, 0x800000, v26
	v_add_u32_e32 v6, 20, v32
	v_cndmask_b32_e32 v26, v13, v26, vcc
	v_lshlrev_b64 v[6:7], v6, -1
	v_not_b32_e32 v6, v6
	v_lshrrev_b64 v[14:15], v32, v[26:27]
	v_not_b32_e32 v7, v7
	v_and_b32_e32 v6, v26, v6
	v_add_u32_e32 v12, 19, v32
	v_lshrrev_b32_e32 v26, 23, v14
	v_and_b32_e32 v7, 0, v7
	v_lshlrev_b64 v[12:13], v12, 1
	v_add3_u32 v36, v32, v30, v26
	v_bfe_u32 v26, v14, 20, 1
	v_add_u32_e32 v26, -1, v26
	v_cmp_eq_u64_e32 vcc, v[6:7], v[12:13]
	v_cndmask_b32_e32 v6, 0, v26, vcc
	v_add_u32_e32 v6, v6, v14
	v_and_b32_e32 v6, 0xfffff, v6
	v_add_co_u32_e32 v12, vcc, v6, v14
	v_add_u32_e32 v30, 6, v36
	v_addc_co_u32_e32 v13, vcc, 0, v15, vcc
	v_cmp_ne_u32_e32 vcc, 0, v30
                                        ; implicit-def: $vgpr26
	s_and_saveexec_b64 s[28:29], vcc
	s_xor_b64 s[28:29], exec, s[28:29]
; %bb.5391:                             ;   in Loop: Header=BB6_5067 Depth=3
	v_add_u32_e32 v6, 7, v36
	v_cmp_lt_u64_e32 vcc, s[56:57], v[12:13]
	v_cndmask_b32_e32 v26, v30, v6, vcc
	v_cndmask_b32_e64 v6, 0, 1, vcc
	v_lshrrev_b64 v[12:13], v6, v[12:13]
; %bb.5392:                             ;   in Loop: Header=BB6_5067 Depth=3
	s_andn2_saveexec_b64 s[28:29], s[28:29]
; %bb.5393:                             ;   in Loop: Header=BB6_5067 Depth=3
	v_bfe_u32 v26, v12, 23, 1
; %bb.5394:                             ;   in Loop: Header=BB6_5067 Depth=3
	s_or_b64 exec, exec, s[28:29]
	v_lshrrev_b64 v[6:7], 20, v[12:13]
	v_cmp_gt_i32_e32 vcc, 16, v26
	v_cndmask_b32_e32 v13, 0, v7, vcc
	v_cndmask_b32_e32 v12, 7, v6, vcc
	v_cmp_ne_u32_e32 vcc, 0, v26
	v_cmp_ne_u64_e64 s[28:29], 0, v[12:13]
	s_or_b64 s[28:29], vcc, s[28:29]
                                        ; implicit-def: $vgpr30
	s_and_saveexec_b64 vcc, s[28:29]
	s_xor_b64 s[28:29], exec, vcc
; %bb.5395:                             ;   in Loop: Header=BB6_5067 Depth=3
	v_min_i32_e32 v6, 15, v26
	v_lshl_or_b32 v6, v6, 3, v29
	v_and_or_b32 v30, v12, 7, v6
                                        ; implicit-def: $vgpr29
; %bb.5396:                             ;   in Loop: Header=BB6_5067 Depth=3
	s_andn2_saveexec_b64 s[28:29], s[28:29]
; %bb.5397:                             ;   in Loop: Header=BB6_5067 Depth=3
	v_mov_b32_e32 v30, v29
; %bb.5398:                             ;   in Loop: Header=BB6_5067 Depth=3
	s_or_b64 exec, exec, s[28:29]
.LBB6_5399:                             ;   in Loop: Header=BB6_5067 Depth=3
	s_or_b64 exec, exec, s[70:71]
.LBB6_5400:                             ;   in Loop: Header=BB6_5067 Depth=3
	s_andn2_saveexec_b64 s[28:29], s[68:69]
	s_or_b64 exec, exec, s[28:29]
                                        ; implicit-def: $vgpr12
.LBB6_5401:                             ;   in Loop: Header=BB6_5067 Depth=3
	s_andn2_saveexec_b64 s[28:29], s[66:67]
; %bb.5402:                             ;   in Loop: Header=BB6_5067 Depth=3
	v_or_b32_sdwa v6, v12, s92 dst_sel:DWORD dst_unused:UNUSED_PAD src0_sel:BYTE_3 src1_sel:DWORD
	v_cmp_eq_u64_e32 vcc, 0, v[26:27]
	v_cndmask_b32_e32 v30, v6, v30, vcc
; %bb.5403:                             ;   in Loop: Header=BB6_5067 Depth=3
	s_or_b64 exec, exec, s[28:29]
	v_and_b32_e32 v12, 0xff, v25
	v_cmp_ne_u16_e32 vcc, 0, v12
	v_mov_b32_e32 v13, 0
	v_mov_b32_e32 v26, 0
	s_and_saveexec_b64 s[28:29], vcc
	s_cbranch_execz .LBB6_5409
; %bb.5404:                             ;   in Loop: Header=BB6_5067 Depth=3
	v_cmp_ne_u16_e32 vcc, s91, v12
	v_bfrev_b32_e32 v26, 1
	s_and_saveexec_b64 s[66:67], vcc
	s_cbranch_execz .LBB6_5408
; %bb.5405:                             ;   in Loop: Header=BB6_5067 Depth=3
	v_and_b32_e32 v29, 0x7f, v25
	v_cmp_ne_u32_e32 vcc, s92, v29
	v_mov_b32_e32 v26, 0x7f800001
	s_and_saveexec_b64 s[68:69], vcc
	s_cbranch_execz .LBB6_5407
; %bb.5406:                             ;   in Loop: Header=BB6_5067 Depth=3
	v_and_b32_e32 v14, 7, v12
	v_ffbh_u32_e32 v6, v14
	v_min_u32_e32 v26, 32, v6
	v_subrev_u32_e32 v6, 28, v26
	v_lshlrev_b64 v[6:7], v6, v[12:13]
	v_lshrrev_b32_e32 v15, 3, v29
	v_sub_u32_e32 v7, 29, v26
	v_and_b32_e32 v6, 7, v6
	v_cmp_gt_u32_e32 vcc, 8, v29
	v_cndmask_b32_e32 v7, v15, v7, vcc
	v_cndmask_b32_e32 v6, v14, v6, vcc
	v_lshlrev_b32_e32 v12, 24, v25
	v_lshlrev_b32_e32 v6, 20, v6
	v_and_b32_e32 v12, 0x80000000, v12
	v_lshl_add_u32 v7, v7, 23, v31
	v_or3_b32 v26, v12, v7, v6
.LBB6_5407:                             ;   in Loop: Header=BB6_5067 Depth=3
	s_or_b64 exec, exec, s[68:69]
.LBB6_5408:                             ;   in Loop: Header=BB6_5067 Depth=3
	s_or_b64 exec, exec, s[66:67]
.LBB6_5409:                             ;   in Loop: Header=BB6_5067 Depth=3
	s_or_b64 exec, exec, s[28:29]
	v_and_b32_e32 v12, 0xff, v24
	v_cmp_ne_u16_e32 vcc, 0, v12
	s_and_saveexec_b64 s[28:29], vcc
	s_cbranch_execz .LBB6_5415
; %bb.5410:                             ;   in Loop: Header=BB6_5067 Depth=3
	v_cmp_ne_u16_e32 vcc, s91, v12
	v_bfrev_b32_e32 v13, 1
	s_and_saveexec_b64 s[66:67], vcc
	s_cbranch_execz .LBB6_5414
; %bb.5411:                             ;   in Loop: Header=BB6_5067 Depth=3
	v_and_b32_e32 v25, 0x7f, v24
	v_cmp_ne_u32_e32 vcc, s92, v25
	v_mov_b32_e32 v13, 0x7f800001
	s_and_saveexec_b64 s[68:69], vcc
	s_cbranch_execz .LBB6_5413
; %bb.5412:                             ;   in Loop: Header=BB6_5067 Depth=3
	v_and_b32_e32 v13, 7, v12
	v_ffbh_u32_e32 v6, v13
	v_min_u32_e32 v15, 32, v6
	v_subrev_u32_e32 v6, 28, v15
	v_lshlrev_b64 v[6:7], v6, v[12:13]
	v_lshrrev_b32_e32 v14, 3, v25
	v_sub_u32_e32 v7, 29, v15
	v_and_b32_e32 v6, 7, v6
	v_cmp_gt_u32_e32 vcc, 8, v25
	v_cndmask_b32_e32 v7, v14, v7, vcc
	v_cndmask_b32_e32 v6, v13, v6, vcc
	v_lshlrev_b32_e32 v12, 24, v24
	v_lshlrev_b32_e32 v6, 20, v6
	v_and_b32_e32 v12, 0x80000000, v12
	v_lshl_add_u32 v7, v7, 23, v31
	v_or3_b32 v13, v12, v7, v6
.LBB6_5413:                             ;   in Loop: Header=BB6_5067 Depth=3
	s_or_b64 exec, exec, s[68:69]
.LBB6_5414:                             ;   in Loop: Header=BB6_5067 Depth=3
	s_or_b64 exec, exec, s[66:67]
.LBB6_5415:                             ;   in Loop: Header=BB6_5067 Depth=3
	s_or_b64 exec, exec, s[28:29]
	v_add_f32_e32 v12, v26, v13
	v_and_b32_sdwa v25, v12, s91 dst_sel:DWORD dst_unused:UNUSED_PAD src0_sel:BYTE_3 src1_sel:DWORD
	v_and_b32_e32 v6, 0x7f800000, v12
	v_mov_b32_e32 v7, v27
	v_and_b32_e32 v26, 0x7fffff, v12
	v_or_b32_e32 v24, 0x7e, v25
	v_cmp_ne_u64_e32 vcc, s[52:53], v[6:7]
	s_and_saveexec_b64 s[28:29], vcc
	s_xor_b64 s[66:67], exec, s[28:29]
	s_cbranch_execz .LBB6_5429
; %bb.5416:                             ;   in Loop: Header=BB6_5067 Depth=3
	v_and_b32_e32 v6, 0x7fffffff, v12
	v_mov_b32_e32 v7, v27
	v_cmp_gt_u64_e32 vcc, s[54:55], v[6:7]
	s_and_saveexec_b64 s[28:29], vcc
	s_xor_b64 s[68:69], exec, s[28:29]
	s_cbranch_execz .LBB6_5428
; %bb.5417:                             ;   in Loop: Header=BB6_5067 Depth=3
	v_cmp_ne_u32_e32 vcc, 0, v12
	v_mov_b32_e32 v24, 0
	s_and_saveexec_b64 s[70:71], vcc
	s_cbranch_execz .LBB6_5427
; %bb.5418:                             ;   in Loop: Header=BB6_5067 Depth=3
	v_bfe_u32 v6, v12, 23, 8
	v_sub_u32_e32 v12, 0x79, v6
	v_cmp_gt_u32_e32 vcc, s93, v6
	v_add_u32_e32 v7, 0xffffff81, v6
	v_cndmask_b32_e32 v12, 0, v12, vcc
	v_cmp_eq_u32_e32 vcc, 0, v6
	v_mov_b32_e32 v0, 0xffffff82
	v_cndmask_b32_e32 v24, v7, v0, vcc
	v_mov_b32_e32 v0, 0x78
	v_cndmask_b32_e32 v29, v12, v0, vcc
	v_or_b32_e32 v13, 0x800000, v26
	v_add_u32_e32 v6, 20, v29
	v_cndmask_b32_e32 v26, v13, v26, vcc
	v_lshlrev_b64 v[6:7], v6, -1
	v_not_b32_e32 v6, v6
	v_lshrrev_b64 v[14:15], v29, v[26:27]
	v_not_b32_e32 v7, v7
	v_and_b32_e32 v6, v26, v6
	v_add_u32_e32 v12, 19, v29
	v_lshrrev_b32_e32 v26, 23, v14
	v_and_b32_e32 v7, 0, v7
	v_lshlrev_b64 v[12:13], v12, 1
	v_add3_u32 v29, v29, v24, v26
	v_bfe_u32 v26, v14, 20, 1
	v_add_u32_e32 v26, -1, v26
	v_cmp_eq_u64_e32 vcc, v[6:7], v[12:13]
	v_cndmask_b32_e32 v6, 0, v26, vcc
	v_add_u32_e32 v6, v6, v14
	v_and_b32_e32 v6, 0xfffff, v6
	v_add_co_u32_e32 v12, vcc, v6, v14
	v_add_u32_e32 v24, 6, v29
	v_addc_co_u32_e32 v13, vcc, 0, v15, vcc
	v_cmp_ne_u32_e32 vcc, 0, v24
                                        ; implicit-def: $vgpr26
	s_and_saveexec_b64 s[28:29], vcc
	s_xor_b64 s[28:29], exec, s[28:29]
; %bb.5419:                             ;   in Loop: Header=BB6_5067 Depth=3
	v_add_u32_e32 v6, 7, v29
	v_cmp_lt_u64_e32 vcc, s[56:57], v[12:13]
	v_cndmask_b32_e32 v26, v24, v6, vcc
	v_cndmask_b32_e64 v6, 0, 1, vcc
	v_lshrrev_b64 v[12:13], v6, v[12:13]
; %bb.5420:                             ;   in Loop: Header=BB6_5067 Depth=3
	s_andn2_saveexec_b64 s[28:29], s[28:29]
; %bb.5421:                             ;   in Loop: Header=BB6_5067 Depth=3
	v_bfe_u32 v26, v12, 23, 1
; %bb.5422:                             ;   in Loop: Header=BB6_5067 Depth=3
	s_or_b64 exec, exec, s[28:29]
	v_lshrrev_b64 v[6:7], 20, v[12:13]
	v_cmp_gt_i32_e32 vcc, 16, v26
	v_cndmask_b32_e32 v13, 0, v7, vcc
	v_cndmask_b32_e32 v12, 7, v6, vcc
	v_cmp_ne_u32_e32 vcc, 0, v26
	v_cmp_ne_u64_e64 s[28:29], 0, v[12:13]
	s_or_b64 s[28:29], vcc, s[28:29]
                                        ; implicit-def: $vgpr24
	s_and_saveexec_b64 vcc, s[28:29]
	s_xor_b64 s[28:29], exec, vcc
; %bb.5423:                             ;   in Loop: Header=BB6_5067 Depth=3
	v_min_i32_e32 v6, 15, v26
	v_lshl_or_b32 v6, v6, 3, v25
	v_and_or_b32 v24, v12, 7, v6
                                        ; implicit-def: $vgpr25
; %bb.5424:                             ;   in Loop: Header=BB6_5067 Depth=3
	s_andn2_saveexec_b64 s[28:29], s[28:29]
; %bb.5425:                             ;   in Loop: Header=BB6_5067 Depth=3
	v_mov_b32_e32 v24, v25
; %bb.5426:                             ;   in Loop: Header=BB6_5067 Depth=3
	s_or_b64 exec, exec, s[28:29]
.LBB6_5427:                             ;   in Loop: Header=BB6_5067 Depth=3
	s_or_b64 exec, exec, s[70:71]
.LBB6_5428:                             ;   in Loop: Header=BB6_5067 Depth=3
	s_andn2_saveexec_b64 s[28:29], s[68:69]
	s_or_b64 exec, exec, s[28:29]
                                        ; implicit-def: $vgpr12
.LBB6_5429:                             ;   in Loop: Header=BB6_5067 Depth=3
	s_andn2_saveexec_b64 s[28:29], s[66:67]
; %bb.5430:                             ;   in Loop: Header=BB6_5067 Depth=3
	v_or_b32_sdwa v6, v12, s92 dst_sel:DWORD dst_unused:UNUSED_PAD src0_sel:BYTE_3 src1_sel:DWORD
	v_cmp_eq_u64_e32 vcc, 0, v[26:27]
	v_cndmask_b32_e32 v24, v6, v24, vcc
; %bb.5431:                             ;   in Loop: Header=BB6_5067 Depth=3
	s_or_b64 exec, exec, s[28:29]
	v_and_b32_e32 v12, 0xff, v22
	v_cmp_ne_u16_e32 vcc, 0, v12
	v_mov_b32_e32 v13, 0
	v_mov_b32_e32 v25, 0
	s_and_saveexec_b64 s[28:29], vcc
	s_cbranch_execz .LBB6_5437
; %bb.5432:                             ;   in Loop: Header=BB6_5067 Depth=3
	v_cmp_ne_u16_e32 vcc, s91, v12
	v_bfrev_b32_e32 v25, 1
	s_and_saveexec_b64 s[66:67], vcc
	s_cbranch_execz .LBB6_5436
; %bb.5433:                             ;   in Loop: Header=BB6_5067 Depth=3
	v_and_b32_e32 v26, 0x7f, v22
	v_cmp_ne_u32_e32 vcc, s92, v26
	v_mov_b32_e32 v25, 0x7f800001
	s_and_saveexec_b64 s[68:69], vcc
	s_cbranch_execz .LBB6_5435
; %bb.5434:                             ;   in Loop: Header=BB6_5067 Depth=3
	v_and_b32_e32 v14, 7, v12
	v_ffbh_u32_e32 v6, v14
	v_min_u32_e32 v25, 32, v6
	v_subrev_u32_e32 v6, 28, v25
	v_lshlrev_b64 v[6:7], v6, v[12:13]
	v_lshrrev_b32_e32 v15, 3, v26
	v_sub_u32_e32 v7, 29, v25
	v_and_b32_e32 v6, 7, v6
	v_cmp_gt_u32_e32 vcc, 8, v26
	v_cndmask_b32_e32 v7, v15, v7, vcc
	v_cndmask_b32_e32 v6, v14, v6, vcc
	v_lshlrev_b32_e32 v12, 24, v22
	v_lshlrev_b32_e32 v6, 20, v6
	v_and_b32_e32 v12, 0x80000000, v12
	v_lshl_add_u32 v7, v7, 23, v31
	v_or3_b32 v25, v12, v7, v6
.LBB6_5435:                             ;   in Loop: Header=BB6_5067 Depth=3
	s_or_b64 exec, exec, s[68:69]
.LBB6_5436:                             ;   in Loop: Header=BB6_5067 Depth=3
	s_or_b64 exec, exec, s[66:67]
.LBB6_5437:                             ;   in Loop: Header=BB6_5067 Depth=3
	s_or_b64 exec, exec, s[28:29]
	v_and_b32_e32 v12, 0xff, v21
	v_cmp_ne_u16_e32 vcc, 0, v12
	s_and_saveexec_b64 s[28:29], vcc
	s_cbranch_execz .LBB6_5443
; %bb.5438:                             ;   in Loop: Header=BB6_5067 Depth=3
	v_cmp_ne_u16_e32 vcc, s91, v12
	v_bfrev_b32_e32 v13, 1
	s_and_saveexec_b64 s[66:67], vcc
	s_cbranch_execz .LBB6_5442
; %bb.5439:                             ;   in Loop: Header=BB6_5067 Depth=3
	v_and_b32_e32 v22, 0x7f, v21
	v_cmp_ne_u32_e32 vcc, s92, v22
	v_mov_b32_e32 v13, 0x7f800001
	s_and_saveexec_b64 s[68:69], vcc
	s_cbranch_execz .LBB6_5441
; %bb.5440:                             ;   in Loop: Header=BB6_5067 Depth=3
	v_and_b32_e32 v13, 7, v12
	v_ffbh_u32_e32 v6, v13
	v_min_u32_e32 v15, 32, v6
	v_subrev_u32_e32 v6, 28, v15
	v_lshlrev_b64 v[6:7], v6, v[12:13]
	v_lshrrev_b32_e32 v14, 3, v22
	v_sub_u32_e32 v7, 29, v15
	v_and_b32_e32 v6, 7, v6
	v_cmp_gt_u32_e32 vcc, 8, v22
	v_cndmask_b32_e32 v7, v14, v7, vcc
	v_cndmask_b32_e32 v6, v13, v6, vcc
	v_lshlrev_b32_e32 v12, 24, v21
	v_lshlrev_b32_e32 v6, 20, v6
	v_and_b32_e32 v12, 0x80000000, v12
	v_lshl_add_u32 v7, v7, 23, v31
	v_or3_b32 v13, v12, v7, v6
.LBB6_5441:                             ;   in Loop: Header=BB6_5067 Depth=3
	s_or_b64 exec, exec, s[68:69]
.LBB6_5442:                             ;   in Loop: Header=BB6_5067 Depth=3
	s_or_b64 exec, exec, s[66:67]
.LBB6_5443:                             ;   in Loop: Header=BB6_5067 Depth=3
	s_or_b64 exec, exec, s[28:29]
	v_add_f32_e32 v12, v25, v13
	v_and_b32_sdwa v22, v12, s91 dst_sel:DWORD dst_unused:UNUSED_PAD src0_sel:BYTE_3 src1_sel:DWORD
	v_and_b32_e32 v6, 0x7f800000, v12
	v_mov_b32_e32 v7, v27
	v_and_b32_e32 v26, 0x7fffff, v12
	v_or_b32_e32 v21, 0x7e, v22
	v_cmp_ne_u64_e32 vcc, s[52:53], v[6:7]
	s_and_saveexec_b64 s[28:29], vcc
	s_xor_b64 s[66:67], exec, s[28:29]
	s_cbranch_execz .LBB6_5457
; %bb.5444:                             ;   in Loop: Header=BB6_5067 Depth=3
	v_and_b32_e32 v6, 0x7fffffff, v12
	v_mov_b32_e32 v7, v27
	v_cmp_gt_u64_e32 vcc, s[54:55], v[6:7]
	s_and_saveexec_b64 s[28:29], vcc
	s_xor_b64 s[68:69], exec, s[28:29]
	s_cbranch_execz .LBB6_5456
; %bb.5445:                             ;   in Loop: Header=BB6_5067 Depth=3
	v_cmp_ne_u32_e32 vcc, 0, v12
	v_mov_b32_e32 v21, 0
	s_and_saveexec_b64 s[70:71], vcc
	s_cbranch_execz .LBB6_5455
; %bb.5446:                             ;   in Loop: Header=BB6_5067 Depth=3
	v_bfe_u32 v6, v12, 23, 8
	v_sub_u32_e32 v12, 0x79, v6
	v_cmp_gt_u32_e32 vcc, s93, v6
	v_add_u32_e32 v7, 0xffffff81, v6
	v_cndmask_b32_e32 v12, 0, v12, vcc
	v_cmp_eq_u32_e32 vcc, 0, v6
	v_mov_b32_e32 v0, 0xffffff82
	v_cndmask_b32_e32 v21, v7, v0, vcc
	v_mov_b32_e32 v0, 0x78
	v_cndmask_b32_e32 v25, v12, v0, vcc
	v_or_b32_e32 v13, 0x800000, v26
	v_add_u32_e32 v6, 20, v25
	v_cndmask_b32_e32 v26, v13, v26, vcc
	v_lshlrev_b64 v[6:7], v6, -1
	v_not_b32_e32 v6, v6
	v_lshrrev_b64 v[14:15], v25, v[26:27]
	v_not_b32_e32 v7, v7
	v_and_b32_e32 v6, v26, v6
	v_add_u32_e32 v12, 19, v25
	v_lshrrev_b32_e32 v26, 23, v14
	v_and_b32_e32 v7, 0, v7
	v_lshlrev_b64 v[12:13], v12, 1
	v_add3_u32 v26, v25, v21, v26
	v_bfe_u32 v25, v14, 20, 1
	v_add_u32_e32 v25, -1, v25
	v_cmp_eq_u64_e32 vcc, v[6:7], v[12:13]
	v_cndmask_b32_e32 v6, 0, v25, vcc
	v_add_u32_e32 v6, v6, v14
	v_and_b32_e32 v6, 0xfffff, v6
	v_add_co_u32_e32 v12, vcc, v6, v14
	v_add_u32_e32 v21, 6, v26
	v_addc_co_u32_e32 v13, vcc, 0, v15, vcc
	v_cmp_ne_u32_e32 vcc, 0, v21
                                        ; implicit-def: $vgpr25
	s_and_saveexec_b64 s[28:29], vcc
	s_xor_b64 s[28:29], exec, s[28:29]
; %bb.5447:                             ;   in Loop: Header=BB6_5067 Depth=3
	v_add_u32_e32 v6, 7, v26
	v_cmp_lt_u64_e32 vcc, s[56:57], v[12:13]
	v_cndmask_b32_e32 v25, v21, v6, vcc
	v_cndmask_b32_e64 v6, 0, 1, vcc
	v_lshrrev_b64 v[12:13], v6, v[12:13]
; %bb.5448:                             ;   in Loop: Header=BB6_5067 Depth=3
	s_andn2_saveexec_b64 s[28:29], s[28:29]
; %bb.5449:                             ;   in Loop: Header=BB6_5067 Depth=3
	v_bfe_u32 v25, v12, 23, 1
; %bb.5450:                             ;   in Loop: Header=BB6_5067 Depth=3
	s_or_b64 exec, exec, s[28:29]
	v_lshrrev_b64 v[6:7], 20, v[12:13]
	v_cmp_gt_i32_e32 vcc, 16, v25
	v_cndmask_b32_e32 v13, 0, v7, vcc
	v_cndmask_b32_e32 v12, 7, v6, vcc
	v_cmp_ne_u32_e32 vcc, 0, v25
	v_cmp_ne_u64_e64 s[28:29], 0, v[12:13]
	s_or_b64 s[28:29], vcc, s[28:29]
                                        ; implicit-def: $vgpr21
	s_and_saveexec_b64 vcc, s[28:29]
	s_xor_b64 s[28:29], exec, vcc
; %bb.5451:                             ;   in Loop: Header=BB6_5067 Depth=3
	v_min_i32_e32 v6, 15, v25
	v_lshl_or_b32 v6, v6, 3, v22
	v_and_or_b32 v21, v12, 7, v6
                                        ; implicit-def: $vgpr22
; %bb.5452:                             ;   in Loop: Header=BB6_5067 Depth=3
	s_andn2_saveexec_b64 s[28:29], s[28:29]
; %bb.5453:                             ;   in Loop: Header=BB6_5067 Depth=3
	v_mov_b32_e32 v21, v22
; %bb.5454:                             ;   in Loop: Header=BB6_5067 Depth=3
	s_or_b64 exec, exec, s[28:29]
.LBB6_5455:                             ;   in Loop: Header=BB6_5067 Depth=3
	s_or_b64 exec, exec, s[70:71]
.LBB6_5456:                             ;   in Loop: Header=BB6_5067 Depth=3
	s_andn2_saveexec_b64 s[28:29], s[68:69]
	s_or_b64 exec, exec, s[28:29]
                                        ; implicit-def: $vgpr12
.LBB6_5457:                             ;   in Loop: Header=BB6_5067 Depth=3
	s_andn2_saveexec_b64 s[28:29], s[66:67]
; %bb.5458:                             ;   in Loop: Header=BB6_5067 Depth=3
	v_or_b32_sdwa v6, v12, s92 dst_sel:DWORD dst_unused:UNUSED_PAD src0_sel:BYTE_3 src1_sel:DWORD
	v_cmp_eq_u64_e32 vcc, 0, v[26:27]
	v_cndmask_b32_e32 v21, v6, v21, vcc
; %bb.5459:                             ;   in Loop: Header=BB6_5067 Depth=3
	s_or_b64 exec, exec, s[28:29]
	v_and_b32_e32 v12, 0xff, v19
	v_cmp_ne_u16_e32 vcc, 0, v12
	v_mov_b32_e32 v13, 0
	v_mov_b32_e32 v22, 0
	s_and_saveexec_b64 s[28:29], vcc
	s_cbranch_execz .LBB6_5465
; %bb.5460:                             ;   in Loop: Header=BB6_5067 Depth=3
	v_cmp_ne_u16_e32 vcc, s91, v12
	v_bfrev_b32_e32 v22, 1
	s_and_saveexec_b64 s[66:67], vcc
	s_cbranch_execz .LBB6_5464
; %bb.5461:                             ;   in Loop: Header=BB6_5067 Depth=3
	v_and_b32_e32 v25, 0x7f, v19
	v_cmp_ne_u32_e32 vcc, s92, v25
	v_mov_b32_e32 v22, 0x7f800001
	s_and_saveexec_b64 s[68:69], vcc
	s_cbranch_execz .LBB6_5463
; %bb.5462:                             ;   in Loop: Header=BB6_5067 Depth=3
	v_and_b32_e32 v14, 7, v12
	v_ffbh_u32_e32 v6, v14
	v_min_u32_e32 v22, 32, v6
	v_subrev_u32_e32 v6, 28, v22
	v_lshlrev_b64 v[6:7], v6, v[12:13]
	v_lshrrev_b32_e32 v15, 3, v25
	v_sub_u32_e32 v7, 29, v22
	v_and_b32_e32 v6, 7, v6
	v_cmp_gt_u32_e32 vcc, 8, v25
	v_cndmask_b32_e32 v7, v15, v7, vcc
	v_cndmask_b32_e32 v6, v14, v6, vcc
	v_lshlrev_b32_e32 v12, 24, v19
	v_lshlrev_b32_e32 v6, 20, v6
	v_and_b32_e32 v12, 0x80000000, v12
	v_lshl_add_u32 v7, v7, 23, v31
	v_or3_b32 v22, v12, v7, v6
.LBB6_5463:                             ;   in Loop: Header=BB6_5067 Depth=3
	s_or_b64 exec, exec, s[68:69]
.LBB6_5464:                             ;   in Loop: Header=BB6_5067 Depth=3
	s_or_b64 exec, exec, s[66:67]
.LBB6_5465:                             ;   in Loop: Header=BB6_5067 Depth=3
	s_or_b64 exec, exec, s[28:29]
	v_and_b32_e32 v12, 0xff, v2
	v_cmp_ne_u16_e32 vcc, 0, v12
	s_and_saveexec_b64 s[28:29], vcc
	s_cbranch_execz .LBB6_5471
; %bb.5466:                             ;   in Loop: Header=BB6_5067 Depth=3
	v_cmp_ne_u16_e32 vcc, s91, v12
	v_bfrev_b32_e32 v13, 1
	s_and_saveexec_b64 s[66:67], vcc
	s_cbranch_execz .LBB6_5470
; %bb.5467:                             ;   in Loop: Header=BB6_5067 Depth=3
	v_and_b32_e32 v19, 0x7f, v2
	v_cmp_ne_u32_e32 vcc, s92, v19
	v_mov_b32_e32 v13, 0x7f800001
	s_and_saveexec_b64 s[68:69], vcc
	s_cbranch_execz .LBB6_5469
; %bb.5468:                             ;   in Loop: Header=BB6_5067 Depth=3
	v_and_b32_e32 v13, 7, v12
	v_ffbh_u32_e32 v6, v13
	v_min_u32_e32 v15, 32, v6
	v_subrev_u32_e32 v6, 28, v15
	v_lshlrev_b64 v[6:7], v6, v[12:13]
	v_lshrrev_b32_e32 v14, 3, v19
	v_sub_u32_e32 v7, 29, v15
	v_and_b32_e32 v6, 7, v6
	v_cmp_gt_u32_e32 vcc, 8, v19
	v_cndmask_b32_e32 v7, v14, v7, vcc
	v_cndmask_b32_e32 v6, v13, v6, vcc
	v_lshlrev_b32_e32 v2, 24, v2
	v_lshlrev_b32_e32 v6, 20, v6
	v_and_b32_e32 v2, 0x80000000, v2
	v_lshl_add_u32 v7, v7, 23, v31
	v_or3_b32 v13, v2, v7, v6
.LBB6_5469:                             ;   in Loop: Header=BB6_5067 Depth=3
	s_or_b64 exec, exec, s[68:69]
.LBB6_5470:                             ;   in Loop: Header=BB6_5067 Depth=3
	s_or_b64 exec, exec, s[66:67]
.LBB6_5471:                             ;   in Loop: Header=BB6_5067 Depth=3
	s_or_b64 exec, exec, s[28:29]
	v_add_f32_e32 v12, v22, v13
	v_and_b32_sdwa v19, v12, s91 dst_sel:DWORD dst_unused:UNUSED_PAD src0_sel:BYTE_3 src1_sel:DWORD
	v_and_b32_e32 v6, 0x7f800000, v12
	v_mov_b32_e32 v7, v27
	v_and_b32_e32 v26, 0x7fffff, v12
	v_or_b32_e32 v2, 0x7e, v19
	v_cmp_ne_u64_e32 vcc, s[52:53], v[6:7]
	s_and_saveexec_b64 s[28:29], vcc
	s_xor_b64 s[66:67], exec, s[28:29]
	s_cbranch_execz .LBB6_5485
; %bb.5472:                             ;   in Loop: Header=BB6_5067 Depth=3
	v_and_b32_e32 v6, 0x7fffffff, v12
	v_mov_b32_e32 v7, v27
	v_cmp_gt_u64_e32 vcc, s[54:55], v[6:7]
	s_and_saveexec_b64 s[28:29], vcc
	s_xor_b64 s[68:69], exec, s[28:29]
	s_cbranch_execz .LBB6_5484
; %bb.5473:                             ;   in Loop: Header=BB6_5067 Depth=3
	v_cmp_ne_u32_e32 vcc, 0, v12
	v_mov_b32_e32 v2, 0
	s_and_saveexec_b64 s[70:71], vcc
	s_cbranch_execz .LBB6_5483
; %bb.5474:                             ;   in Loop: Header=BB6_5067 Depth=3
	v_bfe_u32 v2, v12, 23, 8
	v_sub_u32_e32 v7, 0x79, v2
	v_cmp_gt_u32_e32 vcc, s93, v2
	v_add_u32_e32 v6, 0xffffff81, v2
	v_cndmask_b32_e32 v7, 0, v7, vcc
	v_cmp_eq_u32_e32 vcc, 0, v2
	v_mov_b32_e32 v0, 0xffffff82
	v_cndmask_b32_e32 v2, v6, v0, vcc
	v_mov_b32_e32 v0, 0x78
	v_or_b32_e32 v12, 0x800000, v26
	v_cndmask_b32_e32 v22, v7, v0, vcc
	v_cndmask_b32_e32 v26, v12, v26, vcc
	v_add_u32_e32 v6, 20, v22
	v_lshlrev_b64 v[6:7], v6, -1
	v_lshrrev_b64 v[14:15], v22, v[26:27]
	v_not_b32_e32 v7, v7
	v_not_b32_e32 v6, v6
	v_add_u32_e32 v12, 19, v22
	v_lshrrev_b32_e32 v25, 23, v14
	v_and_b32_e32 v7, 0, v7
	v_and_b32_e32 v6, v26, v6
	v_lshlrev_b64 v[12:13], v12, 1
	v_add3_u32 v25, v22, v2, v25
	v_bfe_u32 v22, v14, 20, 1
	v_add_u32_e32 v22, -1, v22
	v_cmp_eq_u64_e32 vcc, v[6:7], v[12:13]
	v_cndmask_b32_e32 v6, 0, v22, vcc
	v_add_u32_e32 v6, v6, v14
	v_and_b32_e32 v6, 0xfffff, v6
	v_add_co_u32_e32 v12, vcc, v6, v14
	v_add_u32_e32 v2, 6, v25
	v_addc_co_u32_e32 v13, vcc, 0, v15, vcc
	v_cmp_ne_u32_e32 vcc, 0, v2
                                        ; implicit-def: $vgpr22
	s_and_saveexec_b64 s[28:29], vcc
	s_xor_b64 s[28:29], exec, s[28:29]
; %bb.5475:                             ;   in Loop: Header=BB6_5067 Depth=3
	v_add_u32_e32 v6, 7, v25
	v_cmp_lt_u64_e32 vcc, s[56:57], v[12:13]
	v_cndmask_b32_e32 v22, v2, v6, vcc
	v_cndmask_b32_e64 v2, 0, 1, vcc
	v_lshrrev_b64 v[12:13], v2, v[12:13]
; %bb.5476:                             ;   in Loop: Header=BB6_5067 Depth=3
	s_andn2_saveexec_b64 s[28:29], s[28:29]
; %bb.5477:                             ;   in Loop: Header=BB6_5067 Depth=3
	v_bfe_u32 v22, v12, 23, 1
; %bb.5478:                             ;   in Loop: Header=BB6_5067 Depth=3
	s_or_b64 exec, exec, s[28:29]
	v_lshrrev_b64 v[6:7], 20, v[12:13]
	v_cmp_gt_i32_e32 vcc, 16, v22
	v_cndmask_b32_e32 v13, 0, v7, vcc
	v_cndmask_b32_e32 v12, 7, v6, vcc
	v_cmp_ne_u32_e32 vcc, 0, v22
	v_cmp_ne_u64_e64 s[28:29], 0, v[12:13]
	s_or_b64 s[28:29], vcc, s[28:29]
                                        ; implicit-def: $vgpr2
	s_and_saveexec_b64 vcc, s[28:29]
	s_xor_b64 s[28:29], exec, vcc
; %bb.5479:                             ;   in Loop: Header=BB6_5067 Depth=3
	v_min_i32_e32 v2, 15, v22
	v_lshl_or_b32 v2, v2, 3, v19
	v_and_or_b32 v2, v12, 7, v2
                                        ; implicit-def: $vgpr19
; %bb.5480:                             ;   in Loop: Header=BB6_5067 Depth=3
	s_andn2_saveexec_b64 s[28:29], s[28:29]
; %bb.5481:                             ;   in Loop: Header=BB6_5067 Depth=3
	v_mov_b32_e32 v2, v19
; %bb.5482:                             ;   in Loop: Header=BB6_5067 Depth=3
	s_or_b64 exec, exec, s[28:29]
.LBB6_5483:                             ;   in Loop: Header=BB6_5067 Depth=3
	s_or_b64 exec, exec, s[70:71]
.LBB6_5484:                             ;   in Loop: Header=BB6_5067 Depth=3
	s_andn2_saveexec_b64 s[28:29], s[68:69]
	s_or_b64 exec, exec, s[28:29]
                                        ; implicit-def: $vgpr12
.LBB6_5485:                             ;   in Loop: Header=BB6_5067 Depth=3
	s_andn2_saveexec_b64 s[28:29], s[66:67]
; %bb.5486:                             ;   in Loop: Header=BB6_5067 Depth=3
	v_or_b32_sdwa v6, v12, s92 dst_sel:DWORD dst_unused:UNUSED_PAD src0_sel:BYTE_3 src1_sel:DWORD
	v_cmp_eq_u64_e32 vcc, 0, v[26:27]
	v_cndmask_b32_e32 v2, v6, v2, vcc
; %bb.5487:                             ;   in Loop: Header=BB6_5067 Depth=3
	s_or_b64 exec, exec, s[28:29]
	v_and_b32_e32 v12, 0xff, v18
	v_cmp_ne_u16_e32 vcc, 0, v12
	v_mov_b32_e32 v13, 0
	v_mov_b32_e32 v19, 0
	s_and_saveexec_b64 s[28:29], vcc
	s_cbranch_execz .LBB6_5493
; %bb.5488:                             ;   in Loop: Header=BB6_5067 Depth=3
	v_cmp_ne_u16_e32 vcc, s91, v12
	v_bfrev_b32_e32 v19, 1
	s_and_saveexec_b64 s[66:67], vcc
	s_cbranch_execz .LBB6_5492
; %bb.5489:                             ;   in Loop: Header=BB6_5067 Depth=3
	v_and_b32_e32 v22, 0x7f, v18
	v_cmp_ne_u32_e32 vcc, s92, v22
	v_mov_b32_e32 v19, 0x7f800001
	s_and_saveexec_b64 s[68:69], vcc
	s_cbranch_execz .LBB6_5491
; %bb.5490:                             ;   in Loop: Header=BB6_5067 Depth=3
	v_and_b32_e32 v14, 7, v12
	v_ffbh_u32_e32 v6, v14
	v_min_u32_e32 v19, 32, v6
	v_subrev_u32_e32 v6, 28, v19
	v_lshlrev_b64 v[6:7], v6, v[12:13]
	v_lshrrev_b32_e32 v15, 3, v22
	v_sub_u32_e32 v7, 29, v19
	v_and_b32_e32 v6, 7, v6
	v_cmp_gt_u32_e32 vcc, 8, v22
	v_cndmask_b32_e32 v7, v15, v7, vcc
	v_cndmask_b32_e32 v6, v14, v6, vcc
	v_lshlrev_b32_e32 v12, 24, v18
	v_lshlrev_b32_e32 v6, 20, v6
	v_and_b32_e32 v12, 0x80000000, v12
	v_lshl_add_u32 v7, v7, 23, v31
	v_or3_b32 v19, v12, v7, v6
.LBB6_5491:                             ;   in Loop: Header=BB6_5067 Depth=3
	s_or_b64 exec, exec, s[68:69]
.LBB6_5492:                             ;   in Loop: Header=BB6_5067 Depth=3
	s_or_b64 exec, exec, s[66:67]
.LBB6_5493:                             ;   in Loop: Header=BB6_5067 Depth=3
	s_or_b64 exec, exec, s[28:29]
	v_and_b32_e32 v12, 0xff, v17
	v_cmp_ne_u16_e32 vcc, 0, v12
	s_and_saveexec_b64 s[28:29], vcc
	s_cbranch_execz .LBB6_5499
; %bb.5494:                             ;   in Loop: Header=BB6_5067 Depth=3
	v_cmp_ne_u16_e32 vcc, s91, v12
	v_bfrev_b32_e32 v13, 1
	s_and_saveexec_b64 s[66:67], vcc
	s_cbranch_execz .LBB6_5498
; %bb.5495:                             ;   in Loop: Header=BB6_5067 Depth=3
	v_and_b32_e32 v18, 0x7f, v17
	v_cmp_ne_u32_e32 vcc, s92, v18
	v_mov_b32_e32 v13, 0x7f800001
	s_and_saveexec_b64 s[68:69], vcc
	s_cbranch_execz .LBB6_5497
; %bb.5496:                             ;   in Loop: Header=BB6_5067 Depth=3
	v_and_b32_e32 v13, 7, v12
	v_ffbh_u32_e32 v6, v13
	v_min_u32_e32 v15, 32, v6
	v_subrev_u32_e32 v6, 28, v15
	v_lshlrev_b64 v[6:7], v6, v[12:13]
	v_lshrrev_b32_e32 v14, 3, v18
	v_sub_u32_e32 v7, 29, v15
	v_and_b32_e32 v6, 7, v6
	v_cmp_gt_u32_e32 vcc, 8, v18
	v_cndmask_b32_e32 v7, v14, v7, vcc
	v_cndmask_b32_e32 v6, v13, v6, vcc
	v_lshlrev_b32_e32 v12, 24, v17
	v_lshlrev_b32_e32 v6, 20, v6
	v_and_b32_e32 v12, 0x80000000, v12
	v_lshl_add_u32 v7, v7, 23, v31
	v_or3_b32 v13, v12, v7, v6
.LBB6_5497:                             ;   in Loop: Header=BB6_5067 Depth=3
	s_or_b64 exec, exec, s[68:69]
.LBB6_5498:                             ;   in Loop: Header=BB6_5067 Depth=3
	s_or_b64 exec, exec, s[66:67]
.LBB6_5499:                             ;   in Loop: Header=BB6_5067 Depth=3
	s_or_b64 exec, exec, s[28:29]
	v_add_f32_e32 v12, v19, v13
	v_and_b32_sdwa v17, v12, s91 dst_sel:DWORD dst_unused:UNUSED_PAD src0_sel:BYTE_3 src1_sel:DWORD
	v_and_b32_e32 v6, 0x7f800000, v12
	v_mov_b32_e32 v7, v27
	v_and_b32_e32 v26, 0x7fffff, v12
	v_or_b32_e32 v13, 0x7e, v17
	v_cmp_ne_u64_e32 vcc, s[52:53], v[6:7]
	s_and_saveexec_b64 s[28:29], vcc
	s_xor_b64 s[66:67], exec, s[28:29]
	s_cbranch_execz .LBB6_5513
; %bb.5500:                             ;   in Loop: Header=BB6_5067 Depth=3
	v_and_b32_e32 v6, 0x7fffffff, v12
	v_mov_b32_e32 v7, v27
	v_cmp_gt_u64_e32 vcc, s[54:55], v[6:7]
	s_and_saveexec_b64 s[28:29], vcc
	s_xor_b64 s[68:69], exec, s[28:29]
	s_cbranch_execz .LBB6_5512
; %bb.5501:                             ;   in Loop: Header=BB6_5067 Depth=3
	v_cmp_ne_u32_e32 vcc, 0, v12
	v_mov_b32_e32 v13, 0
	s_and_saveexec_b64 s[70:71], vcc
	s_cbranch_execz .LBB6_5511
; %bb.5502:                             ;   in Loop: Header=BB6_5067 Depth=3
	v_bfe_u32 v6, v12, 23, 8
	v_sub_u32_e32 v12, 0x79, v6
	v_cmp_gt_u32_e32 vcc, s93, v6
	v_add_u32_e32 v7, 0xffffff81, v6
	v_cndmask_b32_e32 v12, 0, v12, vcc
	v_cmp_eq_u32_e32 vcc, 0, v6
	v_mov_b32_e32 v0, 0xffffff82
	v_cndmask_b32_e32 v18, v7, v0, vcc
	v_mov_b32_e32 v0, 0x78
	v_or_b32_e32 v13, 0x800000, v26
	v_cndmask_b32_e32 v19, v12, v0, vcc
	v_cndmask_b32_e32 v26, v13, v26, vcc
	v_add_u32_e32 v6, 20, v19
	v_lshlrev_b64 v[6:7], v6, -1
	v_lshrrev_b64 v[14:15], v19, v[26:27]
	v_not_b32_e32 v7, v7
	v_not_b32_e32 v6, v6
	v_add_u32_e32 v12, 19, v19
	v_lshrrev_b32_e32 v22, 23, v14
	v_and_b32_e32 v7, 0, v7
	v_and_b32_e32 v6, v26, v6
	v_lshlrev_b64 v[12:13], v12, 1
	v_add3_u32 v22, v19, v18, v22
	v_bfe_u32 v18, v14, 20, 1
	v_add_u32_e32 v18, -1, v18
	v_cmp_eq_u64_e32 vcc, v[6:7], v[12:13]
	v_cndmask_b32_e32 v6, 0, v18, vcc
	v_add_u32_e32 v6, v6, v14
	v_and_b32_e32 v6, 0xfffff, v6
	v_add_co_u32_e32 v12, vcc, v6, v14
	v_add_u32_e32 v19, 6, v22
	v_addc_co_u32_e32 v13, vcc, 0, v15, vcc
	v_cmp_ne_u32_e32 vcc, 0, v19
                                        ; implicit-def: $vgpr18
	s_and_saveexec_b64 s[28:29], vcc
	s_xor_b64 s[28:29], exec, s[28:29]
; %bb.5503:                             ;   in Loop: Header=BB6_5067 Depth=3
	v_add_u32_e32 v6, 7, v22
	v_cmp_lt_u64_e32 vcc, s[56:57], v[12:13]
	v_cndmask_b32_e32 v18, v19, v6, vcc
	v_cndmask_b32_e64 v6, 0, 1, vcc
	v_lshrrev_b64 v[12:13], v6, v[12:13]
; %bb.5504:                             ;   in Loop: Header=BB6_5067 Depth=3
	s_andn2_saveexec_b64 s[28:29], s[28:29]
; %bb.5505:                             ;   in Loop: Header=BB6_5067 Depth=3
	v_bfe_u32 v18, v12, 23, 1
; %bb.5506:                             ;   in Loop: Header=BB6_5067 Depth=3
	s_or_b64 exec, exec, s[28:29]
	v_lshrrev_b64 v[6:7], 20, v[12:13]
	v_cmp_gt_i32_e32 vcc, 16, v18
	v_cndmask_b32_e32 v13, 0, v7, vcc
	v_cndmask_b32_e32 v12, 7, v6, vcc
	v_cmp_ne_u32_e32 vcc, 0, v18
	v_cmp_ne_u64_e64 s[28:29], 0, v[12:13]
	s_or_b64 s[28:29], vcc, s[28:29]
                                        ; implicit-def: $vgpr13
	s_and_saveexec_b64 vcc, s[28:29]
	s_xor_b64 s[28:29], exec, vcc
; %bb.5507:                             ;   in Loop: Header=BB6_5067 Depth=3
	v_min_i32_e32 v6, 15, v18
	v_lshl_or_b32 v6, v6, 3, v17
	v_and_or_b32 v13, v12, 7, v6
                                        ; implicit-def: $vgpr17
; %bb.5508:                             ;   in Loop: Header=BB6_5067 Depth=3
	s_andn2_saveexec_b64 s[28:29], s[28:29]
; %bb.5509:                             ;   in Loop: Header=BB6_5067 Depth=3
	v_mov_b32_e32 v13, v17
; %bb.5510:                             ;   in Loop: Header=BB6_5067 Depth=3
	s_or_b64 exec, exec, s[28:29]
.LBB6_5511:                             ;   in Loop: Header=BB6_5067 Depth=3
	s_or_b64 exec, exec, s[70:71]
.LBB6_5512:                             ;   in Loop: Header=BB6_5067 Depth=3
	s_andn2_saveexec_b64 s[28:29], s[68:69]
	s_or_b64 exec, exec, s[28:29]
                                        ; implicit-def: $vgpr12
.LBB6_5513:                             ;   in Loop: Header=BB6_5067 Depth=3
	s_andn2_saveexec_b64 s[28:29], s[66:67]
	s_cbranch_execz .LBB6_5066
; %bb.5514:                             ;   in Loop: Header=BB6_5067 Depth=3
	v_or_b32_sdwa v6, v12, s92 dst_sel:DWORD dst_unused:UNUSED_PAD src0_sel:BYTE_3 src1_sel:DWORD
	v_cmp_eq_u64_e32 vcc, 0, v[26:27]
	v_cndmask_b32_e32 v13, v6, v13, vcc
	s_branch .LBB6_5066
.LBB6_5515:                             ;   in Loop: Header=BB6_2119 Depth=2
	s_or_b64 exec, exec, s[64:65]
	v_mov_b32_e32 v33, v34
	v_accvgpr_read_b32 v34, a57
	v_accvgpr_read_b32 v0, a61
	;; [unrolled: 1-line block ×3, first 2 shown]
.LBB6_5516:                             ;   in Loop: Header=BB6_2119 Depth=2
	s_or_b64 exec, exec, s[34:35]
	v_lshlrev_b32_e32 v1, 10, v1
	v_cmp_ne_u32_e32 vcc, v42, v1
	s_and_saveexec_b64 s[34:35], vcc
	s_cbranch_execz .LBB6_5548
; %bb.5517:                             ;   in Loop: Header=BB6_2119 Depth=2
	v_ashrrev_i32_e32 v2, 31, v0
	v_lshrrev_b32_e32 v2, 26, v2
	v_add_u32_e32 v2, v0, v2
	v_and_b32_e32 v2, 0xffffffc0, v2
	v_sub_u32_e32 v2, v0, v2
	v_lshlrev_b32_e32 v3, 6, v3
	v_sub_u32_e32 v2, v2, v3
	v_add_u32_e32 v2, v1, v2
	v_sub_u32_e32 v1, v42, v2
	v_cmp_lt_i32_e32 vcc, 0, v1
	s_and_b64 exec, exec, vcc
	s_cbranch_execz .LBB6_5548
; %bb.5518:                             ;   in Loop: Header=BB6_2119 Depth=2
	s_trap 2
	ds_read_b128 v[8:11], v0
	v_add_u32_e32 v6, v2, v59
	ds_read_b64 v[2:3], v0
	v_ashrrev_i32_e32 v7, 31, v6
	s_mov_b64 s[64:65], 0
	s_waitcnt lgkmcnt(0)
	v_add_co_u32_e32 v4, vcc, v8, v6
	v_addc_co_u32_e32 v5, vcc, v9, v7, vcc
	v_add_co_u32_e32 v8, vcc, v10, v6
	v_addc_co_u32_e32 v9, vcc, v11, v7, vcc
	;; [unrolled: 2-line block ×3, first 2 shown]
	s_branch .LBB6_5520
.LBB6_5519:                             ;   in Loop: Header=BB6_5520 Depth=3
	s_or_b64 exec, exec, s[28:29]
	v_accvgpr_read_b32 v2, a40
	flat_store_byte v[10:11], v3 glc slc
	v_add_co_u32_e32 v4, vcc, v4, v2
	v_accvgpr_read_b32 v3, a41
	v_addc_co_u32_e32 v5, vcc, v5, v3, vcc
	v_add_co_u32_e32 v8, vcc, v8, v2
	v_accvgpr_read_b32 v0, a27
	v_addc_co_u32_e32 v9, vcc, v9, v3, vcc
	v_sub_u32_e32 v1, v1, v0
	v_cmp_gt_i32_e32 vcc, 1, v1
	s_or_b64 s[64:65], vcc, s[64:65]
	v_add_co_u32_e32 v10, vcc, v10, v2
	v_addc_co_u32_e32 v11, vcc, v11, v3, vcc
	s_andn2_b64 exec, exec, s[64:65]
	s_cbranch_execz .LBB6_5548
.LBB6_5520:                             ;   Parent Loop BB6_47 Depth=1
                                        ;     Parent Loop BB6_2119 Depth=2
                                        ; =>    This Inner Loop Header: Depth=3
	flat_load_ubyte v7, v[4:5] glc slc
	flat_load_ubyte v3, v[8:9] glc slc
	v_mov_b32_e32 v2, 0
	v_mov_b32_e32 v6, 0
	s_waitcnt vmcnt(0) lgkmcnt(0)
	v_cmp_ne_u16_e32 vcc, 0, v7
	s_and_saveexec_b64 s[28:29], vcc
	s_cbranch_execz .LBB6_5526
; %bb.5521:                             ;   in Loop: Header=BB6_5520 Depth=3
	v_cmp_ne_u16_e32 vcc, s91, v7
	v_bfrev_b32_e32 v6, 1
	s_and_saveexec_b64 s[66:67], vcc
	s_cbranch_execz .LBB6_5525
; %bb.5522:                             ;   in Loop: Header=BB6_5520 Depth=3
	v_and_b32_e32 v12, 0xffff, v7
	v_and_b32_e32 v13, 0x7f, v12
	v_cmp_ne_u32_e32 vcc, s92, v13
	v_mov_b32_e32 v6, 0x7f800001
	s_and_saveexec_b64 s[68:69], vcc
	s_cbranch_execz .LBB6_5524
; %bb.5523:                             ;   in Loop: Header=BB6_5520 Depth=3
	v_and_b32_e32 v6, 7, v12
	v_ffbh_u32_e32 v14, v6
	v_min_u32_e32 v17, 32, v14
	v_subrev_u32_e32 v14, 28, v17
	v_lshlrev_b64 v[14:15], v14, v[12:13]
	v_lshrrev_b32_e32 v16, 3, v13
	v_sub_u32_e32 v12, 29, v17
	v_and_b32_e32 v14, 7, v14
	v_cmp_gt_u32_e32 vcc, 8, v13
	v_cndmask_b32_e32 v12, v16, v12, vcc
	v_cndmask_b32_e32 v6, v6, v14, vcc
	v_lshlrev_b32_e32 v7, 24, v7
	v_lshlrev_b32_e32 v6, 20, v6
	v_and_b32_e32 v7, 0x80000000, v7
	v_lshl_add_u32 v12, v12, 23, v31
	v_or3_b32 v6, v7, v12, v6
.LBB6_5524:                             ;   in Loop: Header=BB6_5520 Depth=3
	s_or_b64 exec, exec, s[68:69]
.LBB6_5525:                             ;   in Loop: Header=BB6_5520 Depth=3
	s_or_b64 exec, exec, s[66:67]
.LBB6_5526:                             ;   in Loop: Header=BB6_5520 Depth=3
	s_or_b64 exec, exec, s[28:29]
	v_and_b32_e32 v12, 0xff, v3
	v_cmp_ne_u16_e32 vcc, 0, v12
	s_and_saveexec_b64 s[28:29], vcc
	s_cbranch_execz .LBB6_5532
; %bb.5527:                             ;   in Loop: Header=BB6_5520 Depth=3
	v_cmp_ne_u16_e32 vcc, s91, v12
	v_bfrev_b32_e32 v2, 1
	s_and_saveexec_b64 s[66:67], vcc
	s_cbranch_execz .LBB6_5531
; %bb.5528:                             ;   in Loop: Header=BB6_5520 Depth=3
	v_and_b32_e32 v7, 0x7f, v3
	v_cmp_ne_u32_e32 vcc, s92, v7
	v_mov_b32_e32 v2, 0x7f800001
	s_and_saveexec_b64 s[68:69], vcc
	s_cbranch_execz .LBB6_5530
; %bb.5529:                             ;   in Loop: Header=BB6_5520 Depth=3
	v_and_b32_e32 v13, 7, v12
	v_lshlrev_b32_e32 v2, 24, v3
	v_and_b32_e32 v15, 0x80000000, v2
	v_ffbh_u32_e32 v2, v13
	v_min_u32_e32 v16, 32, v2
	v_subrev_u32_e32 v2, 28, v16
	v_lshlrev_b64 v[2:3], v2, v[12:13]
	v_lshrrev_b32_e32 v14, 3, v7
	v_sub_u32_e32 v3, 29, v16
	v_and_b32_e32 v2, 7, v2
	v_cmp_gt_u32_e32 vcc, 8, v7
	v_cndmask_b32_e32 v3, v14, v3, vcc
	v_cndmask_b32_e32 v2, v13, v2, vcc
	v_lshlrev_b32_e32 v2, 20, v2
	v_lshl_add_u32 v3, v3, 23, v31
	v_or3_b32 v2, v15, v3, v2
.LBB6_5530:                             ;   in Loop: Header=BB6_5520 Depth=3
	s_or_b64 exec, exec, s[68:69]
.LBB6_5531:                             ;   in Loop: Header=BB6_5520 Depth=3
	s_or_b64 exec, exec, s[66:67]
.LBB6_5532:                             ;   in Loop: Header=BB6_5520 Depth=3
	s_or_b64 exec, exec, s[28:29]
	v_add_f32_e32 v6, v6, v2
	v_and_b32_sdwa v2, v6, s91 dst_sel:DWORD dst_unused:UNUSED_PAD src0_sel:BYTE_3 src1_sel:DWORD
	v_and_b32_e32 v12, 0x7f800000, v6
	v_mov_b32_e32 v13, v27
	v_and_b32_e32 v26, 0x7fffff, v6
	v_or_b32_e32 v3, 0x7e, v2
	v_cmp_ne_u64_e32 vcc, s[52:53], v[12:13]
	s_and_saveexec_b64 s[28:29], vcc
	s_xor_b64 s[66:67], exec, s[28:29]
	s_cbranch_execz .LBB6_5546
; %bb.5533:                             ;   in Loop: Header=BB6_5520 Depth=3
	v_and_b32_e32 v12, 0x7fffffff, v6
	v_mov_b32_e32 v13, v27
	v_cmp_gt_u64_e32 vcc, s[54:55], v[12:13]
	s_and_saveexec_b64 s[28:29], vcc
	s_xor_b64 s[68:69], exec, s[28:29]
	s_cbranch_execz .LBB6_5545
; %bb.5534:                             ;   in Loop: Header=BB6_5520 Depth=3
	v_cmp_ne_u32_e32 vcc, 0, v6
	v_mov_b32_e32 v3, 0
	s_and_saveexec_b64 s[70:71], vcc
	s_cbranch_execz .LBB6_5544
; %bb.5535:                             ;   in Loop: Header=BB6_5520 Depth=3
	v_bfe_u32 v3, v6, 23, 8
	v_sub_u32_e32 v7, 0x79, v3
	v_cmp_gt_u32_e32 vcc, s93, v3
	v_add_u32_e32 v6, 0xffffff81, v3
	v_cndmask_b32_e32 v7, 0, v7, vcc
	v_cmp_eq_u32_e32 vcc, 0, v3
	v_mov_b32_e32 v0, 0xffffff82
	v_cndmask_b32_e32 v3, v6, v0, vcc
	v_mov_b32_e32 v0, 0x78
	v_cndmask_b32_e32 v18, v7, v0, vcc
	v_add_u32_e32 v6, 20, v18
	v_or_b32_e32 v12, 0x800000, v26
	v_lshlrev_b64 v[6:7], v6, -1
	v_cndmask_b32_e32 v26, v12, v26, vcc
	v_not_b32_e32 v6, v6
	v_and_b32_e32 v12, v26, v6
	v_add_u32_e32 v6, 19, v18
	v_lshrrev_b64 v[16:17], v18, v[26:27]
	v_not_b32_e32 v7, v7
	v_lshlrev_b64 v[14:15], v6, 1
	v_lshrrev_b32_e32 v6, 23, v16
	v_and_b32_e32 v13, 0, v7
	v_add3_u32 v7, v18, v3, v6
	v_bfe_u32 v6, v16, 20, 1
	v_add_u32_e32 v6, -1, v6
	v_cmp_eq_u64_e32 vcc, v[12:13], v[14:15]
	v_cndmask_b32_e32 v6, 0, v6, vcc
	v_add_u32_e32 v6, v6, v16
	v_and_b32_e32 v6, 0xfffff, v6
	v_add_co_u32_e32 v12, vcc, v6, v16
	v_add_u32_e32 v3, 6, v7
	v_addc_co_u32_e32 v13, vcc, 0, v17, vcc
	v_cmp_ne_u32_e32 vcc, 0, v3
                                        ; implicit-def: $vgpr6
	s_and_saveexec_b64 s[28:29], vcc
	s_xor_b64 s[28:29], exec, s[28:29]
; %bb.5536:                             ;   in Loop: Header=BB6_5520 Depth=3
	v_add_u32_e32 v6, 7, v7
	v_cmp_lt_u64_e32 vcc, s[56:57], v[12:13]
	v_cndmask_b32_e32 v6, v3, v6, vcc
	v_cndmask_b32_e64 v3, 0, 1, vcc
	v_lshrrev_b64 v[12:13], v3, v[12:13]
; %bb.5537:                             ;   in Loop: Header=BB6_5520 Depth=3
	s_andn2_saveexec_b64 s[28:29], s[28:29]
; %bb.5538:                             ;   in Loop: Header=BB6_5520 Depth=3
	v_bfe_u32 v6, v12, 23, 1
; %bb.5539:                             ;   in Loop: Header=BB6_5520 Depth=3
	s_or_b64 exec, exec, s[28:29]
	v_lshrrev_b64 v[12:13], 20, v[12:13]
	v_cmp_gt_i32_e32 vcc, 16, v6
	v_cndmask_b32_e32 v13, 0, v13, vcc
	v_cndmask_b32_e32 v12, 7, v12, vcc
	v_cmp_ne_u32_e32 vcc, 0, v6
	v_cmp_ne_u64_e64 s[28:29], 0, v[12:13]
	s_or_b64 s[28:29], vcc, s[28:29]
                                        ; implicit-def: $vgpr3
	s_and_saveexec_b64 vcc, s[28:29]
	s_xor_b64 s[28:29], exec, vcc
; %bb.5540:                             ;   in Loop: Header=BB6_5520 Depth=3
	v_min_i32_e32 v3, 15, v6
	v_lshl_or_b32 v2, v3, 3, v2
	v_and_or_b32 v3, v12, 7, v2
                                        ; implicit-def: $vgpr2
; %bb.5541:                             ;   in Loop: Header=BB6_5520 Depth=3
	s_andn2_saveexec_b64 s[28:29], s[28:29]
; %bb.5542:                             ;   in Loop: Header=BB6_5520 Depth=3
	v_mov_b32_e32 v3, v2
; %bb.5543:                             ;   in Loop: Header=BB6_5520 Depth=3
	s_or_b64 exec, exec, s[28:29]
.LBB6_5544:                             ;   in Loop: Header=BB6_5520 Depth=3
	s_or_b64 exec, exec, s[70:71]
.LBB6_5545:                             ;   in Loop: Header=BB6_5520 Depth=3
	s_andn2_saveexec_b64 s[28:29], s[68:69]
	s_or_b64 exec, exec, s[28:29]
                                        ; implicit-def: $vgpr6
.LBB6_5546:                             ;   in Loop: Header=BB6_5520 Depth=3
	s_andn2_saveexec_b64 s[28:29], s[66:67]
	s_cbranch_execz .LBB6_5519
; %bb.5547:                             ;   in Loop: Header=BB6_5520 Depth=3
	v_or_b32_sdwa v2, v6, s92 dst_sel:DWORD dst_unused:UNUSED_PAD src0_sel:BYTE_3 src1_sel:DWORD
	v_cmp_eq_u64_e32 vcc, 0, v[26:27]
	v_cndmask_b32_e32 v3, v2, v3, vcc
	s_branch .LBB6_5519
.LBB6_5548:                             ;   in Loop: Header=BB6_2119 Depth=2
	s_or_b64 exec, exec, s[34:35]
.LBB6_5549:                             ;   in Loop: Header=BB6_2119 Depth=2
	s_or_b64 exec, exec, s[30:31]
	v_accvgpr_read_b32 v57, a3
	s_and_saveexec_b64 s[28:29], s[10:11]
	s_cbranch_execnz .LBB6_2193
	s_branch .LBB6_2983
.LBB6_5550:                             ;   in Loop: Header=BB6_47 Depth=1
	s_or_b64 exec, exec, s[58:59]
	v_cmp_gt_i32_e32 vcc, 2, v1
	s_and_saveexec_b64 s[30:31], vcc
	s_cbranch_execz .LBB6_5624
.LBB6_5551:                             ;   in Loop: Header=BB6_47 Depth=1
	v_cmp_eq_u32_e64 s[28:29], 0, v1
	s_mov_b64 s[34:35], 0
	s_branch .LBB6_5553
.LBB6_5552:                             ;   in Loop: Header=BB6_5553 Depth=2
	s_or_b64 exec, exec, s[28:29]
	v_accvgpr_read_b32 v0, a58
	v_add_u32_e32 v33, v0, v33
	s_mov_b64 s[28:29], 0
	s_andn2_b64 exec, exec, s[34:35]
	s_cbranch_execz .LBB6_5625
.LBB6_5553:                             ;   Parent Loop BB6_47 Depth=1
                                        ; =>  This Loop Header: Depth=2
                                        ;       Child Loop BB6_5559 Depth 3
                                        ;       Child Loop BB6_5589 Depth 3
	;; [unrolled: 1-line block ×3, first 2 shown]
	v_and_b32_e32 v1, 12, v60
	s_mov_b64 s[60:61], -1
	v_cmp_ne_u32_e32 vcc, 0, v1
	s_and_saveexec_b64 s[58:59], vcc
	s_cbranch_execz .LBB6_5565
; %bb.5554:                             ;   in Loop: Header=BB6_5553 Depth=2
	v_and_b32_e32 v4, 8, v60
	v_add_co_u32_e32 v2, vcc, v48, v4
	v_addc_co_u32_e32 v3, vcc, 0, v49, vcc
	v_accvgpr_read_b32 v6, a12
	v_accvgpr_read_b32 v7, a13
	v_add_co_u32_e32 v8, vcc, 2, v6
	v_addc_co_u32_e32 v9, vcc, 0, v7, vcc
	v_cmp_lt_u64_e32 vcc, v[2:3], v[8:9]
	v_mov_b32_e32 v1, 1
	s_and_saveexec_b64 s[60:61], vcc
	s_cbranch_execz .LBB6_5564
; %bb.5555:                             ;   in Loop: Header=BB6_5553 Depth=2
	s_mov_b64 s[62:63], 0
	v_mov_b32_e32 v1, 0
                                        ; implicit-def: $sgpr64_sgpr65
	s_branch .LBB6_5559
.LBB6_5556:                             ;   in Loop: Header=BB6_5559 Depth=3
	s_or_b64 exec, exec, s[72:73]
	v_mov_b32_e32 v2, 0
	s_orn2_b64 s[70:71], s[70:71], exec
.LBB6_5557:                             ;   in Loop: Header=BB6_5559 Depth=3
	s_or_b64 exec, exec, s[68:69]
	s_andn2_b64 vcc, s[64:65], exec
	s_and_b64 s[64:65], s[70:71], exec
	s_or_b64 s[64:65], vcc, s[64:65]
	v_mov_b32_e32 v1, v2
.LBB6_5558:                             ;   in Loop: Header=BB6_5559 Depth=3
	s_or_b64 exec, exec, s[66:67]
	s_waitcnt vmcnt(0) lgkmcnt(0)
	v_add_co_u32_e32 v2, vcc, v48, v4
	v_addc_co_u32_e32 v3, vcc, 0, v49, vcc
	v_cmp_ge_u64_e32 vcc, v[2:3], v[8:9]
	s_xor_b64 s[66:67], s[64:65], -1
	s_or_b64 vcc, s[66:67], vcc
	s_and_b64 vcc, exec, vcc
	s_or_b64 s[62:63], vcc, s[62:63]
	s_andn2_b64 exec, exec, s[62:63]
	s_cbranch_execz .LBB6_5563
.LBB6_5559:                             ;   Parent Loop BB6_47 Depth=1
                                        ;     Parent Loop BB6_5553 Depth=2
                                        ; =>    This Inner Loop Header: Depth=3
	v_accvgpr_read_b32 v2, a18
	v_accvgpr_read_b32 v3, a19
	s_sleep 1
	flat_load_dwordx2 v[48:49], v[2:3] glc
	v_and_b32_e32 v2, 64, v60
	v_cmp_eq_u32_e32 vcc, 0, v2
	s_andn2_b64 s[64:65], s[64:65], exec
	s_and_saveexec_b64 s[66:67], vcc
	s_cbranch_execz .LBB6_5558
; %bb.5560:                             ;   in Loop: Header=BB6_5559 Depth=3
	v_add_u32_e32 v2, 1, v1
	v_cmp_lt_i32_e32 vcc, s89, v1
	s_mov_b64 s[70:71], -1
	s_and_saveexec_b64 s[68:69], vcc
	s_cbranch_execz .LBB6_5557
; %bb.5561:                             ;   in Loop: Header=BB6_5559 Depth=3
	s_trap 2
	ds_read_b64 v[2:3], v0
	s_waitcnt vmcnt(0) lgkmcnt(0)
	flat_load_dword v1, v[2:3] glc
	s_waitcnt vmcnt(0) lgkmcnt(0)
	buffer_invl2
	buffer_wbinvl1_vol
	v_cmp_ne_u32_e32 vcc, 0, v1
	s_and_saveexec_b64 s[72:73], vcc
	s_cbranch_execz .LBB6_5556
; %bb.5562:                             ;   in Loop: Header=BB6_5559 Depth=3
	v_or_b32_e32 v60, 64, v60
	s_xor_b64 s[70:71], exec, -1
	ds_write_b32 v0, v1
	s_trap 2
	s_branch .LBB6_5556
.LBB6_5563:                             ;   in Loop: Header=BB6_5553 Depth=2
	s_or_b64 exec, exec, s[62:63]
	v_and_b32_e32 v1, 12, v60
.LBB6_5564:                             ;   in Loop: Header=BB6_5553 Depth=2
	s_or_b64 exec, exec, s[60:61]
	v_cmp_eq_u32_e32 vcc, 0, v1
	s_orn2_b64 s[60:61], vcc, exec
	;;#ASMSTART
	s_wakeup
	;;#ASMEND
.LBB6_5565:                             ;   in Loop: Header=BB6_5553 Depth=2
	s_or_b64 exec, exec, s[58:59]
	s_xor_b64 s[28:29], s[28:29], -1
	s_and_b64 s[28:29], exec, s[28:29]
	v_sub_u32_e32 v1, v35, v33
	v_accvgpr_read_b32 v0, a58
	s_or_b64 s[34:35], s[28:29], s[34:35]
	v_min_i32_e32 v0, v0, v1
	s_xor_b64 s[28:29], s[60:61], -1
	v_accvgpr_write_b32 a58, v0
	s_and_saveexec_b64 s[58:59], s[28:29]
	s_cbranch_execz .LBB6_5581
; %bb.5566:                             ;   in Loop: Header=BB6_5553 Depth=2
	v_and_b32_e32 v1, 0x108, v60
	v_accvgpr_read_b32 v2, a12
	v_cmp_ne_u32_e32 vcc, s90, v1
	v_and_b32_e32 v4, 7, v2
	v_accvgpr_read_b32 v3, a13
	s_and_saveexec_b64 s[28:29], vcc
	s_xor_b64 s[28:29], exec, s[28:29]
	s_andn2_saveexec_b64 s[28:29], s[28:29]
	s_cbranch_execz .LBB6_5568
; %bb.5567:                             ;   in Loop: Header=BB6_5553 Depth=2
	v_accvgpr_read_b32 v2, a14
	v_accvgpr_read_b32 v3, a15
	;; [unrolled: 1-line block ×3, first 2 shown]
	v_mad_u64_u32 v[2:3], vcc, v4, 24, v[2:3]
	v_ashrrev_i32_e32 v1, 31, v0
	flat_store_dwordx2 v[2:3], v[0:1] offset:8
.LBB6_5568:                             ;   in Loop: Header=BB6_5553 Depth=2
	s_or_b64 exec, exec, s[28:29]
	v_and_b32_e32 v1, 0x100, v60
	v_cmp_ne_u32_e32 vcc, 0, v1
	s_mov_b64 s[28:29], -1
                                        ; implicit-def: $vgpr8_vgpr9
	s_and_saveexec_b64 s[60:61], vcc
	s_cbranch_execz .LBB6_5572
; %bb.5569:                             ;   in Loop: Header=BB6_5553 Depth=2
	v_accvgpr_read_b32 v2, a14
	v_accvgpr_read_b32 v3, a15
	v_mad_u64_u32 v[10:11], s[28:29], v4, 24, v[2:3]
	v_mov_b32_e32 v2, v11
	v_mad_u64_u32 v[2:3], s[28:29], v27, 24, v[2:3]
	v_mov_b32_e32 v11, v2
	flat_load_dword v1, v[10:11]
                                        ; implicit-def: $vgpr8_vgpr9
	s_waitcnt vmcnt(0) lgkmcnt(0)
	v_cmp_ne_u32_e32 vcc, 1, v1
	v_cmp_eq_u32_e64 s[28:29], 1, v1
	s_and_saveexec_b64 s[62:63], s[28:29]
	s_cbranch_execz .LBB6_5571
; %bb.5570:                             ;   in Loop: Header=BB6_5553 Depth=2
	flat_load_dword v8, v[10:11] offset:4 glc
	s_waitcnt vmcnt(0) lgkmcnt(0)
	v_ashrrev_i32_e32 v9, 31, v8
.LBB6_5571:                             ;   in Loop: Header=BB6_5553 Depth=2
	s_or_b64 exec, exec, s[62:63]
	s_orn2_b64 s[28:29], vcc, exec
.LBB6_5572:                             ;   in Loop: Header=BB6_5553 Depth=2
	s_or_b64 exec, exec, s[60:61]
	s_and_saveexec_b64 vcc, s[28:29]
; %bb.5573:                             ;   in Loop: Header=BB6_5553 Depth=2
	v_accvgpr_read_b32 v6, a20
	v_accvgpr_read_b32 v3, a21
	v_mul_lo_u32 v1, v27, v6
	v_mul_lo_u32 v2, v4, v3
	v_mad_u64_u32 v[8:9], s[28:29], v4, v6, 0
	v_add3_u32 v9, v9, v2, v1
; %bb.5574:                             ;   in Loop: Header=BB6_5553 Depth=2
	s_or_b64 exec, exec, vcc
	v_accvgpr_read_b32 v2, a22
	v_accvgpr_read_b32 v3, a23
	v_add_co_u32_e32 v2, vcc, v2, v8
	v_addc_co_u32_e32 v3, vcc, v3, v9, vcc
	v_and_b32_e32 v1, 0x2000, v60
	v_cmp_ne_u32_e32 vcc, 0, v1
	s_trap 2
	ds_write_b64 v0, v[2:3]
	s_and_saveexec_b64 s[28:29], vcc
	s_cbranch_execz .LBB6_5576
; %bb.5575:                             ;   in Loop: Header=BB6_5553 Depth=2
	ds_read_b64 v[2:3], v0 offset:584
	s_waitcnt lgkmcnt(0)
	v_add_co_u32_e32 v2, vcc, 1, v2
	v_addc_co_u32_e32 v3, vcc, 0, v3, vcc
	ds_write_b64 v0, v[2:3] offset:584
.LBB6_5576:                             ;   in Loop: Header=BB6_5553 Depth=2
	s_or_b64 exec, exec, s[28:29]
	v_accvgpr_read_b32 v2, a12
	v_accvgpr_read_b32 v3, a13
	v_add_co_u32_e32 v2, vcc, 2, v2
	v_addc_co_u32_e32 v3, vcc, 0, v3, vcc
	v_accvgpr_write_b32 a13, v3
	v_accvgpr_write_b32 a12, v2
	s_or_b64 exec, exec, s[58:59]
	s_and_saveexec_b64 s[28:29], s[10:11]
	s_cbranch_execnz .LBB6_5582
.LBB6_5577:                             ;   in Loop: Header=BB6_5553 Depth=2
	s_or_b64 exec, exec, s[28:29]
                                        ; implicit-def: $vgpr1
	s_and_saveexec_b64 s[28:29], s[24:25]
	s_xor_b64 s[28:29], exec, s[28:29]
	s_cbranch_execz .LBB6_5600
.LBB6_5578:                             ;   in Loop: Header=BB6_5553 Depth=2
	s_trap 2
	ds_read_b32 v2, v0
	v_accvgpr_read_b32 v0, a58
	v_cmp_lt_i32_e32 vcc, 0, v0
	v_and_b32_e32 v3, 16, v60
	v_and_b32_e32 v1, 16, v60
	s_waitcnt lgkmcnt(0)
	v_readfirstlane_b32 s47, v2
	s_cmp_eq_u32 s47, 0
	s_cselect_b64 s[58:59], -1, 0
	s_and_b64 s[58:59], vcc, s[58:59]
	v_cmp_ne_u32_e32 vcc, 0, v3
	s_and_b64 s[58:59], vcc, s[58:59]
	s_and_saveexec_b64 vcc, s[58:59]
	s_cbranch_execz .LBB6_5580
; %bb.5579:                             ;   in Loop: Header=BB6_5553 Depth=2
	v_mov_b32_e32 v1, 1
	s_waitcnt vmcnt(0)
	buffer_wbinvl1_vol
.LBB6_5580:                             ;   in Loop: Header=BB6_5553 Depth=2
	s_or_b64 exec, exec, vcc
	s_andn2_saveexec_b64 s[28:29], s[28:29]
	s_cbranch_execz .LBB6_5619
	s_branch .LBB6_5601
.LBB6_5581:                             ;   in Loop: Header=BB6_5553 Depth=2
	s_or_b64 exec, exec, s[58:59]
	s_and_saveexec_b64 s[28:29], s[10:11]
	s_cbranch_execz .LBB6_5577
.LBB6_5582:                             ;   in Loop: Header=BB6_5553 Depth=2
	s_and_saveexec_b64 vcc, s[44:45]
	s_xor_b64 s[58:59], exec, vcc
	s_cbranch_execz .LBB6_5597
; %bb.5583:                             ;   in Loop: Header=BB6_5553 Depth=2
	s_and_saveexec_b64 s[60:61], s[16:17]
	s_cbranch_execz .LBB6_5596
; %bb.5584:                             ;   in Loop: Header=BB6_5553 Depth=2
	s_mov_b64 s[64:65], exec
	v_mbcnt_lo_u32_b32 v1, s64, 0
	v_mbcnt_hi_u32_b32 v1, s65, v1
	v_cmp_eq_u32_e32 vcc, 0, v1
	s_waitcnt vmcnt(0) lgkmcnt(0)
	buffer_wbinvl1_vol
	s_and_saveexec_b64 s[62:63], vcc
	s_cbranch_execz .LBB6_5586
; %bb.5585:                             ;   in Loop: Header=BB6_5553 Depth=2
	s_bcnt1_i32_b64 vcc_lo, s[64:65]
	v_mov_b32_e32 v26, vcc_lo
	ds_add_u64 v0, v[26:27]
	s_trap 2
.LBB6_5586:                             ;   in Loop: Header=BB6_5553 Depth=2
	s_or_b64 exec, exec, s[62:63]
	s_trap 2
	ds_read_b64 v[2:3], v0
	v_accvgpr_read_b32 v4, a16
	v_accvgpr_read_b32 v0, a26
	;; [unrolled: 1-line block ×3, first 2 shown]
	v_add_co_u32_e32 v4, vcc, v4, v0
	v_addc_co_u32_e32 v5, vcc, 0, v5, vcc
	v_accvgpr_write_b32 a17, v5
	v_accvgpr_write_b32 a16, v4
	s_waitcnt lgkmcnt(0)
	v_cmp_lt_u64_e32 vcc, v[2:3], v[4:5]
	s_and_saveexec_b64 s[62:63], vcc
	s_cbranch_execz .LBB6_5595
; %bb.5587:                             ;   in Loop: Header=BB6_5553 Depth=2
	s_mov_b32 s47, 0
	s_mov_b64 s[64:65], 0
                                        ; implicit-def: $sgpr66_sgpr67
                                        ; implicit-def: $sgpr68_sgpr69
	s_branch .LBB6_5589
.LBB6_5588:                             ;   in Loop: Header=BB6_5589 Depth=3
	s_or_b64 exec, exec, s[72:73]
	s_and_b64 vcc, exec, vcc
	s_or_b64 s[64:65], vcc, s[64:65]
	s_andn2_b64 vcc, s[66:67], exec
	s_and_b64 s[66:67], s[68:69], exec
	s_or_b64 s[66:67], vcc, s[66:67]
	s_andn2_b64 exec, exec, s[64:65]
	s_cbranch_execz .LBB6_5593
.LBB6_5589:                             ;   Parent Loop BB6_47 Depth=1
                                        ;     Parent Loop BB6_5553 Depth=2
                                        ; =>    This Inner Loop Header: Depth=3
	s_add_i32 s47, s47, 1
	s_cmpk_lg_i32 s47, 0x2710
	s_cselect_b64 s[70:71], -1, 0
	s_and_b64 vcc, exec, s[70:71]
                                        ; implicit-def: $sgpr72_sgpr73
	s_cbranch_vccnz .LBB6_5591
; %bb.5590:                             ;   in Loop: Header=BB6_5589 Depth=3
	s_trap 2
	ds_read_b64 v[2:3], v0
	s_andn2_b64 s[70:71], s[70:71], exec
	s_mov_b32 s47, 0
	s_mov_b64 s[72:73], -1
	s_waitcnt lgkmcnt(0)
	flat_load_dword v1, v[2:3] glc
	s_waitcnt vmcnt(0) lgkmcnt(0)
	buffer_invl2
	buffer_wbinvl1_vol
	v_cmp_eq_u32_e32 vcc, 0, v1
	s_and_b64 vcc, vcc, exec
	s_or_b64 s[70:71], s[70:71], vcc
.LBB6_5591:                             ;   in Loop: Header=BB6_5589 Depth=3
	s_andn2_b64 s[68:69], s[68:69], exec
	s_and_b64 s[72:73], s[72:73], exec
	s_mov_b64 vcc, -1
	s_or_b64 s[68:69], s[68:69], s[72:73]
	s_and_saveexec_b64 s[72:73], s[70:71]
	s_cbranch_execz .LBB6_5588
; %bb.5592:                             ;   in Loop: Header=BB6_5589 Depth=3
	s_sleep 1
	s_trap 2
	ds_read_b64 v[2:3], v0
	v_accvgpr_read_b32 v4, a16
	v_accvgpr_read_b32 v5, a17
	s_andn2_b64 s[68:69], s[68:69], exec
	s_waitcnt lgkmcnt(0)
	v_cmp_ge_u64_e32 vcc, v[2:3], v[4:5]
	s_orn2_b64 vcc, vcc, exec
	s_branch .LBB6_5588
.LBB6_5593:                             ;   in Loop: Header=BB6_5553 Depth=2
	s_or_b64 exec, exec, s[64:65]
	s_and_saveexec_b64 vcc, s[66:67]
	s_xor_b64 vcc, exec, vcc
	s_cbranch_execz .LBB6_5595
; %bb.5594:                             ;   in Loop: Header=BB6_5553 Depth=2
	v_mov_b32_e32 v0, 1
	ds_write_b32 v0, v0
	s_trap 2
.LBB6_5595:                             ;   in Loop: Header=BB6_5553 Depth=2
	s_or_b64 exec, exec, s[62:63]
	;;#ASMSTART
	s_wakeup
	;;#ASMEND
.LBB6_5596:                             ;   in Loop: Header=BB6_5553 Depth=2
	s_or_b64 exec, exec, s[60:61]
.LBB6_5597:                             ;   in Loop: Header=BB6_5553 Depth=2
	s_andn2_saveexec_b64 vcc, s[58:59]
	s_cbranch_execz .LBB6_5599
; %bb.5598:                             ;   in Loop: Header=BB6_5553 Depth=2
	s_waitcnt vmcnt(0) lgkmcnt(0)
	buffer_wbinvl1_vol
	s_barrier
.LBB6_5599:                             ;   in Loop: Header=BB6_5553 Depth=2
	s_or_b64 exec, exec, vcc
	s_or_b64 exec, exec, s[28:29]
                                        ; implicit-def: $vgpr1
	s_and_saveexec_b64 s[28:29], s[24:25]
	s_xor_b64 s[28:29], exec, s[28:29]
	s_cbranch_execnz .LBB6_5578
.LBB6_5600:                             ;   in Loop: Header=BB6_5553 Depth=2
	s_andn2_saveexec_b64 s[28:29], s[28:29]
	s_cbranch_execz .LBB6_5619
.LBB6_5601:                             ;   in Loop: Header=BB6_5553 Depth=2
	s_and_saveexec_b64 vcc, s[44:45]
	s_xor_b64 s[58:59], exec, vcc
	s_cbranch_execz .LBB6_5616
; %bb.5602:                             ;   in Loop: Header=BB6_5553 Depth=2
	s_and_saveexec_b64 s[60:61], s[16:17]
	s_cbranch_execz .LBB6_5615
; %bb.5603:                             ;   in Loop: Header=BB6_5553 Depth=2
	s_mov_b64 s[64:65], exec
	v_mbcnt_lo_u32_b32 v1, s64, 0
	v_mbcnt_hi_u32_b32 v1, s65, v1
	v_cmp_eq_u32_e32 vcc, 0, v1
	;;#ASMSTART
	s_waitcnt lgkmcnt(0) vmcnt(0)
	;;#ASMEND
	s_and_saveexec_b64 s[62:63], vcc
	s_cbranch_execz .LBB6_5605
; %bb.5604:                             ;   in Loop: Header=BB6_5553 Depth=2
	s_bcnt1_i32_b64 vcc_lo, s[64:65]
	v_mov_b32_e32 v26, vcc_lo
	ds_add_u64 v0, v[26:27]
	s_trap 2
.LBB6_5605:                             ;   in Loop: Header=BB6_5553 Depth=2
	s_or_b64 exec, exec, s[62:63]
	s_trap 2
	ds_read_b64 v[2:3], v0
	v_accvgpr_read_b32 v4, a16
	v_accvgpr_read_b32 v0, a26
	;; [unrolled: 1-line block ×3, first 2 shown]
	v_add_co_u32_e32 v4, vcc, v4, v0
	v_addc_co_u32_e32 v5, vcc, 0, v5, vcc
	v_accvgpr_write_b32 a17, v5
	v_accvgpr_write_b32 a16, v4
	s_waitcnt lgkmcnt(0)
	v_cmp_lt_u64_e32 vcc, v[2:3], v[4:5]
	s_and_saveexec_b64 s[62:63], vcc
	s_cbranch_execz .LBB6_5614
; %bb.5606:                             ;   in Loop: Header=BB6_5553 Depth=2
	s_mov_b32 s47, 0
	s_mov_b64 s[64:65], 0
                                        ; implicit-def: $sgpr66_sgpr67
                                        ; implicit-def: $sgpr68_sgpr69
	s_branch .LBB6_5608
.LBB6_5607:                             ;   in Loop: Header=BB6_5608 Depth=3
	s_or_b64 exec, exec, s[72:73]
	s_and_b64 vcc, exec, vcc
	s_or_b64 s[64:65], vcc, s[64:65]
	s_andn2_b64 vcc, s[66:67], exec
	s_and_b64 s[66:67], s[68:69], exec
	s_or_b64 s[66:67], vcc, s[66:67]
	s_andn2_b64 exec, exec, s[64:65]
	s_cbranch_execz .LBB6_5612
.LBB6_5608:                             ;   Parent Loop BB6_47 Depth=1
                                        ;     Parent Loop BB6_5553 Depth=2
                                        ; =>    This Inner Loop Header: Depth=3
	s_add_i32 s47, s47, 1
	s_cmpk_lg_i32 s47, 0x2710
	s_cselect_b64 s[70:71], -1, 0
	s_and_b64 vcc, exec, s[70:71]
                                        ; implicit-def: $sgpr72_sgpr73
	s_cbranch_vccnz .LBB6_5610
; %bb.5609:                             ;   in Loop: Header=BB6_5608 Depth=3
	s_trap 2
	ds_read_b64 v[2:3], v0
	s_andn2_b64 s[70:71], s[70:71], exec
	s_mov_b32 s47, 0
	s_mov_b64 s[72:73], -1
	s_waitcnt vmcnt(0) lgkmcnt(0)
	flat_load_dword v1, v[2:3] glc
	s_waitcnt vmcnt(0) lgkmcnt(0)
	buffer_invl2
	buffer_wbinvl1_vol
	v_cmp_eq_u32_e32 vcc, 0, v1
	s_and_b64 vcc, vcc, exec
	s_or_b64 s[70:71], s[70:71], vcc
.LBB6_5610:                             ;   in Loop: Header=BB6_5608 Depth=3
	s_andn2_b64 s[68:69], s[68:69], exec
	s_and_b64 s[72:73], s[72:73], exec
	s_mov_b64 vcc, -1
	s_or_b64 s[68:69], s[68:69], s[72:73]
	s_and_saveexec_b64 s[72:73], s[70:71]
	s_cbranch_execz .LBB6_5607
; %bb.5611:                             ;   in Loop: Header=BB6_5608 Depth=3
	s_sleep 1
	s_trap 2
	ds_read_b64 v[2:3], v0
	v_accvgpr_read_b32 v4, a16
	v_accvgpr_read_b32 v5, a17
	s_andn2_b64 s[68:69], s[68:69], exec
	s_waitcnt lgkmcnt(0)
	v_cmp_ge_u64_e32 vcc, v[2:3], v[4:5]
	s_orn2_b64 vcc, vcc, exec
	s_branch .LBB6_5607
.LBB6_5612:                             ;   in Loop: Header=BB6_5553 Depth=2
	s_or_b64 exec, exec, s[64:65]
	s_and_saveexec_b64 vcc, s[66:67]
	s_xor_b64 vcc, exec, vcc
	s_cbranch_execz .LBB6_5614
; %bb.5613:                             ;   in Loop: Header=BB6_5553 Depth=2
	v_mov_b32_e32 v0, 1
	ds_write_b32 v0, v0
	s_trap 2
.LBB6_5614:                             ;   in Loop: Header=BB6_5553 Depth=2
	s_or_b64 exec, exec, s[62:63]
	;;#ASMSTART
	s_wakeup
	;;#ASMEND
.LBB6_5615:                             ;   in Loop: Header=BB6_5553 Depth=2
	s_or_b64 exec, exec, s[60:61]
.LBB6_5616:                             ;   in Loop: Header=BB6_5553 Depth=2
	s_andn2_saveexec_b64 vcc, s[58:59]
	s_cbranch_execz .LBB6_5618
; %bb.5617:                             ;   in Loop: Header=BB6_5553 Depth=2
	;;#ASMSTART
	s_waitcnt lgkmcnt(0) vmcnt(0)
	;;#ASMEND
	s_barrier
.LBB6_5618:                             ;   in Loop: Header=BB6_5553 Depth=2
	s_or_b64 exec, exec, vcc
	v_and_b32_e32 v1, 16, v60
.LBB6_5619:                             ;   in Loop: Header=BB6_5553 Depth=2
	s_or_b64 exec, exec, s[28:29]
	v_cmp_ne_u32_e32 vcc, 0, v1
	s_xor_b64 s[28:29], s[12:13], -1
	s_and_b64 vcc, vcc, s[28:29]
	s_and_saveexec_b64 s[28:29], vcc
	s_cbranch_execz .LBB6_5621
; %bb.5620:                             ;   in Loop: Header=BB6_5553 Depth=2
	v_accvgpr_read_b32 v2, a24
	v_accvgpr_read_b32 v3, a25
	v_mov_b32_e32 v0, 1
	flat_store_dword v[2:3], v0
.LBB6_5621:                             ;   in Loop: Header=BB6_5553 Depth=2
	s_or_b64 exec, exec, s[28:29]
	v_and_b32_e32 v1, 48, v60
	v_cmp_ne_u32_e32 vcc, 0, v1
	s_and_saveexec_b64 s[28:29], vcc
	s_cbranch_execz .LBB6_5552
; %bb.5622:                             ;   in Loop: Header=BB6_5553 Depth=2
	v_accvgpr_read_b32 v2, a12
	v_accvgpr_read_b32 v3, a13
	v_add_co_u32_e32 v2, vcc, 2, v2
	v_addc_co_u32_e32 v3, vcc, 0, v3, vcc
	v_accvgpr_write_b32 a13, v3
	v_accvgpr_read_b32 v4, a18
	v_accvgpr_write_b32 a12, v2
	v_accvgpr_read_b32 v5, a19
	flat_store_dwordx2 v[4:5], v[2:3]
	s_branch .LBB6_5552
.LBB6_5623:                             ;   in Loop: Header=BB6_47 Depth=1
	s_or_b64 exec, exec, s[60:61]
	s_or_b64 exec, exec, s[58:59]
	v_cmp_gt_i32_e32 vcc, 2, v1
	s_and_saveexec_b64 s[30:31], vcc
	s_cbranch_execnz .LBB6_5551
.LBB6_5624:                             ;   in Loop: Header=BB6_47 Depth=1
	s_or_b64 exec, exec, s[30:31]
	s_and_b64 vcc, exec, s[26:27]
	s_cbranch_vccz .LBB6_5626
	s_branch .LBB6_5882
.LBB6_5625:                             ;   in Loop: Header=BB6_47 Depth=1
	s_or_b64 exec, exec, s[34:35]
	s_or_b64 exec, exec, s[30:31]
	s_and_b64 vcc, exec, s[26:27]
	s_cbranch_vccnz .LBB6_5882
.LBB6_5626:                             ;   in Loop: Header=BB6_47 Depth=1
	s_mov_b32 s47, 1
.LBB6_5627:                             ;   Parent Loop BB6_47 Depth=1
                                        ; =>  This Loop Header: Depth=2
                                        ;       Child Loop BB6_5630 Depth 3
                                        ;         Child Loop BB6_5638 Depth 4
                                        ;         Child Loop BB6_5664 Depth 4
	;; [unrolled: 1-line block ×9, first 2 shown]
                                        ;           Child Loop BB6_5724 Depth 5
                                        ;         Child Loop BB6_5733 Depth 4
                                        ;         Child Loop BB6_5738 Depth 4
                                        ;           Child Loop BB6_5739 Depth 5
                                        ;         Child Loop BB6_5711 Depth 4
                                        ;         Child Loop BB6_5790 Depth 4
                                        ;       Child Loop BB6_5808 Depth 3
                                        ;         Child Loop BB6_5814 Depth 4
                                        ;         Child Loop BB6_5844 Depth 4
	;; [unrolled: 1-line block ×3, first 2 shown]
	s_sub_i32 s26, s82, s47
	s_cmp_le_i32 s76, s26
	s_cselect_b32 s27, s76, 0
	s_sub_i32 s26, s26, s27
	v_accvgpr_read_b32 v6, a52
	s_ashr_i32 s27, s26, 31
	v_accvgpr_read_b32 v7, a53
	v_mul_lo_u32 v1, v6, s27
	v_mul_lo_u32 v4, v7, s26
	v_mad_u64_u32 v[2:3], s[26:27], v6, s26, 0
	v_add3_u32 v3, v3, v1, v4
	v_accvgpr_read_b32 v0, a54
	v_accvgpr_read_b32 v1, a55
	v_sub_co_u32_e32 v4, vcc, v0, v2
	v_subb_co_u32_e32 v5, vcc, v1, v3, vcc
	v_cmp_lt_i64_e32 vcc, v[6:7], v[4:5]
	v_cndmask_b32_e32 v5, v4, v6, vcc
	v_max_i32_e32 v1, 0, v5
	v_add_u32_e32 v4, 31, v1
	v_lshrrev_b32_e32 v4, 1, v4
	v_and_b32_e32 v4, 0x3ffffff0, v4
	v_cmp_lt_i32_e32 vcc, 0, v5
	v_max_i32_e32 v4, s85, v4
	s_and_b64 s[26:27], s[50:51], vcc
	v_mov_b32_e32 v5, 0
	v_mov_b32_e32 v6, 0
	s_and_saveexec_b64 s[58:59], s[26:27]
	s_cbranch_execz .LBB6_5805
; %bb.5628:                             ;   in Loop: Header=BB6_5627 Depth=2
	v_accvgpr_read_b32 v0, a49
	v_add_co_u32_e32 v7, vcc, v2, v0
	v_accvgpr_read_b32 v0, a56
	v_addc_co_u32_e32 v16, vcc, v3, v0, vcc
	s_mov_b32 s74, 1
	s_mov_b64 s[62:63], -1
	s_mov_b64 s[60:61], 0
	v_mov_b32_e32 v6, 0
	s_branch .LBB6_5630
.LBB6_5629:                             ;   in Loop: Header=BB6_5630 Depth=3
	s_or_b64 exec, exec, s[26:27]
	v_add_u32_e32 v6, v4, v6
	v_cmp_ge_i32_e32 vcc, v6, v1
	s_xor_b64 s[26:27], s[62:63], -1
	s_or_b64 s[26:27], s[26:27], vcc
	s_and_b64 s[26:27], exec, s[26:27]
	s_or_b64 s[60:61], s[26:27], s[60:61]
	s_mov_b64 s[62:63], 0
	v_mov_b32_e32 v5, s74
	s_mov_b32 s74, 2
	s_andn2_b64 exec, exec, s[60:61]
	s_cbranch_execz .LBB6_5878
.LBB6_5630:                             ;   Parent Loop BB6_47 Depth=1
                                        ;     Parent Loop BB6_5627 Depth=2
                                        ; =>    This Loop Header: Depth=3
                                        ;         Child Loop BB6_5638 Depth 4
                                        ;         Child Loop BB6_5664 Depth 4
	;; [unrolled: 1-line block ×9, first 2 shown]
                                        ;           Child Loop BB6_5724 Depth 5
                                        ;         Child Loop BB6_5733 Depth 4
                                        ;         Child Loop BB6_5738 Depth 4
                                        ;           Child Loop BB6_5739 Depth 5
                                        ;         Child Loop BB6_5711 Depth 4
                                        ;         Child Loop BB6_5790 Depth 4
	s_and_saveexec_b64 s[26:27], s[4:5]
	s_cbranch_execz .LBB6_5632
; %bb.5631:                             ;   in Loop: Header=BB6_5630 Depth=3
	s_trap 2
	ds_read_b128 v[8:11], v0
	v_ashrrev_i32_e32 v5, 31, v6
	s_waitcnt lgkmcnt(0)
	v_add_co_u32_e32 v2, vcc, v8, v7
	v_addc_co_u32_e32 v3, vcc, v9, v16, vcc
	v_add_co_u32_e32 v2, vcc, v2, v6
	v_addc_co_u32_e32 v3, vcc, v3, v5, vcc
	ds_write_b64 v0, v[2:3]
	v_add_co_u32_e32 v2, vcc, v10, v7
	v_addc_co_u32_e32 v3, vcc, v11, v16, vcc
	v_add_co_u32_e32 v2, vcc, v2, v6
	v_addc_co_u32_e32 v3, vcc, v3, v5, vcc
	v_cmp_ne_u64_e32 vcc, 0, v[10:11]
	v_cndmask_b32_e32 v3, 0, v3, vcc
	v_cndmask_b32_e32 v2, 0, v2, vcc
	ds_write_b64 v0, v[2:3]
.LBB6_5632:                             ;   in Loop: Header=BB6_5630 Depth=3
	s_or_b64 exec, exec, s[26:27]
	v_and_b32_e32 v2, 12, v60
	v_cmp_ne_u32_e32 vcc, 0, v2
	s_mov_b64 s[28:29], -1
	s_and_saveexec_b64 s[26:27], vcc
	s_cbranch_execz .LBB6_5644
; %bb.5633:                             ;   in Loop: Header=BB6_5630 Depth=3
	v_and_b32_e32 v2, 8, v60
	v_add_co_u32_e32 v10, vcc, v48, v2
	v_addc_co_u32_e32 v11, vcc, 0, v49, vcc
	v_accvgpr_read_b32 v8, a12
	v_accvgpr_read_b32 v9, a13
	v_add_co_u32_e32 v8, vcc, 2, v8
	v_addc_co_u32_e32 v9, vcc, 0, v9, vcc
	v_cmp_lt_u64_e32 vcc, v[10:11], v[8:9]
	v_mov_b32_e32 v3, 1
	s_and_saveexec_b64 s[28:29], vcc
	s_cbranch_execz .LBB6_5643
; %bb.5634:                             ;   in Loop: Header=BB6_5630 Depth=3
	s_mov_b64 s[30:31], 0
	v_mov_b32_e32 v3, 0
                                        ; implicit-def: $sgpr34_sgpr35
	s_branch .LBB6_5638
.LBB6_5635:                             ;   in Loop: Header=BB6_5638 Depth=4
	s_or_b64 exec, exec, s[70:71]
	v_mov_b32_e32 v5, 0
	s_orn2_b64 s[68:69], s[68:69], exec
.LBB6_5636:                             ;   in Loop: Header=BB6_5638 Depth=4
	s_or_b64 exec, exec, s[66:67]
	s_andn2_b64 vcc, s[34:35], exec
	s_and_b64 s[34:35], s[68:69], exec
	s_or_b64 s[34:35], vcc, s[34:35]
	v_mov_b32_e32 v3, v5
.LBB6_5637:                             ;   in Loop: Header=BB6_5638 Depth=4
	s_or_b64 exec, exec, s[64:65]
	s_waitcnt vmcnt(0) lgkmcnt(0)
	v_add_co_u32_e32 v10, vcc, v48, v2
	v_addc_co_u32_e32 v11, vcc, 0, v49, vcc
	v_cmp_ge_u64_e32 vcc, v[10:11], v[8:9]
	s_xor_b64 s[64:65], s[34:35], -1
	s_or_b64 vcc, s[64:65], vcc
	s_and_b64 vcc, exec, vcc
	s_or_b64 s[30:31], vcc, s[30:31]
	s_andn2_b64 exec, exec, s[30:31]
	s_cbranch_execz .LBB6_5642
.LBB6_5638:                             ;   Parent Loop BB6_47 Depth=1
                                        ;     Parent Loop BB6_5627 Depth=2
                                        ;       Parent Loop BB6_5630 Depth=3
                                        ; =>      This Inner Loop Header: Depth=4
	v_accvgpr_read_b32 v10, a18
	v_accvgpr_read_b32 v11, a19
	s_sleep 1
	flat_load_dwordx2 v[48:49], v[10:11] glc
	v_and_b32_e32 v5, 64, v60
	v_cmp_eq_u32_e32 vcc, 0, v5
	s_andn2_b64 s[34:35], s[34:35], exec
	s_and_saveexec_b64 s[64:65], vcc
	s_cbranch_execz .LBB6_5637
; %bb.5639:                             ;   in Loop: Header=BB6_5638 Depth=4
	v_add_u32_e32 v5, 1, v3
	v_cmp_lt_i32_e32 vcc, s89, v3
	s_mov_b64 s[68:69], -1
	s_and_saveexec_b64 s[66:67], vcc
	s_cbranch_execz .LBB6_5636
; %bb.5640:                             ;   in Loop: Header=BB6_5638 Depth=4
	s_trap 2
	ds_read_b64 v[10:11], v0
	s_waitcnt vmcnt(0) lgkmcnt(0)
	flat_load_dword v3, v[10:11] glc
	s_waitcnt vmcnt(0) lgkmcnt(0)
	buffer_invl2
	buffer_wbinvl1_vol
	v_cmp_ne_u32_e32 vcc, 0, v3
	s_and_saveexec_b64 s[70:71], vcc
	s_cbranch_execz .LBB6_5635
; %bb.5641:                             ;   in Loop: Header=BB6_5638 Depth=4
	v_or_b32_e32 v60, 64, v60
	s_xor_b64 s[68:69], exec, -1
	ds_write_b32 v0, v3
	s_trap 2
	s_branch .LBB6_5635
.LBB6_5642:                             ;   in Loop: Header=BB6_5630 Depth=3
	s_or_b64 exec, exec, s[30:31]
	v_and_b32_e32 v3, 12, v60
.LBB6_5643:                             ;   in Loop: Header=BB6_5630 Depth=3
	s_or_b64 exec, exec, s[28:29]
	v_cmp_eq_u32_e32 vcc, 0, v3
	s_orn2_b64 s[28:29], vcc, exec
	;;#ASMSTART
	s_wakeup
	;;#ASMEND
.LBB6_5644:                             ;   in Loop: Header=BB6_5630 Depth=3
	s_or_b64 exec, exec, s[26:27]
	v_sub_u32_e32 v2, v1, v6
	s_xor_b64 s[26:27], s[28:29], -1
	v_min_i32_e32 v4, v4, v2
	s_and_saveexec_b64 s[28:29], s[26:27]
	s_cbranch_execz .LBB6_5656
; %bb.5645:                             ;   in Loop: Header=BB6_5630 Depth=3
	v_and_b32_e32 v2, 0x108, v60
	v_cmp_ne_u32_e32 vcc, s90, v2
	v_accvgpr_read_b32 v2, a12
	v_and_b32_e32 v2, 7, v2
	v_accvgpr_read_b32 v3, a13
	s_and_saveexec_b64 s[26:27], vcc
	s_xor_b64 s[26:27], exec, s[26:27]
	s_andn2_saveexec_b64 s[26:27], s[26:27]
	s_cbranch_execz .LBB6_5647
; %bb.5646:                             ;   in Loop: Header=BB6_5630 Depth=3
	v_accvgpr_read_b32 v8, a14
	v_accvgpr_read_b32 v9, a15
	v_mad_u64_u32 v[8:9], vcc, v2, 24, v[8:9]
	v_ashrrev_i32_e32 v5, 31, v4
	flat_store_dwordx2 v[8:9], v[4:5] offset:8
.LBB6_5647:                             ;   in Loop: Header=BB6_5630 Depth=3
	s_or_b64 exec, exec, s[26:27]
	v_and_b32_e32 v3, 0x100, v60
	v_cmp_ne_u32_e32 vcc, 0, v3
	s_mov_b64 s[26:27], -1
                                        ; implicit-def: $vgpr8_vgpr9
	s_and_saveexec_b64 s[30:31], vcc
	s_cbranch_execz .LBB6_5651
; %bb.5648:                             ;   in Loop: Header=BB6_5630 Depth=3
	v_accvgpr_read_b32 v8, a14
	v_accvgpr_read_b32 v9, a15
	v_mad_u64_u32 v[10:11], s[26:27], v2, 24, v[8:9]
	v_mov_b32_e32 v8, v11
	v_mad_u64_u32 v[8:9], s[26:27], v27, 24, v[8:9]
	v_mov_b32_e32 v11, v8
	flat_load_dword v3, v[10:11]
                                        ; implicit-def: $vgpr8_vgpr9
	s_waitcnt vmcnt(0) lgkmcnt(0)
	v_cmp_ne_u32_e32 vcc, 1, v3
	v_cmp_eq_u32_e64 s[26:27], 1, v3
	s_and_saveexec_b64 s[34:35], s[26:27]
	s_cbranch_execz .LBB6_5650
; %bb.5649:                             ;   in Loop: Header=BB6_5630 Depth=3
	flat_load_dword v8, v[10:11] offset:4 glc
	s_waitcnt vmcnt(0) lgkmcnt(0)
	v_ashrrev_i32_e32 v9, 31, v8
.LBB6_5650:                             ;   in Loop: Header=BB6_5630 Depth=3
	s_or_b64 exec, exec, s[34:35]
	s_orn2_b64 s[26:27], vcc, exec
.LBB6_5651:                             ;   in Loop: Header=BB6_5630 Depth=3
	s_or_b64 exec, exec, s[30:31]
	s_and_saveexec_b64 vcc, s[26:27]
; %bb.5652:                             ;   in Loop: Header=BB6_5630 Depth=3
	v_accvgpr_read_b32 v8, a20
	v_accvgpr_read_b32 v5, a21
	v_mul_lo_u32 v3, v27, v8
	v_mul_lo_u32 v5, v2, v5
	v_mad_u64_u32 v[8:9], s[26:27], v2, v8, 0
	v_add3_u32 v9, v9, v5, v3
; %bb.5653:                             ;   in Loop: Header=BB6_5630 Depth=3
	s_or_b64 exec, exec, vcc
	v_accvgpr_read_b32 v2, a22
	v_accvgpr_read_b32 v3, a23
	v_add_co_u32_e32 v2, vcc, v2, v8
	v_addc_co_u32_e32 v3, vcc, v3, v9, vcc
	s_trap 2
	ds_write_b64 v0, v[2:3]
	v_and_b32_e32 v2, 0x2000, v60
	v_cmp_ne_u32_e32 vcc, 0, v2
	s_and_saveexec_b64 s[26:27], vcc
	s_cbranch_execz .LBB6_5655
; %bb.5654:                             ;   in Loop: Header=BB6_5630 Depth=3
	ds_read_b64 v[2:3], v0 offset:584
	s_waitcnt lgkmcnt(0)
	v_add_co_u32_e32 v2, vcc, 1, v2
	v_addc_co_u32_e32 v3, vcc, 0, v3, vcc
	ds_write_b64 v0, v[2:3] offset:584
.LBB6_5655:                             ;   in Loop: Header=BB6_5630 Depth=3
	s_or_b64 exec, exec, s[26:27]
	v_accvgpr_read_b32 v2, a12
	v_accvgpr_read_b32 v3, a13
	v_add_co_u32_e32 v2, vcc, 2, v2
	v_addc_co_u32_e32 v3, vcc, 0, v3, vcc
	v_accvgpr_write_b32 a13, v3
	v_accvgpr_write_b32 a12, v2
.LBB6_5656:                             ;   in Loop: Header=BB6_5630 Depth=3
	s_or_b64 exec, exec, s[28:29]
	s_and_saveexec_b64 s[26:27], s[10:11]
	s_cbranch_execz .LBB6_5675
; %bb.5657:                             ;   in Loop: Header=BB6_5630 Depth=3
	s_and_saveexec_b64 s[28:29], s[44:45]
	s_xor_b64 s[28:29], exec, s[28:29]
	s_cbranch_execz .LBB6_5672
; %bb.5658:                             ;   in Loop: Header=BB6_5630 Depth=3
	s_and_saveexec_b64 s[30:31], s[16:17]
	s_cbranch_execz .LBB6_5671
; %bb.5659:                             ;   in Loop: Header=BB6_5630 Depth=3
	s_mov_b64 s[64:65], exec
	v_mbcnt_lo_u32_b32 v2, s64, 0
	v_mbcnt_hi_u32_b32 v2, s65, v2
	v_cmp_eq_u32_e32 vcc, 0, v2
	s_waitcnt vmcnt(0) lgkmcnt(0)
	buffer_wbinvl1_vol
	s_and_saveexec_b64 s[34:35], vcc
	s_cbranch_execz .LBB6_5661
; %bb.5660:                             ;   in Loop: Header=BB6_5630 Depth=3
	s_bcnt1_i32_b64 vcc_lo, s[64:65]
	v_mov_b32_e32 v26, vcc_lo
	ds_add_u64 v0, v[26:27]
	s_trap 2
.LBB6_5661:                             ;   in Loop: Header=BB6_5630 Depth=3
	s_or_b64 exec, exec, s[34:35]
	s_trap 2
	ds_read_b64 v[2:3], v0
	v_accvgpr_read_b32 v8, a16
	v_accvgpr_read_b32 v0, a26
	;; [unrolled: 1-line block ×3, first 2 shown]
	v_add_co_u32_e32 v8, vcc, v8, v0
	v_addc_co_u32_e32 v9, vcc, 0, v9, vcc
	v_accvgpr_write_b32 a17, v9
	v_accvgpr_write_b32 a16, v8
	s_waitcnt lgkmcnt(0)
	v_cmp_lt_u64_e32 vcc, v[2:3], v[8:9]
	s_and_saveexec_b64 s[34:35], vcc
	s_cbranch_execz .LBB6_5670
; %bb.5662:                             ;   in Loop: Header=BB6_5630 Depth=3
	s_mov_b32 s75, 0
	s_mov_b64 s[64:65], 0
                                        ; implicit-def: $sgpr66_sgpr67
                                        ; implicit-def: $sgpr68_sgpr69
	s_branch .LBB6_5664
.LBB6_5663:                             ;   in Loop: Header=BB6_5664 Depth=4
	s_or_b64 exec, exec, s[72:73]
	s_and_b64 vcc, exec, vcc
	s_or_b64 s[64:65], vcc, s[64:65]
	s_andn2_b64 vcc, s[66:67], exec
	s_and_b64 s[66:67], s[68:69], exec
	s_or_b64 s[66:67], vcc, s[66:67]
	s_andn2_b64 exec, exec, s[64:65]
	s_cbranch_execz .LBB6_5668
.LBB6_5664:                             ;   Parent Loop BB6_47 Depth=1
                                        ;     Parent Loop BB6_5627 Depth=2
                                        ;       Parent Loop BB6_5630 Depth=3
                                        ; =>      This Inner Loop Header: Depth=4
	s_add_i32 s75, s75, 1
	s_cmpk_lg_i32 s75, 0x2710
	s_cselect_b64 s[70:71], -1, 0
	s_and_b64 vcc, exec, s[70:71]
                                        ; implicit-def: $sgpr72_sgpr73
	s_cbranch_vccnz .LBB6_5666
; %bb.5665:                             ;   in Loop: Header=BB6_5664 Depth=4
	s_trap 2
	ds_read_b64 v[2:3], v0
	s_andn2_b64 s[70:71], s[70:71], exec
	s_mov_b32 s75, 0
	s_mov_b64 s[72:73], -1
	s_waitcnt lgkmcnt(0)
	flat_load_dword v2, v[2:3] glc
	s_waitcnt vmcnt(0) lgkmcnt(0)
	buffer_invl2
	buffer_wbinvl1_vol
	v_cmp_eq_u32_e32 vcc, 0, v2
	s_and_b64 vcc, vcc, exec
	s_or_b64 s[70:71], s[70:71], vcc
.LBB6_5666:                             ;   in Loop: Header=BB6_5664 Depth=4
	s_andn2_b64 s[68:69], s[68:69], exec
	s_and_b64 s[72:73], s[72:73], exec
	s_mov_b64 vcc, -1
	s_or_b64 s[68:69], s[68:69], s[72:73]
	s_and_saveexec_b64 s[72:73], s[70:71]
	s_cbranch_execz .LBB6_5663
; %bb.5667:                             ;   in Loop: Header=BB6_5664 Depth=4
	s_sleep 1
	s_trap 2
	ds_read_b64 v[2:3], v0
	v_accvgpr_read_b32 v8, a16
	v_accvgpr_read_b32 v9, a17
	s_andn2_b64 s[68:69], s[68:69], exec
	s_waitcnt lgkmcnt(0)
	v_cmp_ge_u64_e32 vcc, v[2:3], v[8:9]
	s_orn2_b64 vcc, vcc, exec
	s_branch .LBB6_5663
.LBB6_5668:                             ;   in Loop: Header=BB6_5630 Depth=3
	s_or_b64 exec, exec, s[64:65]
	s_and_saveexec_b64 vcc, s[66:67]
	s_xor_b64 vcc, exec, vcc
	s_cbranch_execz .LBB6_5670
; %bb.5669:                             ;   in Loop: Header=BB6_5630 Depth=3
	v_mov_b32_e32 v0, 1
	ds_write_b32 v0, v0
	s_trap 2
.LBB6_5670:                             ;   in Loop: Header=BB6_5630 Depth=3
	s_or_b64 exec, exec, s[34:35]
	;;#ASMSTART
	s_wakeup
	;;#ASMEND
.LBB6_5671:                             ;   in Loop: Header=BB6_5630 Depth=3
	s_or_b64 exec, exec, s[30:31]
.LBB6_5672:                             ;   in Loop: Header=BB6_5630 Depth=3
	s_andn2_saveexec_b64 s[28:29], s[28:29]
	s_cbranch_execz .LBB6_5674
; %bb.5673:                             ;   in Loop: Header=BB6_5630 Depth=3
	s_waitcnt vmcnt(0) lgkmcnt(0)
	buffer_wbinvl1_vol
	s_barrier
.LBB6_5674:                             ;   in Loop: Header=BB6_5630 Depth=3
	s_or_b64 exec, exec, s[28:29]
.LBB6_5675:                             ;   in Loop: Header=BB6_5630 Depth=3
	s_or_b64 exec, exec, s[26:27]
	s_trap 2
	ds_read_b32 v2, v0
	v_and_b32_e32 v3, 0x4000, v60
	v_cmp_ne_u32_e32 vcc, 0, v3
	s_xor_b64 s[26:27], s[6:7], -1
	s_and_b64 s[28:29], s[26:27], vcc
	s_and_saveexec_b64 s[26:27], s[28:29]
	s_cbranch_execz .LBB6_5694
; %bb.5676:                             ;   in Loop: Header=BB6_5630 Depth=3
	s_and_saveexec_b64 s[28:29], s[44:45]
	s_xor_b64 s[28:29], exec, s[28:29]
	s_cbranch_execz .LBB6_5691
; %bb.5677:                             ;   in Loop: Header=BB6_5630 Depth=3
	s_and_saveexec_b64 s[30:31], s[16:17]
	s_cbranch_execz .LBB6_5690
; %bb.5678:                             ;   in Loop: Header=BB6_5630 Depth=3
	s_mov_b64 s[64:65], exec
	v_mbcnt_lo_u32_b32 v3, s64, 0
	v_mbcnt_hi_u32_b32 v3, s65, v3
	v_cmp_eq_u32_e32 vcc, 0, v3
	s_waitcnt vmcnt(0) lgkmcnt(0)
	buffer_wbinvl1_vol
	s_and_saveexec_b64 s[34:35], vcc
	s_cbranch_execz .LBB6_5680
; %bb.5679:                             ;   in Loop: Header=BB6_5630 Depth=3
	s_bcnt1_i32_b64 vcc_lo, s[64:65]
	v_mov_b32_e32 v26, vcc_lo
	ds_add_u64 v0, v[26:27]
	s_trap 2
.LBB6_5680:                             ;   in Loop: Header=BB6_5630 Depth=3
	s_or_b64 exec, exec, s[34:35]
	s_trap 2
	ds_read_b64 v[8:9], v0
	v_accvgpr_read_b32 v10, a16
	v_accvgpr_read_b32 v0, a26
	;; [unrolled: 1-line block ×3, first 2 shown]
	v_add_co_u32_e32 v10, vcc, v10, v0
	v_addc_co_u32_e32 v11, vcc, 0, v11, vcc
	v_accvgpr_write_b32 a17, v11
	v_accvgpr_write_b32 a16, v10
	s_waitcnt lgkmcnt(0)
	v_cmp_lt_u64_e32 vcc, v[8:9], v[10:11]
	s_and_saveexec_b64 s[34:35], vcc
	s_cbranch_execz .LBB6_5689
; %bb.5681:                             ;   in Loop: Header=BB6_5630 Depth=3
	s_mov_b32 s75, 0
	s_mov_b64 s[64:65], 0
                                        ; implicit-def: $sgpr66_sgpr67
                                        ; implicit-def: $sgpr68_sgpr69
	s_branch .LBB6_5683
.LBB6_5682:                             ;   in Loop: Header=BB6_5683 Depth=4
	s_or_b64 exec, exec, s[72:73]
	s_and_b64 vcc, exec, vcc
	s_or_b64 s[64:65], vcc, s[64:65]
	s_andn2_b64 vcc, s[66:67], exec
	s_and_b64 s[66:67], s[68:69], exec
	s_or_b64 s[66:67], vcc, s[66:67]
	s_andn2_b64 exec, exec, s[64:65]
	s_cbranch_execz .LBB6_5687
.LBB6_5683:                             ;   Parent Loop BB6_47 Depth=1
                                        ;     Parent Loop BB6_5627 Depth=2
                                        ;       Parent Loop BB6_5630 Depth=3
                                        ; =>      This Inner Loop Header: Depth=4
	s_add_i32 s75, s75, 1
	s_cmpk_lg_i32 s75, 0x2710
	s_cselect_b64 s[70:71], -1, 0
	s_and_b64 vcc, exec, s[70:71]
                                        ; implicit-def: $sgpr72_sgpr73
	s_cbranch_vccnz .LBB6_5685
; %bb.5684:                             ;   in Loop: Header=BB6_5683 Depth=4
	s_trap 2
	ds_read_b64 v[8:9], v0
	s_andn2_b64 s[70:71], s[70:71], exec
	s_mov_b32 s75, 0
	s_mov_b64 s[72:73], -1
	s_waitcnt lgkmcnt(0)
	flat_load_dword v3, v[8:9] glc
	s_waitcnt vmcnt(0) lgkmcnt(0)
	buffer_invl2
	buffer_wbinvl1_vol
	v_cmp_eq_u32_e32 vcc, 0, v3
	s_and_b64 vcc, vcc, exec
	s_or_b64 s[70:71], s[70:71], vcc
.LBB6_5685:                             ;   in Loop: Header=BB6_5683 Depth=4
	s_andn2_b64 s[68:69], s[68:69], exec
	s_and_b64 s[72:73], s[72:73], exec
	s_mov_b64 vcc, -1
	s_or_b64 s[68:69], s[68:69], s[72:73]
	s_and_saveexec_b64 s[72:73], s[70:71]
	s_cbranch_execz .LBB6_5682
; %bb.5686:                             ;   in Loop: Header=BB6_5683 Depth=4
	s_sleep 1
	s_trap 2
	ds_read_b64 v[8:9], v0
	v_accvgpr_read_b32 v10, a16
	v_accvgpr_read_b32 v11, a17
	s_andn2_b64 s[68:69], s[68:69], exec
	s_waitcnt lgkmcnt(0)
	v_cmp_ge_u64_e32 vcc, v[8:9], v[10:11]
	s_orn2_b64 vcc, vcc, exec
	s_branch .LBB6_5682
.LBB6_5687:                             ;   in Loop: Header=BB6_5630 Depth=3
	s_or_b64 exec, exec, s[64:65]
	s_and_saveexec_b64 vcc, s[66:67]
	s_xor_b64 vcc, exec, vcc
	s_cbranch_execz .LBB6_5689
; %bb.5688:                             ;   in Loop: Header=BB6_5630 Depth=3
	v_mov_b32_e32 v0, 1
	ds_write_b32 v0, v0
	s_trap 2
.LBB6_5689:                             ;   in Loop: Header=BB6_5630 Depth=3
	s_or_b64 exec, exec, s[34:35]
	;;#ASMSTART
	s_wakeup
	;;#ASMEND
.LBB6_5690:                             ;   in Loop: Header=BB6_5630 Depth=3
	s_or_b64 exec, exec, s[30:31]
.LBB6_5691:                             ;   in Loop: Header=BB6_5630 Depth=3
	s_andn2_saveexec_b64 s[28:29], s[28:29]
	s_cbranch_execz .LBB6_5693
; %bb.5692:                             ;   in Loop: Header=BB6_5630 Depth=3
	s_waitcnt vmcnt(0) lgkmcnt(0)
	buffer_wbinvl1_vol
	s_barrier
.LBB6_5693:                             ;   in Loop: Header=BB6_5630 Depth=3
	s_or_b64 exec, exec, s[28:29]
.LBB6_5694:                             ;   in Loop: Header=BB6_5630 Depth=3
	s_or_b64 exec, exec, s[26:27]
	s_trap 2
	ds_read_b64 v[8:9], v0
	v_mov_b32_e32 v17, 0
	s_waitcnt lgkmcnt(0)
	v_readfirstlane_b32 s26, v8
	v_readfirstlane_b32 s27, v9
	s_cmp_eq_u64 s[26:27], 0
	s_cselect_b64 s[26:27], -1, 0
	s_or_b64 s[26:27], s[26:27], s[26:27]
	s_and_b64 vcc, exec, s[26:27]
	s_cbranch_vccnz .LBB6_5703
; %bb.5695:                             ;   in Loop: Header=BB6_5630 Depth=3
	s_trap 2
	ds_read_b64 v[8:9], v0
	v_cmp_eq_u32_e64 s[26:27], 0, v2
	v_cndmask_b32_e64 v17, 0, v4, s[26:27]
	s_waitcnt lgkmcnt(0)
	v_cmp_ne_u64_e32 vcc, 0, v[8:9]
	s_cbranch_vccz .LBB6_5715
; %bb.5696:                             ;   in Loop: Header=BB6_5630 Depth=3
	s_mov_b64 s[28:29], -1
	s_and_saveexec_b64 s[26:27], s[20:21]
	s_cbranch_execz .LBB6_5698
; %bb.5697:                             ;   in Loop: Header=BB6_5630 Depth=3
	ds_read_b32 v2, v0 offset:720
	s_waitcnt lgkmcnt(0)
	v_and_b32_e32 v2, 15, v2
	v_cmp_eq_u32_e32 vcc, 0, v2
	s_orn2_b64 s[28:29], vcc, exec
.LBB6_5698:                             ;   in Loop: Header=BB6_5630 Depth=3
	s_or_b64 exec, exec, s[26:27]
	s_and_saveexec_b64 s[26:27], s[22:23]
	s_cbranch_execz .LBB6_5700
; %bb.5699:                             ;   in Loop: Header=BB6_5630 Depth=3
	ds_read_b32 v2, v0 offset:784
	s_waitcnt lgkmcnt(0)
	v_and_b32_e32 v2, 15, v2
	v_cmp_eq_u32_e32 vcc, 0, v2
	s_and_b64 vcc, s[28:29], vcc
	s_andn2_b64 s[28:29], s[28:29], exec
	s_and_b64 vcc, vcc, exec
	s_or_b64 s[28:29], s[28:29], vcc
.LBB6_5700:                             ;   in Loop: Header=BB6_5630 Depth=3
	s_or_b64 exec, exec, s[26:27]
	s_xor_b64 s[28:29], s[28:29], -1
	v_cndmask_b32_e64 v2, 0, 1, s[28:29]
	;;#ASMSTART
	;;#ASMEND
	s_mov_b64 s[26:27], -1
	v_cmp_ne_u32_e32 vcc, 0, v2
	v_mov_b32_e32 v5, 0
	v_mov_b32_e32 v14, v17
	;; [unrolled: 1-line block ×3, first 2 shown]
	v_accvgpr_read_b32 v2, a33
	s_cbranch_vccz .LBB6_5716
; %bb.5701:                             ;   in Loop: Header=BB6_5630 Depth=3
	s_and_saveexec_b64 s[30:31], s[26:27]
	s_cbranch_execnz .LBB6_5731
.LBB6_5702:                             ;   in Loop: Header=BB6_5630 Depth=3
	s_or_b64 exec, exec, s[30:31]
.LBB6_5703:                             ;   in Loop: Header=BB6_5630 Depth=3
	s_and_saveexec_b64 s[26:27], s[10:11]
	s_cbranch_execz .LBB6_5749
.LBB6_5704:                             ;   in Loop: Header=BB6_5630 Depth=3
	s_and_saveexec_b64 s[28:29], s[44:45]
	s_xor_b64 s[28:29], exec, s[28:29]
	s_cbranch_execz .LBB6_5779
; %bb.5705:                             ;   in Loop: Header=BB6_5630 Depth=3
	s_and_saveexec_b64 s[30:31], s[16:17]
	s_cbranch_execz .LBB6_5778
; %bb.5706:                             ;   in Loop: Header=BB6_5630 Depth=3
	s_mov_b64 s[64:65], exec
	v_mbcnt_lo_u32_b32 v2, s64, 0
	v_mbcnt_hi_u32_b32 v2, s65, v2
	v_cmp_eq_u32_e32 vcc, 0, v2
	s_waitcnt vmcnt(0) lgkmcnt(0)
	buffer_wbinvl1_vol
	s_and_saveexec_b64 s[34:35], vcc
	s_cbranch_execz .LBB6_5708
; %bb.5707:                             ;   in Loop: Header=BB6_5630 Depth=3
	s_bcnt1_i32_b64 vcc_lo, s[64:65]
	v_mov_b32_e32 v26, vcc_lo
	ds_add_u64 v0, v[26:27]
	s_trap 2
.LBB6_5708:                             ;   in Loop: Header=BB6_5630 Depth=3
	s_or_b64 exec, exec, s[34:35]
	s_trap 2
	ds_read_b64 v[2:3], v0
	v_accvgpr_read_b32 v8, a16
	v_accvgpr_read_b32 v0, a26
	;; [unrolled: 1-line block ×3, first 2 shown]
	v_add_co_u32_e32 v8, vcc, v8, v0
	v_addc_co_u32_e32 v9, vcc, 0, v9, vcc
	v_accvgpr_write_b32 a17, v9
	v_accvgpr_write_b32 a16, v8
	s_waitcnt lgkmcnt(0)
	v_cmp_lt_u64_e32 vcc, v[2:3], v[8:9]
	s_and_saveexec_b64 s[34:35], vcc
	s_cbranch_execz .LBB6_5777
; %bb.5709:                             ;   in Loop: Header=BB6_5630 Depth=3
	s_mov_b32 s75, 0
	s_mov_b64 s[64:65], 0
                                        ; implicit-def: $sgpr66_sgpr67
                                        ; implicit-def: $sgpr68_sgpr69
	s_branch .LBB6_5711
.LBB6_5710:                             ;   in Loop: Header=BB6_5711 Depth=4
	s_or_b64 exec, exec, s[72:73]
	s_and_b64 vcc, exec, vcc
	s_or_b64 s[64:65], vcc, s[64:65]
	s_andn2_b64 vcc, s[66:67], exec
	s_and_b64 s[66:67], s[68:69], exec
	s_or_b64 s[66:67], vcc, s[66:67]
	s_andn2_b64 exec, exec, s[64:65]
	s_cbranch_execz .LBB6_5775
.LBB6_5711:                             ;   Parent Loop BB6_47 Depth=1
                                        ;     Parent Loop BB6_5627 Depth=2
                                        ;       Parent Loop BB6_5630 Depth=3
                                        ; =>      This Inner Loop Header: Depth=4
	s_add_i32 s75, s75, 1
	s_cmpk_lg_i32 s75, 0x2710
	s_cselect_b64 s[70:71], -1, 0
	s_and_b64 vcc, exec, s[70:71]
                                        ; implicit-def: $sgpr72_sgpr73
	s_cbranch_vccnz .LBB6_5713
; %bb.5712:                             ;   in Loop: Header=BB6_5711 Depth=4
	s_trap 2
	ds_read_b64 v[2:3], v0
	s_andn2_b64 s[70:71], s[70:71], exec
	s_mov_b32 s75, 0
	s_mov_b64 s[72:73], -1
	s_waitcnt lgkmcnt(0)
	flat_load_dword v2, v[2:3] glc
	s_waitcnt vmcnt(0) lgkmcnt(0)
	buffer_invl2
	buffer_wbinvl1_vol
	v_cmp_eq_u32_e32 vcc, 0, v2
	s_and_b64 vcc, vcc, exec
	s_or_b64 s[70:71], s[70:71], vcc
.LBB6_5713:                             ;   in Loop: Header=BB6_5711 Depth=4
	s_andn2_b64 s[68:69], s[68:69], exec
	s_and_b64 s[72:73], s[72:73], exec
	s_mov_b64 vcc, -1
	s_or_b64 s[68:69], s[68:69], s[72:73]
	s_and_saveexec_b64 s[72:73], s[70:71]
	s_cbranch_execz .LBB6_5710
; %bb.5714:                             ;   in Loop: Header=BB6_5711 Depth=4
	s_sleep 1
	s_trap 2
	ds_read_b64 v[2:3], v0
	v_accvgpr_read_b32 v8, a16
	v_accvgpr_read_b32 v9, a17
	s_andn2_b64 s[68:69], s[68:69], exec
	s_waitcnt lgkmcnt(0)
	v_cmp_ge_u64_e32 vcc, v[2:3], v[8:9]
	s_orn2_b64 vcc, vcc, exec
	s_branch .LBB6_5710
.LBB6_5715:                             ;   in Loop: Header=BB6_5630 Depth=3
	s_cbranch_execnz .LBB6_5742
	s_branch .LBB6_5703
.LBB6_5716:                             ;   in Loop: Header=BB6_5630 Depth=3
	v_ashrrev_i32_e32 v2, 31, v17
	v_lshrrev_b32_e32 v2, 20, v2
	v_add_u32_e32 v2, v17, v2
	v_ashrrev_i32_e32 v5, 12, v2
	v_accvgpr_read_b32 v0, a33
	v_sub_u32_e32 v12, v5, v0
	v_cmp_lt_i32_e32 vcc, 0, v12
	s_and_saveexec_b64 s[26:27], vcc
	s_cbranch_execz .LBB6_5720
; %bb.5717:                             ;   in Loop: Header=BB6_5630 Depth=3
	s_trap 2
	ds_read_b64 v[2:3], v0
	ds_read_b128 v[8:11], v0
	v_accvgpr_read_b32 v0, a46
	v_accvgpr_read_b32 v13, a45
	s_mov_b64 s[28:29], 0
	s_waitcnt lgkmcnt(0)
	v_add_co_u32_e32 v2, vcc, v2, v0
	v_addc_co_u32_e32 v3, vcc, v3, v13, vcc
	v_add_co_u32_e32 v8, vcc, v8, v0
	v_addc_co_u32_e32 v9, vcc, v9, v13, vcc
	;; [unrolled: 2-line block ×3, first 2 shown]
	v_accvgpr_read_b32 v0, a26
	v_accvgpr_read_b32 v13, a35
	;; [unrolled: 1-line block ×3, first 2 shown]
.LBB6_5718:                             ;   Parent Loop BB6_47 Depth=1
                                        ;     Parent Loop BB6_5627 Depth=2
                                        ;       Parent Loop BB6_5630 Depth=3
                                        ; =>      This Inner Loop Header: Depth=4
	global_load_dwordx4 v[18:21], v[2:3], off glc slc
	global_load_dwordx4 v[22:25], v[2:3], off offset:1024 glc slc
	global_load_dwordx4 v[36:39], v[2:3], off offset:2048 glc slc
	;; [unrolled: 1-line block ×3, first 2 shown]
	v_add_co_u32_e32 v2, vcc, v2, v13
	v_addc_co_u32_e32 v3, vcc, v3, v14, vcc
	v_sub_u32_e32 v12, v12, v0
	v_cmp_gt_i32_e32 vcc, 1, v12
	s_or_b64 s[28:29], vcc, s[28:29]
	s_waitcnt vmcnt(0)
	global_store_dwordx4 v[8:9], v[18:21], off glc slc
	global_store_dwordx4 v[8:9], v[22:25], off offset:1024 glc slc
	global_store_dwordx4 v[8:9], v[36:39], off offset:2048 glc slc
	;; [unrolled: 1-line block ×3, first 2 shown]
	global_store_dwordx4 v[10:11], v[18:21], off glc slc
	global_store_dwordx4 v[10:11], v[22:25], off offset:1024 glc slc
	global_store_dwordx4 v[10:11], v[36:39], off offset:2048 glc slc
	;; [unrolled: 1-line block ×3, first 2 shown]
	v_add_co_u32_e32 v8, vcc, v8, v13
	v_addc_co_u32_e32 v9, vcc, v9, v14, vcc
	v_add_co_u32_e32 v10, vcc, v10, v13
	v_addc_co_u32_e32 v11, vcc, v11, v14, vcc
	s_andn2_b64 exec, exec, s[28:29]
	s_cbranch_execnz .LBB6_5718
; %bb.5719:                             ;   in Loop: Header=BB6_5630 Depth=3
	s_or_b64 exec, exec, s[28:29]
.LBB6_5720:                             ;   in Loop: Header=BB6_5630 Depth=3
	s_or_b64 exec, exec, s[26:27]
	v_lshlrev_b32_e32 v18, 12, v5
	v_cmp_ne_u32_e32 vcc, v17, v18
	s_mov_b64 s[26:27], 0
	v_mov_b32_e32 v5, 0
                                        ; implicit-def: $vgpr14
                                        ; implicit-def: $vgpr15
                                        ; implicit-def: $vgpr2
	s_and_saveexec_b64 s[64:65], vcc
	s_cbranch_execz .LBB6_5730
; %bb.5721:                             ;   in Loop: Header=BB6_5630 Depth=3
	v_lshlrev_b32_e32 v2, 6, v12
	v_accvgpr_read_b32 v0, a42
	v_sub_u32_e32 v2, v0, v2
	v_sub_u32_e32 v3, v17, v18
	v_ashrrev_i32_e32 v5, 31, v2
	v_lshrrev_b32_e32 v5, 26, v5
	v_ashrrev_i32_e32 v9, 31, v3
	v_add_u32_e32 v5, v2, v5
	v_lshrrev_b32_e32 v9, 22, v9
	v_ashrrev_i32_e32 v8, 6, v5
	v_and_b32_e32 v5, 0xffffffc0, v5
	v_add_u32_e32 v9, v3, v9
	v_sub_u32_e32 v19, v2, v5
	v_and_b32_e32 v20, 0xfffffc00, v9
	v_lshlrev_b32_e32 v2, 4, v19
	v_sub_u32_e32 v22, v3, v20
	v_lshl_add_u32 v2, v8, 10, v2
	v_ashrrev_i32_e32 v10, 10, v9
	v_cmp_lt_i32_e64 s[26:27], 15, v22
	v_sub_u32_e32 v5, v3, v2
	v_addc_co_u32_e64 v3, vcc, 0, v10, s[26:27]
	v_sub_u32_e32 v21, v3, v8
	v_cmp_lt_i32_e32 vcc, 15, v5
	s_and_saveexec_b64 s[66:67], vcc
	s_cbranch_execz .LBB6_5727
; %bb.5722:                             ;   in Loop: Header=BB6_5630 Depth=3
	s_trap 2
	ds_read_b64 v[12:13], v0
	ds_read_b128 v[8:11], v0
	v_add_u32_e32 v23, v2, v18
	v_ashrrev_i32_e32 v24, 31, v23
	s_mov_b64 s[68:69], 0
	s_waitcnt lgkmcnt(0)
	v_add_co_u32_e32 v14, vcc, v12, v23
	v_addc_co_u32_e32 v15, vcc, v13, v24, vcc
	v_add_co_u32_e32 v2, vcc, v8, v23
	v_addc_co_u32_e32 v3, vcc, v9, v24, vcc
	;; [unrolled: 2-line block ×3, first 2 shown]
.LBB6_5723:                             ;   Parent Loop BB6_47 Depth=1
                                        ;     Parent Loop BB6_5627 Depth=2
                                        ;       Parent Loop BB6_5630 Depth=3
                                        ; =>      This Loop Header: Depth=4
                                        ;           Child Loop BB6_5724 Depth 5
	global_load_dwordx4 v[10:13], v[14:15], off glc slc
	s_mov_b64 s[30:31], -1
	s_mov_b64 s[34:35], 0
	v_accvgpr_read_b32 v0, a30
	s_waitcnt vmcnt(0)
.LBB6_5724:                             ;   Parent Loop BB6_47 Depth=1
                                        ;     Parent Loop BB6_5627 Depth=2
                                        ;       Parent Loop BB6_5630 Depth=3
                                        ;         Parent Loop BB6_5723 Depth=4
                                        ; =>        This Inner Loop Header: Depth=5
	s_cmp_eq_u32 s34, 0
	v_cndmask_b32_e64 v23, 0, 1, s[30:31]
	s_cselect_b64 s[30:31], -1, 0
	s_cmp_eq_u32 s34, 1
	s_cselect_b64 s[34:35], -1, 0
	v_cndmask_b32_e64 v24, v2, v8, s[34:35]
	v_cmp_ne_u32_e64 s[28:29], 1, v23
	v_cndmask_b32_e64 v25, v3, v9, s[34:35]
	v_add_co_u32_e32 v23, vcc, 0x400, v24
	global_store_dwordx4 v[24:25], v[10:13], off glc slc
	v_addc_co_u32_e32 v24, vcc, 0, v25, vcc
	v_cndmask_b32_e64 v9, v9, v24, s[34:35]
	v_cndmask_b32_e64 v8, v8, v23, s[34:35]
	v_cndmask_b32_e64 v3, v3, v24, s[30:31]
	v_cndmask_b32_e64 v2, v2, v23, s[30:31]
	s_mov_b64 s[34:35], 1
	s_mov_b64 s[30:31], 0
	s_and_b64 vcc, exec, s[28:29]
	s_cbranch_vccz .LBB6_5724
; %bb.5725:                             ;   in Loop: Header=BB6_5723 Depth=4
	v_accvgpr_read_b32 v10, a34
	v_add_co_u32_e32 v2, vcc, v2, v10
	v_accvgpr_read_b32 v11, a37
	v_addc_co_u32_e32 v3, vcc, v3, v11, vcc
	v_add_co_u32_e32 v8, vcc, v8, v10
	v_addc_co_u32_e32 v9, vcc, v9, v11, vcc
	v_add_co_u32_e32 v14, vcc, v55, v14
	v_addc_co_u32_e32 v15, vcc, v41, v15, vcc
	v_sub_u32_e32 v5, v5, v0
	v_cmp_gt_i32_e32 vcc, 16, v5
	v_accvgpr_read_b32 v0, a26
	s_or_b64 s[68:69], vcc, s[68:69]
	v_sub_u32_e32 v21, v21, v0
	s_andn2_b64 exec, exec, s[68:69]
	s_cbranch_execnz .LBB6_5723
; %bb.5726:                             ;   in Loop: Header=BB6_5630 Depth=3
	s_or_b64 exec, exec, s[68:69]
.LBB6_5727:                             ;   in Loop: Header=BB6_5630 Depth=3
	s_or_b64 exec, exec, s[66:67]
	v_and_b32_e32 v3, 15, v17
	v_cndmask_b32_e64 v14, v22, v3, s[26:27]
	v_cmp_ne_u32_e32 vcc, 0, v14
	s_mov_b64 s[28:29], 0
	v_mov_b32_e32 v5, 0
                                        ; implicit-def: $vgpr15
                                        ; implicit-def: $vgpr2
	s_and_saveexec_b64 s[30:31], vcc
	s_cbranch_execz .LBB6_5729
; %bb.5728:                             ;   in Loop: Header=BB6_5630 Depth=3
	v_sub_u32_e32 v2, v22, v3
	v_cndmask_b32_e64 v2, 0, v2, s[26:27]
	v_cmp_lt_i32_e32 vcc, 0, v21
	v_accvgpr_read_b32 v0, a26
	v_add3_u32 v5, v20, v18, v2
	v_cndmask_b32_e32 v2, 0, v0, vcc
	v_sub_u32_e32 v2, v2, v21
	v_lshl_add_u32 v15, v2, 6, v19
	v_ashrrev_i32_e32 v2, 31, v15
	v_lshrrev_b32_e32 v2, 26, v2
	v_add_u32_e32 v2, v15, v2
	s_mov_b64 s[28:29], exec
	v_ashrrev_i32_e32 v2, 6, v2
.LBB6_5729:                             ;   in Loop: Header=BB6_5630 Depth=3
	s_or_b64 exec, exec, s[30:31]
	s_and_b64 s[26:27], s[28:29], exec
.LBB6_5730:                             ;   in Loop: Header=BB6_5630 Depth=3
	s_or_b64 exec, exec, s[64:65]
	s_and_saveexec_b64 s[30:31], s[26:27]
	s_cbranch_execz .LBB6_5702
.LBB6_5731:                             ;   in Loop: Header=BB6_5630 Depth=3
	v_ashrrev_i32_e32 v3, 31, v14
	v_lshrrev_b32_e32 v3, 21, v3
	v_add_u32_e32 v3, v14, v3
	v_ashrrev_i32_e32 v20, 11, v3
	v_sub_u32_e32 v18, v20, v2
	v_ashrrev_i32_e32 v3, 31, v15
	v_cmp_lt_i32_e32 vcc, 0, v18
	v_lshrrev_b32_e32 v0, 26, v3
	s_and_saveexec_b64 s[28:29], vcc
	s_cbranch_execz .LBB6_5735
; %bb.5732:                             ;   in Loop: Header=BB6_5630 Depth=3
	s_trap 2
	ds_read_b64 v[12:13], v0
	ds_read_b128 v[8:11], v0
	v_add_u32_e32 v3, v15, v0
	v_and_b32_e32 v3, 0xffffffc0, v3
	v_sub_u32_e32 v3, v15, v3
	v_lshlrev_b32_e32 v2, 11, v2
	v_add3_u32 v19, v5, v3, v2
	v_ashrrev_i32_e32 v21, 31, v19
	s_waitcnt lgkmcnt(0)
	v_add_co_u32_e32 v2, vcc, v8, v19
	v_addc_co_u32_e32 v3, vcc, v9, v21, vcc
	v_add_co_u32_e32 v8, vcc, v10, v19
	v_addc_co_u32_e32 v9, vcc, v11, v21, vcc
	v_add_co_u32_e32 v10, vcc, 0x7c0, v12
	v_addc_co_u32_e32 v11, vcc, 0, v13, vcc
	v_add_co_u32_e32 v10, vcc, v10, v19
	v_accvgpr_write_b32 a8, v0
	v_addc_co_u32_e32 v11, vcc, v11, v21, vcc
	s_mov_b64 s[34:35], 0
	v_accvgpr_read_b32 v0, a26
	v_accvgpr_read_b32 v51, a38
	;; [unrolled: 1-line block ×3, first 2 shown]
.LBB6_5733:                             ;   Parent Loop BB6_47 Depth=1
                                        ;     Parent Loop BB6_5627 Depth=2
                                        ;       Parent Loop BB6_5630 Depth=3
                                        ; =>      This Inner Loop Header: Depth=4
	v_add_co_u32_e32 v12, vcc, 0xfffff840, v10
	v_addc_co_u32_e32 v13, vcc, -1, v11, vcc
	v_add_co_u32_e32 v24, vcc, 0xfffff880, v10
	v_addc_co_u32_e32 v25, vcc, -1, v11, vcc
	v_add_co_u32_e64 v22, s[26:27], s78, v10
	v_add_co_u32_e32 v28, vcc, 0xfffff8c0, v10
	v_addc_co_u32_e64 v23, s[26:27], -1, v11, s[26:27]
	v_addc_co_u32_e32 v29, vcc, -1, v11, vcc
	flat_load_ubyte v21, v[10:11] glc slc
	s_nop 0
	flat_load_ubyte v22, v[22:23] glc slc
	s_nop 0
	flat_load_ubyte v12, v[12:13] glc slc
	v_sub_u32_e32 v18, v18, v0
	flat_load_ubyte v13, v[24:25] glc slc
	v_add_co_u32_e32 v24, vcc, 0xfffff900, v10
	v_addc_co_u32_e32 v25, vcc, -1, v11, vcc
	flat_load_ubyte v23, v[28:29] glc slc
	v_add_co_u32_e32 v28, vcc, 0xfffff940, v10
	v_addc_co_u32_e32 v29, vcc, -1, v11, vcc
	v_add_co_u32_e32 v32, vcc, 0xfffff980, v10
	v_addc_co_u32_e32 v33, vcc, -1, v11, vcc
	flat_load_ubyte v24, v[24:25] glc slc
	s_nop 0
	flat_load_ubyte v25, v[28:29] glc slc
	v_add_co_u32_e32 v28, vcc, 0xfffff9c0, v10
	v_addc_co_u32_e32 v29, vcc, -1, v11, vcc
	flat_load_ubyte v26, v[32:33] glc slc
	v_add_co_u32_e32 v32, vcc, 0xfffffa00, v10
	v_addc_co_u32_e32 v33, vcc, -1, v11, vcc
	v_add_co_u32_e32 v34, vcc, 0xfffffa40, v10
	v_addc_co_u32_e32 v35, vcc, -1, v11, vcc
	flat_load_ubyte v28, v[28:29] glc slc
	s_nop 0
	flat_load_ubyte v29, v[32:33] glc slc
	v_add_co_u32_e32 v32, vcc, 0xfffffa80, v10
	v_addc_co_u32_e32 v33, vcc, -1, v11, vcc
	flat_load_ubyte v30, v[34:35] glc slc
	v_add_co_u32_e32 v34, vcc, 0xfffffac0, v10
	v_addc_co_u32_e32 v35, vcc, -1, v11, vcc
	;; [unrolled: 3-line block ×20, first 2 shown]
	flat_load_ubyte v42, v[32:33] glc slc
	v_add_co_u32_e32 v32, vcc, s46, v10
	flat_load_ubyte v19, v[34:35] glc slc
	v_addc_co_u32_e32 v33, vcc, -1, v11, vcc
	flat_load_ubyte v50, v[32:33] glc slc
	v_cmp_gt_i32_e32 vcc, 1, v18
	s_or_b64 s[34:35], vcc, s[34:35]
	v_add_co_u32_e32 v10, vcc, v10, v51
	v_addc_co_u32_e32 v11, vcc, v11, v55, vcc
	s_waitcnt vmcnt(0) lgkmcnt(0)
	flat_store_byte v[2:3], v21 offset:1984 glc slc
	flat_store_byte v[2:3], v22 offset:1920 glc slc
	flat_store_byte v[2:3], v12 glc slc
	flat_store_byte v[2:3], v13 offset:64 glc slc
	flat_store_byte v[2:3], v23 offset:128 glc slc
	flat_store_byte v[2:3], v24 offset:192 glc slc
	flat_store_byte v[2:3], v25 offset:256 glc slc
	flat_store_byte v[2:3], v26 offset:320 glc slc
	flat_store_byte v[2:3], v28 offset:384 glc slc
	flat_store_byte v[2:3], v29 offset:448 glc slc
	flat_store_byte v[2:3], v30 offset:512 glc slc
	flat_store_byte v[2:3], v36 offset:576 glc slc
	flat_store_byte v[2:3], v37 offset:640 glc slc
	flat_store_byte v[2:3], v38 offset:704 glc slc
	flat_store_byte v[2:3], v39 offset:768 glc slc
	flat_store_byte v[2:3], v52 offset:832 glc slc
	flat_store_byte v[2:3], v53 offset:896 glc slc
	flat_store_byte v[2:3], v54 offset:960 glc slc
	flat_store_byte v[2:3], v40 offset:1024 glc slc
	flat_store_byte v[2:3], v41 offset:1088 glc slc
	flat_store_byte v[2:3], v43 offset:1152 glc slc
	flat_store_byte v[2:3], v44 offset:1216 glc slc
	flat_store_byte v[2:3], v45 offset:1280 glc slc
	flat_store_byte v[2:3], v46 offset:1344 glc slc
	flat_store_byte v[2:3], v47 offset:1408 glc slc
	flat_store_byte v[2:3], v56 offset:1472 glc slc
	flat_store_byte v[2:3], v57 offset:1536 glc slc
	flat_store_byte v[2:3], v58 offset:1600 glc slc
	flat_store_byte v[2:3], v59 offset:1664 glc slc
	flat_store_byte v[2:3], v42 offset:1728 glc slc
	flat_store_byte v[2:3], v19 offset:1792 glc slc
	flat_store_byte v[2:3], v50 offset:1856 glc slc
	flat_store_byte v[8:9], v12 glc slc
	flat_store_byte v[8:9], v13 offset:64 glc slc
	flat_store_byte v[8:9], v23 offset:128 glc slc
	;; [unrolled: 1-line block ×31, first 2 shown]
	v_add_co_u32_e32 v2, vcc, v2, v51
	v_addc_co_u32_e32 v3, vcc, v3, v55, vcc
	v_add_co_u32_e32 v8, vcc, v8, v51
	v_addc_co_u32_e32 v9, vcc, v9, v55, vcc
	s_andn2_b64 exec, exec, s[34:35]
	s_cbranch_execnz .LBB6_5733
; %bb.5734:                             ;   in Loop: Header=BB6_5630 Depth=3
	s_or_b64 exec, exec, s[34:35]
	v_accvgpr_read_b32 v57, a3
	v_accvgpr_read_b32 v55, a43
	;; [unrolled: 1-line block ×4, first 2 shown]
.LBB6_5735:                             ;   in Loop: Header=BB6_5630 Depth=3
	s_or_b64 exec, exec, s[28:29]
	v_lshlrev_b32_e32 v2, 11, v20
	v_cmp_ne_u32_e32 vcc, v14, v2
	s_and_saveexec_b64 s[34:35], vcc
	s_cbranch_execz .LBB6_5741
; %bb.5736:                             ;   in Loop: Header=BB6_5630 Depth=3
	v_add_u32_e32 v3, v15, v0
	v_and_b32_e32 v3, 0xffffffc0, v3
	v_sub_u32_e32 v3, v15, v3
	v_lshlrev_b32_e32 v8, 6, v18
	v_sub_u32_e32 v3, v3, v8
	v_add_u32_e32 v2, v2, v3
	v_sub_u32_e32 v12, v14, v2
	v_cmp_lt_i32_e32 vcc, 0, v12
	s_and_b64 exec, exec, vcc
	s_cbranch_execz .LBB6_5741
; %bb.5737:                             ;   in Loop: Header=BB6_5630 Depth=3
	s_trap 2
	ds_read_b64 v[8:9], v0
	ds_read_b128 v[18:21], v0
	v_add_u32_e32 v5, v2, v5
	v_ashrrev_i32_e32 v13, 31, v5
	s_mov_b64 s[64:65], 0
	s_waitcnt lgkmcnt(0)
	v_add_co_u32_e32 v10, vcc, v8, v5
	v_addc_co_u32_e32 v11, vcc, v9, v13, vcc
	v_add_co_u32_e32 v2, vcc, v18, v5
	v_addc_co_u32_e32 v3, vcc, v19, v13, vcc
	;; [unrolled: 2-line block ×3, first 2 shown]
.LBB6_5738:                             ;   Parent Loop BB6_47 Depth=1
                                        ;     Parent Loop BB6_5627 Depth=2
                                        ;       Parent Loop BB6_5630 Depth=3
                                        ; =>      This Loop Header: Depth=4
                                        ;           Child Loop BB6_5739 Depth 5
	flat_load_ubyte v5, v[10:11] glc slc
	s_mov_b64 s[66:67], -1
	s_mov_b64 s[68:69], 0
	s_waitcnt vmcnt(0)
.LBB6_5739:                             ;   Parent Loop BB6_47 Depth=1
                                        ;     Parent Loop BB6_5627 Depth=2
                                        ;       Parent Loop BB6_5630 Depth=3
                                        ;         Parent Loop BB6_5738 Depth=4
                                        ; =>        This Inner Loop Header: Depth=5
	s_cmp_eq_u32 s68, 1
	s_cselect_b64 vcc, -1, 0
	v_cndmask_b32_e32 v14, v2, v8, vcc
	v_cndmask_b32_e32 v15, v3, v9, vcc
	v_add_co_u32_e64 v13, s[26:27], 64, v14
	s_cmp_eq_u32 s68, 0
	s_waitcnt lgkmcnt(0)
	flat_store_byte v[14:15], v5 glc slc
	v_addc_co_u32_e64 v14, s[26:27], 0, v15, s[26:27]
	s_cselect_b64 s[26:27], -1, 0
	s_and_b64 s[28:29], exec, s[66:67]
	s_mov_b64 s[68:69], 1
	s_mov_b64 s[66:67], 0
	v_cndmask_b32_e32 v9, v9, v14, vcc
	v_cndmask_b32_e32 v8, v8, v13, vcc
	v_cndmask_b32_e64 v3, v3, v14, s[26:27]
	v_cndmask_b32_e64 v2, v2, v13, s[26:27]
	s_mov_b64 vcc, s[28:29]
	s_cbranch_vccnz .LBB6_5739
; %bb.5740:                             ;   in Loop: Header=BB6_5738 Depth=4
	v_accvgpr_read_b32 v0, a32
	v_add_co_u32_e32 v2, vcc, v2, v0
	v_accvgpr_read_b32 v5, a31
	v_addc_co_u32_e32 v3, vcc, v3, v5, vcc
	v_add_co_u32_e32 v8, vcc, v8, v0
	v_accvgpr_read_b32 v0, a27
	v_addc_co_u32_e32 v9, vcc, v9, v5, vcc
	v_sub_u32_e32 v12, v12, v0
	v_cmp_gt_i32_e32 vcc, 1, v12
	v_accvgpr_read_b32 v0, a40
	s_or_b64 s[64:65], vcc, s[64:65]
	v_add_co_u32_e32 v10, vcc, v0, v10
	v_accvgpr_read_b32 v0, a41
	v_addc_co_u32_e32 v11, vcc, v0, v11, vcc
	s_andn2_b64 exec, exec, s[64:65]
	s_cbranch_execnz .LBB6_5738
.LBB6_5741:                             ;   in Loop: Header=BB6_5630 Depth=3
	s_or_b64 exec, exec, s[34:35]
	s_or_b64 exec, exec, s[30:31]
	s_branch .LBB6_5703
.LBB6_5742:                             ;   in Loop: Header=BB6_5630 Depth=3
	s_mov_b64 s[26:27], -1
	s_and_saveexec_b64 s[28:29], s[20:21]
	s_cbranch_execz .LBB6_5744
; %bb.5743:                             ;   in Loop: Header=BB6_5630 Depth=3
	ds_read_b32 v2, v0 offset:720
	s_waitcnt lgkmcnt(0)
	v_and_b32_e32 v2, 15, v2
	v_cmp_eq_u32_e32 vcc, 0, v2
	s_orn2_b64 s[26:27], vcc, exec
.LBB6_5744:                             ;   in Loop: Header=BB6_5630 Depth=3
	s_or_b64 exec, exec, s[28:29]
	s_and_saveexec_b64 s[28:29], s[18:19]
	s_cbranch_execz .LBB6_5746
; %bb.5745:                             ;   in Loop: Header=BB6_5630 Depth=3
	ds_read_b32 v2, v0 offset:784
	s_waitcnt lgkmcnt(0)
	v_and_b32_e32 v2, 15, v2
	v_cmp_eq_u32_e32 vcc, 0, v2
	s_and_b64 vcc, s[26:27], vcc
	s_andn2_b64 s[26:27], s[26:27], exec
	s_and_b64 vcc, vcc, exec
	s_or_b64 s[26:27], s[26:27], vcc
.LBB6_5746:                             ;   in Loop: Header=BB6_5630 Depth=3
	s_or_b64 exec, exec, s[28:29]
	s_xor_b64 s[26:27], s[26:27], -1
	v_cndmask_b32_e64 v2, 0, 1, s[26:27]
	s_mov_b64 s[30:31], -1
	;;#ASMSTART
	;;#ASMEND
	v_cmp_ne_u32_e32 vcc, 0, v2
	v_mov_b32_e32 v9, 0
	v_mov_b32_e32 v14, v17
	;; [unrolled: 1-line block ×3, first 2 shown]
	v_accvgpr_read_b32 v5, a33
	s_cbranch_vccz .LBB6_5753
; %bb.5747:                             ;   in Loop: Header=BB6_5630 Depth=3
	s_and_saveexec_b64 s[26:27], s[30:31]
	s_cbranch_execnz .LBB6_5766
.LBB6_5748:                             ;   in Loop: Header=BB6_5630 Depth=3
	s_or_b64 exec, exec, s[26:27]
	s_and_saveexec_b64 s[26:27], s[10:11]
	s_cbranch_execnz .LBB6_5704
.LBB6_5749:                             ;   in Loop: Header=BB6_5630 Depth=3
	s_or_b64 exec, exec, s[26:27]
                                        ; implicit-def: $vgpr2
	s_and_saveexec_b64 s[26:27], s[24:25]
	s_xor_b64 s[28:29], exec, s[26:27]
	s_cbranch_execz .LBB6_5782
.LBB6_5750:                             ;   in Loop: Header=BB6_5630 Depth=3
	v_and_b32_e32 v3, 16, v60
	v_cmp_lt_i32_e32 vcc, 0, v17
	v_cmp_ne_u32_e64 s[26:27], 0, v3
	v_and_b32_e32 v2, 16, v60
	s_and_b64 vcc, s[26:27], vcc
	s_and_saveexec_b64 s[26:27], vcc
	s_cbranch_execz .LBB6_5752
; %bb.5751:                             ;   in Loop: Header=BB6_5630 Depth=3
	v_mov_b32_e32 v2, 1
	s_waitcnt vmcnt(0) lgkmcnt(0)
	buffer_wbinvl1_vol
.LBB6_5752:                             ;   in Loop: Header=BB6_5630 Depth=3
	s_or_b64 exec, exec, s[26:27]
	s_andn2_saveexec_b64 s[26:27], s[28:29]
	s_cbranch_execz .LBB6_5801
	s_branch .LBB6_5783
.LBB6_5753:                             ;   in Loop: Header=BB6_5630 Depth=3
	v_ashrrev_i32_e32 v2, 31, v17
	v_lshrrev_b32_e32 v2, 20, v2
	v_add_u32_e32 v2, v17, v2
	v_ashrrev_i32_e32 v5, 12, v2
	v_accvgpr_read_b32 v0, a33
	v_sub_u32_e32 v11, v5, v0
	v_cmp_lt_i32_e32 vcc, 0, v11
	s_and_saveexec_b64 s[26:27], vcc
	s_cbranch_execz .LBB6_5757
; %bb.5754:                             ;   in Loop: Header=BB6_5630 Depth=3
	s_trap 2
	ds_read_b64 v[2:3], v0
	s_mov_b64 s[28:29], 0
	v_accvgpr_read_b32 v0, a26
	v_accvgpr_read_b32 v10, a35
	;; [unrolled: 1-line block ×3, first 2 shown]
	s_waitcnt lgkmcnt(0)
	v_pk_mov_b32 v[8:9], v[2:3], v[2:3] op_sel:[0,1]
	v_accvgpr_read_b32 v30, a46
	v_accvgpr_read_b32 v33, a45
.LBB6_5755:                             ;   Parent Loop BB6_47 Depth=1
                                        ;     Parent Loop BB6_5627 Depth=2
                                        ;       Parent Loop BB6_5630 Depth=3
                                        ; =>      This Inner Loop Header: Depth=4
	v_add_co_u32_e32 v28, vcc, v30, v8
	v_addc_co_u32_e32 v29, vcc, v33, v9, vcc
	global_load_dwordx4 v[12:15], v[28:29], off glc slc
	global_load_dwordx4 v[18:21], v[28:29], off offset:1024 glc slc
	global_load_dwordx4 v[22:25], v[28:29], off offset:2048 glc slc
	;; [unrolled: 1-line block ×3, first 2 shown]
	v_add_co_u32_e32 v28, vcc, v30, v2
	v_addc_co_u32_e32 v29, vcc, v33, v3, vcc
	v_add_co_u32_e32 v8, vcc, v8, v10
	v_addc_co_u32_e32 v9, vcc, v9, v26, vcc
	v_add_co_u32_e32 v2, vcc, v2, v10
	v_sub_u32_e32 v11, v11, v0
	v_addc_co_u32_e32 v3, vcc, v3, v26, vcc
	v_cmp_gt_i32_e32 vcc, 1, v11
	s_or_b64 s[28:29], vcc, s[28:29]
	s_waitcnt vmcnt(0)
	global_store_dwordx4 v[28:29], v[12:15], off glc slc
	global_store_dwordx4 v[28:29], v[18:21], off offset:1024 glc slc
	global_store_dwordx4 v[28:29], v[22:25], off offset:2048 glc slc
	;; [unrolled: 1-line block ×3, first 2 shown]
	s_andn2_b64 exec, exec, s[28:29]
	s_cbranch_execnz .LBB6_5755
; %bb.5756:                             ;   in Loop: Header=BB6_5630 Depth=3
	s_or_b64 exec, exec, s[28:29]
.LBB6_5757:                             ;   in Loop: Header=BB6_5630 Depth=3
	s_or_b64 exec, exec, s[26:27]
	v_lshlrev_b32_e32 v10, 12, v5
	v_cmp_ne_u32_e32 vcc, v17, v10
	s_mov_b64 s[30:31], 0
	v_mov_b32_e32 v9, 0
                                        ; implicit-def: $vgpr14
                                        ; implicit-def: $vgpr15
                                        ; implicit-def: $vgpr5
	s_and_saveexec_b64 s[28:29], vcc
	s_cbranch_execz .LBB6_5765
; %bb.5758:                             ;   in Loop: Header=BB6_5630 Depth=3
	v_lshlrev_b32_e32 v3, 6, v11
	v_accvgpr_read_b32 v0, a42
	v_sub_u32_e32 v3, v0, v3
	v_ashrrev_i32_e32 v5, 31, v3
	v_lshrrev_b32_e32 v5, 26, v5
	v_add_u32_e32 v5, v3, v5
	v_ashrrev_i32_e32 v8, 6, v5
	v_and_b32_e32 v5, 0xffffffc0, v5
	v_sub_u32_e32 v11, v3, v5
	v_sub_u32_e32 v2, v17, v10
	v_lshlrev_b32_e32 v3, 4, v11
	v_lshl_add_u32 v5, v8, 10, v3
	v_ashrrev_i32_e32 v3, 31, v2
	v_lshrrev_b32_e32 v3, 22, v3
	v_add_u32_e32 v3, v2, v3
	v_and_b32_e32 v12, 0xfffffc00, v3
	v_sub_u32_e32 v18, v2, v12
	v_ashrrev_i32_e32 v13, 10, v3
	v_cmp_lt_i32_e32 vcc, 15, v18
	v_sub_u32_e32 v9, v2, v5
	v_addc_co_u32_e64 v2, s[26:27], 0, v13, vcc
	v_sub_u32_e32 v13, v2, v8
	v_cmp_lt_i32_e64 s[26:27], 15, v9
	s_and_saveexec_b64 s[30:31], s[26:27]
	s_cbranch_execz .LBB6_5762
; %bb.5759:                             ;   in Loop: Header=BB6_5630 Depth=3
	s_trap 2
	ds_read_b64 v[2:3], v0
	v_add_u32_e32 v8, v5, v10
	v_ashrrev_i32_e32 v5, 31, v8
	s_mov_b64 s[34:35], 0
	v_accvgpr_read_b32 v0, a26
	v_accvgpr_read_b32 v19, a30
.LBB6_5760:                             ;   Parent Loop BB6_47 Depth=1
                                        ;     Parent Loop BB6_5627 Depth=2
                                        ;       Parent Loop BB6_5630 Depth=3
                                        ; =>      This Inner Loop Header: Depth=4
	s_waitcnt lgkmcnt(0)
	v_add_co_u32_e64 v14, s[26:27], v2, v8
	v_addc_co_u32_e64 v15, s[26:27], v3, v5, s[26:27]
	global_load_dwordx4 v[20:23], v[14:15], off glc slc
	v_add_co_u32_e64 v8, s[26:27], v8, v55
	v_sub_u32_e32 v9, v9, v19
	v_addc_co_u32_e64 v5, s[26:27], v5, v41, s[26:27]
	v_cmp_gt_i32_e64 s[26:27], 16, v9
	v_sub_u32_e32 v13, v13, v0
	s_or_b64 s[34:35], s[26:27], s[34:35]
	s_waitcnt vmcnt(0)
	global_store_dwordx4 v[14:15], v[20:23], off glc slc
	s_andn2_b64 exec, exec, s[34:35]
	s_cbranch_execnz .LBB6_5760
; %bb.5761:                             ;   in Loop: Header=BB6_5630 Depth=3
	s_or_b64 exec, exec, s[34:35]
.LBB6_5762:                             ;   in Loop: Header=BB6_5630 Depth=3
	s_or_b64 exec, exec, s[30:31]
	v_and_b32_e32 v2, 15, v17
	v_cndmask_b32_e32 v14, v18, v2, vcc
	v_cmp_ne_u32_e64 s[26:27], 0, v14
	s_mov_b64 s[30:31], 0
	v_mov_b32_e32 v9, 0
                                        ; implicit-def: $vgpr15
                                        ; implicit-def: $vgpr5
	s_and_saveexec_b64 s[34:35], s[26:27]
	s_cbranch_execz .LBB6_5764
; %bb.5763:                             ;   in Loop: Header=BB6_5630 Depth=3
	v_sub_u32_e32 v2, v18, v2
	v_cndmask_b32_e32 v2, 0, v2, vcc
	v_cmp_lt_i32_e32 vcc, 0, v13
	v_accvgpr_read_b32 v0, a26
	v_add3_u32 v9, v12, v10, v2
	v_cndmask_b32_e32 v2, 0, v0, vcc
	v_sub_u32_e32 v2, v2, v13
	v_lshl_add_u32 v15, v2, 6, v11
	v_ashrrev_i32_e32 v2, 31, v15
	v_lshrrev_b32_e32 v2, 26, v2
	v_add_u32_e32 v2, v15, v2
	s_mov_b64 s[30:31], exec
	v_ashrrev_i32_e32 v5, 6, v2
.LBB6_5764:                             ;   in Loop: Header=BB6_5630 Depth=3
	s_or_b64 exec, exec, s[34:35]
	s_and_b64 s[30:31], s[30:31], exec
.LBB6_5765:                             ;   in Loop: Header=BB6_5630 Depth=3
	s_or_b64 exec, exec, s[28:29]
	s_and_saveexec_b64 s[26:27], s[30:31]
	s_cbranch_execz .LBB6_5748
.LBB6_5766:                             ;   in Loop: Header=BB6_5630 Depth=3
	v_ashrrev_i32_e32 v2, 31, v14
	v_lshrrev_b32_e32 v2, 21, v2
	v_add_u32_e32 v2, v14, v2
	v_ashrrev_i32_e32 v19, 11, v2
	v_sub_u32_e32 v18, v19, v5
	v_cmp_lt_i32_e32 vcc, 0, v18
	s_and_saveexec_b64 s[28:29], vcc
	s_cbranch_execz .LBB6_5770
; %bb.5767:                             ;   in Loop: Header=BB6_5630 Depth=3
	v_ashrrev_i32_e32 v8, 31, v15
	s_trap 2
	ds_read_b64 v[2:3], v0
	v_lshrrev_b32_e32 v8, 26, v8
	v_add_u32_e32 v8, v15, v8
	v_and_b32_e32 v8, 0xffffffc0, v8
	v_sub_u32_e32 v8, v15, v8
	v_lshlrev_b32_e32 v5, 11, v5
	v_add3_u32 v8, v9, v8, v5
	v_ashrrev_i32_e32 v5, 31, v8
	s_mov_b64 s[30:31], 0
	s_waitcnt lgkmcnt(0)
	v_pk_mov_b32 v[10:11], v[2:3], v[2:3] op_sel:[0,1]
	v_accvgpr_read_b32 v0, a26
	v_accvgpr_read_b32 v56, a38
	;; [unrolled: 1-line block ×3, first 2 shown]
.LBB6_5768:                             ;   Parent Loop BB6_47 Depth=1
                                        ;     Parent Loop BB6_5627 Depth=2
                                        ;       Parent Loop BB6_5630 Depth=3
                                        ; =>      This Inner Loop Header: Depth=4
	v_add_co_u32_e32 v12, vcc, v8, v10
	v_addc_co_u32_e32 v13, vcc, v5, v11, vcc
	flat_load_ubyte v20, v[12:13] glc slc
	flat_load_ubyte v21, v[12:13] offset:64 glc slc
	flat_load_ubyte v22, v[12:13] offset:128 glc slc
	;; [unrolled: 1-line block ×31, first 2 shown]
	v_add_co_u32_e32 v12, vcc, v8, v2
	v_addc_co_u32_e32 v13, vcc, v5, v3, vcc
	v_add_co_u32_e32 v10, vcc, v10, v56
	v_addc_co_u32_e32 v11, vcc, v11, v58, vcc
	v_add_co_u32_e32 v2, vcc, v2, v56
	v_sub_u32_e32 v18, v18, v0
	v_addc_co_u32_e32 v3, vcc, v3, v58, vcc
	v_cmp_gt_i32_e32 vcc, 1, v18
	s_or_b64 s[30:31], vcc, s[30:31]
	s_waitcnt vmcnt(0) lgkmcnt(0)
	flat_store_byte v[12:13], v20 glc slc
	flat_store_byte v[12:13], v21 offset:64 glc slc
	flat_store_byte v[12:13], v22 offset:128 glc slc
	;; [unrolled: 1-line block ×31, first 2 shown]
	s_andn2_b64 exec, exec, s[30:31]
	s_cbranch_execnz .LBB6_5768
; %bb.5769:                             ;   in Loop: Header=BB6_5630 Depth=3
	s_or_b64 exec, exec, s[30:31]
	v_accvgpr_read_b32 v55, a43
	v_accvgpr_read_b32 v41, a44
.LBB6_5770:                             ;   in Loop: Header=BB6_5630 Depth=3
	s_or_b64 exec, exec, s[28:29]
	v_lshlrev_b32_e32 v2, 11, v19
	v_cmp_ne_u32_e32 vcc, v14, v2
	s_mov_b64 s[28:29], exec
	s_and_b64 vcc, s[28:29], vcc
	v_accvgpr_read_b32 v0, a27
	v_accvgpr_read_b32 v11, a40
	;; [unrolled: 1-line block ×3, first 2 shown]
	s_mov_b64 exec, vcc
	s_cbranch_execz .LBB6_5774
; %bb.5771:                             ;   in Loop: Header=BB6_5630 Depth=3
	v_ashrrev_i32_e32 v3, 31, v15
	v_lshrrev_b32_e32 v3, 26, v3
	v_add_u32_e32 v3, v15, v3
	v_and_b32_e32 v3, 0xffffffc0, v3
	v_sub_u32_e32 v3, v15, v3
	v_lshlrev_b32_e32 v5, 6, v18
	v_sub_u32_e32 v3, v3, v5
	v_add_u32_e32 v5, v2, v3
	v_sub_u32_e32 v10, v14, v5
	v_cmp_lt_i32_e32 vcc, 0, v10
	s_and_b64 exec, exec, vcc
	s_cbranch_execz .LBB6_5774
; %bb.5772:                             ;   in Loop: Header=BB6_5630 Depth=3
	s_trap 2
	ds_read_b64 v[2:3], v0
	v_add_u32_e32 v8, v5, v9
	v_ashrrev_i32_e32 v5, 31, v8
	s_mov_b64 s[30:31], 0
.LBB6_5773:                             ;   Parent Loop BB6_47 Depth=1
                                        ;     Parent Loop BB6_5627 Depth=2
                                        ;       Parent Loop BB6_5630 Depth=3
                                        ; =>      This Inner Loop Header: Depth=4
	s_waitcnt lgkmcnt(0)
	v_add_co_u32_e32 v12, vcc, v2, v8
	v_addc_co_u32_e32 v13, vcc, v3, v5, vcc
	flat_load_ubyte v9, v[12:13] glc slc
	v_add_co_u32_e32 v8, vcc, v8, v11
	v_sub_u32_e32 v10, v10, v0
	v_addc_co_u32_e32 v5, vcc, v5, v19, vcc
	v_cmp_gt_i32_e32 vcc, 1, v10
	s_or_b64 s[30:31], vcc, s[30:31]
	s_waitcnt vmcnt(0) lgkmcnt(0)
	flat_store_byte v[12:13], v9 glc slc
	s_andn2_b64 exec, exec, s[30:31]
	s_cbranch_execnz .LBB6_5773
.LBB6_5774:                             ;   in Loop: Header=BB6_5630 Depth=3
	s_or_b64 exec, exec, s[28:29]
	s_or_b64 exec, exec, s[26:27]
	s_and_saveexec_b64 s[26:27], s[10:11]
	s_cbranch_execnz .LBB6_5704
	s_branch .LBB6_5749
.LBB6_5775:                             ;   in Loop: Header=BB6_5630 Depth=3
	s_or_b64 exec, exec, s[64:65]
	s_and_saveexec_b64 vcc, s[66:67]
	s_xor_b64 vcc, exec, vcc
	s_cbranch_execz .LBB6_5777
; %bb.5776:                             ;   in Loop: Header=BB6_5630 Depth=3
	v_mov_b32_e32 v0, 1
	ds_write_b32 v0, v0
	s_trap 2
.LBB6_5777:                             ;   in Loop: Header=BB6_5630 Depth=3
	s_or_b64 exec, exec, s[34:35]
	;;#ASMSTART
	s_wakeup
	;;#ASMEND
.LBB6_5778:                             ;   in Loop: Header=BB6_5630 Depth=3
	s_or_b64 exec, exec, s[30:31]
.LBB6_5779:                             ;   in Loop: Header=BB6_5630 Depth=3
	s_andn2_saveexec_b64 s[28:29], s[28:29]
	s_cbranch_execz .LBB6_5781
; %bb.5780:                             ;   in Loop: Header=BB6_5630 Depth=3
	s_waitcnt vmcnt(0) lgkmcnt(0)
	buffer_wbinvl1_vol
	s_barrier
.LBB6_5781:                             ;   in Loop: Header=BB6_5630 Depth=3
	s_or_b64 exec, exec, s[28:29]
	s_or_b64 exec, exec, s[26:27]
                                        ; implicit-def: $vgpr2
	s_and_saveexec_b64 s[26:27], s[24:25]
	s_xor_b64 s[28:29], exec, s[26:27]
	s_cbranch_execnz .LBB6_5750
.LBB6_5782:                             ;   in Loop: Header=BB6_5630 Depth=3
	s_andn2_saveexec_b64 s[26:27], s[28:29]
	s_cbranch_execz .LBB6_5801
.LBB6_5783:                             ;   in Loop: Header=BB6_5630 Depth=3
	s_and_saveexec_b64 s[28:29], s[44:45]
	s_xor_b64 s[28:29], exec, s[28:29]
	s_cbranch_execz .LBB6_5798
; %bb.5784:                             ;   in Loop: Header=BB6_5630 Depth=3
	s_and_saveexec_b64 s[30:31], s[16:17]
	s_cbranch_execz .LBB6_5797
; %bb.5785:                             ;   in Loop: Header=BB6_5630 Depth=3
	s_mov_b64 s[64:65], exec
	v_mbcnt_lo_u32_b32 v2, s64, 0
	v_mbcnt_hi_u32_b32 v2, s65, v2
	v_cmp_eq_u32_e32 vcc, 0, v2
	;;#ASMSTART
	s_waitcnt lgkmcnt(0) vmcnt(0)
	;;#ASMEND
	s_and_saveexec_b64 s[34:35], vcc
	s_cbranch_execz .LBB6_5787
; %bb.5786:                             ;   in Loop: Header=BB6_5630 Depth=3
	s_bcnt1_i32_b64 vcc_lo, s[64:65]
	v_mov_b32_e32 v26, vcc_lo
	ds_add_u64 v0, v[26:27]
	s_trap 2
.LBB6_5787:                             ;   in Loop: Header=BB6_5630 Depth=3
	s_or_b64 exec, exec, s[34:35]
	s_trap 2
	ds_read_b64 v[2:3], v0
	v_accvgpr_read_b32 v8, a16
	v_accvgpr_read_b32 v0, a26
	;; [unrolled: 1-line block ×3, first 2 shown]
	v_add_co_u32_e32 v8, vcc, v8, v0
	v_addc_co_u32_e32 v9, vcc, 0, v9, vcc
	v_accvgpr_write_b32 a17, v9
	v_accvgpr_write_b32 a16, v8
	s_waitcnt lgkmcnt(0)
	v_cmp_lt_u64_e32 vcc, v[2:3], v[8:9]
	s_and_saveexec_b64 s[34:35], vcc
	s_cbranch_execz .LBB6_5796
; %bb.5788:                             ;   in Loop: Header=BB6_5630 Depth=3
	s_mov_b32 s75, 0
	s_mov_b64 s[64:65], 0
                                        ; implicit-def: $sgpr66_sgpr67
                                        ; implicit-def: $sgpr68_sgpr69
	s_branch .LBB6_5790
.LBB6_5789:                             ;   in Loop: Header=BB6_5790 Depth=4
	s_or_b64 exec, exec, s[72:73]
	s_and_b64 vcc, exec, vcc
	s_or_b64 s[64:65], vcc, s[64:65]
	s_andn2_b64 vcc, s[66:67], exec
	s_and_b64 s[66:67], s[68:69], exec
	s_or_b64 s[66:67], vcc, s[66:67]
	s_andn2_b64 exec, exec, s[64:65]
	s_cbranch_execz .LBB6_5794
.LBB6_5790:                             ;   Parent Loop BB6_47 Depth=1
                                        ;     Parent Loop BB6_5627 Depth=2
                                        ;       Parent Loop BB6_5630 Depth=3
                                        ; =>      This Inner Loop Header: Depth=4
	s_add_i32 s75, s75, 1
	s_cmpk_lg_i32 s75, 0x2710
	s_cselect_b64 s[70:71], -1, 0
	s_and_b64 vcc, exec, s[70:71]
                                        ; implicit-def: $sgpr72_sgpr73
	s_cbranch_vccnz .LBB6_5792
; %bb.5791:                             ;   in Loop: Header=BB6_5790 Depth=4
	s_trap 2
	ds_read_b64 v[2:3], v0
	s_andn2_b64 s[70:71], s[70:71], exec
	s_mov_b32 s75, 0
	s_mov_b64 s[72:73], -1
	s_waitcnt vmcnt(0) lgkmcnt(0)
	flat_load_dword v2, v[2:3] glc
	s_waitcnt vmcnt(0) lgkmcnt(0)
	buffer_invl2
	buffer_wbinvl1_vol
	v_cmp_eq_u32_e32 vcc, 0, v2
	s_and_b64 vcc, vcc, exec
	s_or_b64 s[70:71], s[70:71], vcc
.LBB6_5792:                             ;   in Loop: Header=BB6_5790 Depth=4
	s_andn2_b64 s[68:69], s[68:69], exec
	s_and_b64 s[72:73], s[72:73], exec
	s_mov_b64 vcc, -1
	s_or_b64 s[68:69], s[68:69], s[72:73]
	s_and_saveexec_b64 s[72:73], s[70:71]
	s_cbranch_execz .LBB6_5789
; %bb.5793:                             ;   in Loop: Header=BB6_5790 Depth=4
	s_sleep 1
	s_trap 2
	ds_read_b64 v[2:3], v0
	v_accvgpr_read_b32 v8, a16
	v_accvgpr_read_b32 v9, a17
	s_andn2_b64 s[68:69], s[68:69], exec
	s_waitcnt lgkmcnt(0)
	v_cmp_ge_u64_e32 vcc, v[2:3], v[8:9]
	s_orn2_b64 vcc, vcc, exec
	s_branch .LBB6_5789
.LBB6_5794:                             ;   in Loop: Header=BB6_5630 Depth=3
	s_or_b64 exec, exec, s[64:65]
	s_and_saveexec_b64 vcc, s[66:67]
	s_xor_b64 vcc, exec, vcc
	s_cbranch_execz .LBB6_5796
; %bb.5795:                             ;   in Loop: Header=BB6_5630 Depth=3
	v_mov_b32_e32 v0, 1
	ds_write_b32 v0, v0
	s_trap 2
.LBB6_5796:                             ;   in Loop: Header=BB6_5630 Depth=3
	s_or_b64 exec, exec, s[34:35]
	;;#ASMSTART
	s_wakeup
	;;#ASMEND
.LBB6_5797:                             ;   in Loop: Header=BB6_5630 Depth=3
	s_or_b64 exec, exec, s[30:31]
.LBB6_5798:                             ;   in Loop: Header=BB6_5630 Depth=3
	s_andn2_saveexec_b64 s[28:29], s[28:29]
	s_cbranch_execz .LBB6_5800
; %bb.5799:                             ;   in Loop: Header=BB6_5630 Depth=3
	;;#ASMSTART
	s_waitcnt lgkmcnt(0) vmcnt(0)
	;;#ASMEND
	s_barrier
.LBB6_5800:                             ;   in Loop: Header=BB6_5630 Depth=3
	s_or_b64 exec, exec, s[28:29]
	v_and_b32_e32 v2, 16, v60
.LBB6_5801:                             ;   in Loop: Header=BB6_5630 Depth=3
	s_or_b64 exec, exec, s[26:27]
	v_cmp_ne_u32_e32 vcc, 0, v2
	s_xor_b64 s[26:27], s[12:13], -1
	s_and_b64 s[28:29], vcc, s[26:27]
	s_and_saveexec_b64 s[26:27], s[28:29]
	s_cbranch_execz .LBB6_5803
; %bb.5802:                             ;   in Loop: Header=BB6_5630 Depth=3
	v_accvgpr_read_b32 v2, a24
	v_accvgpr_read_b32 v3, a25
	v_mov_b32_e32 v0, 1
	flat_store_dword v[2:3], v0
.LBB6_5803:                             ;   in Loop: Header=BB6_5630 Depth=3
	s_or_b64 exec, exec, s[26:27]
	v_and_b32_e32 v2, 48, v60
	v_cmp_ne_u32_e32 vcc, 0, v2
	s_and_saveexec_b64 s[26:27], vcc
	s_cbranch_execz .LBB6_5629
; %bb.5804:                             ;   in Loop: Header=BB6_5630 Depth=3
	v_accvgpr_read_b32 v2, a12
	v_accvgpr_read_b32 v3, a13
	v_add_co_u32_e32 v2, vcc, 2, v2
	v_addc_co_u32_e32 v3, vcc, 0, v3, vcc
	v_accvgpr_write_b32 a13, v3
	v_accvgpr_read_b32 v8, a18
	v_accvgpr_write_b32 a12, v2
	v_accvgpr_read_b32 v9, a19
	flat_store_dwordx2 v[8:9], v[2:3]
	s_branch .LBB6_5629
.LBB6_5805:                             ;   in Loop: Header=BB6_5627 Depth=2
	s_or_b64 exec, exec, s[58:59]
	v_cmp_gt_i32_e32 vcc, 2, v5
	s_and_saveexec_b64 s[28:29], vcc
	s_cbranch_execz .LBB6_5879
.LBB6_5806:                             ;   in Loop: Header=BB6_5627 Depth=2
	v_cmp_eq_u32_e64 s[26:27], 0, v5
	s_mov_b64 s[30:31], 0
	s_branch .LBB6_5808
.LBB6_5807:                             ;   in Loop: Header=BB6_5808 Depth=3
	s_or_b64 exec, exec, s[26:27]
	v_add_u32_e32 v6, v4, v6
	s_mov_b64 s[26:27], 0
	s_andn2_b64 exec, exec, s[30:31]
	s_cbranch_execz .LBB6_5880
.LBB6_5808:                             ;   Parent Loop BB6_47 Depth=1
                                        ;     Parent Loop BB6_5627 Depth=2
                                        ; =>    This Loop Header: Depth=3
                                        ;         Child Loop BB6_5814 Depth 4
                                        ;         Child Loop BB6_5844 Depth 4
	;; [unrolled: 1-line block ×3, first 2 shown]
	v_and_b32_e32 v2, 12, v60
	s_mov_b64 s[58:59], -1
	v_cmp_ne_u32_e32 vcc, 0, v2
	s_and_saveexec_b64 s[34:35], vcc
	s_cbranch_execz .LBB6_5820
; %bb.5809:                             ;   in Loop: Header=BB6_5808 Depth=3
	v_and_b32_e32 v2, 8, v60
	v_add_co_u32_e32 v10, vcc, v48, v2
	v_addc_co_u32_e32 v11, vcc, 0, v49, vcc
	v_accvgpr_read_b32 v8, a12
	v_accvgpr_read_b32 v9, a13
	v_add_co_u32_e32 v8, vcc, 2, v8
	v_addc_co_u32_e32 v9, vcc, 0, v9, vcc
	v_cmp_lt_u64_e32 vcc, v[10:11], v[8:9]
	v_mov_b32_e32 v3, 1
	s_and_saveexec_b64 s[58:59], vcc
	s_cbranch_execz .LBB6_5819
; %bb.5810:                             ;   in Loop: Header=BB6_5808 Depth=3
	s_mov_b64 s[60:61], 0
	v_mov_b32_e32 v3, 0
                                        ; implicit-def: $sgpr62_sgpr63
	s_branch .LBB6_5814
.LBB6_5811:                             ;   in Loop: Header=BB6_5814 Depth=4
	s_or_b64 exec, exec, s[70:71]
	v_mov_b32_e32 v5, 0
	s_orn2_b64 s[68:69], s[68:69], exec
.LBB6_5812:                             ;   in Loop: Header=BB6_5814 Depth=4
	s_or_b64 exec, exec, s[66:67]
	s_andn2_b64 vcc, s[62:63], exec
	s_and_b64 s[62:63], s[68:69], exec
	s_or_b64 s[62:63], vcc, s[62:63]
	v_mov_b32_e32 v3, v5
.LBB6_5813:                             ;   in Loop: Header=BB6_5814 Depth=4
	s_or_b64 exec, exec, s[64:65]
	s_waitcnt vmcnt(0) lgkmcnt(0)
	v_add_co_u32_e32 v10, vcc, v48, v2
	v_addc_co_u32_e32 v11, vcc, 0, v49, vcc
	v_cmp_ge_u64_e32 vcc, v[10:11], v[8:9]
	s_xor_b64 s[64:65], s[62:63], -1
	s_or_b64 vcc, s[64:65], vcc
	s_and_b64 vcc, exec, vcc
	s_or_b64 s[60:61], vcc, s[60:61]
	s_andn2_b64 exec, exec, s[60:61]
	s_cbranch_execz .LBB6_5818
.LBB6_5814:                             ;   Parent Loop BB6_47 Depth=1
                                        ;     Parent Loop BB6_5627 Depth=2
                                        ;       Parent Loop BB6_5808 Depth=3
                                        ; =>      This Inner Loop Header: Depth=4
	v_accvgpr_read_b32 v10, a18
	v_accvgpr_read_b32 v11, a19
	s_sleep 1
	flat_load_dwordx2 v[48:49], v[10:11] glc
	v_and_b32_e32 v5, 64, v60
	v_cmp_eq_u32_e32 vcc, 0, v5
	s_andn2_b64 s[62:63], s[62:63], exec
	s_and_saveexec_b64 s[64:65], vcc
	s_cbranch_execz .LBB6_5813
; %bb.5815:                             ;   in Loop: Header=BB6_5814 Depth=4
	v_add_u32_e32 v5, 1, v3
	v_cmp_lt_i32_e32 vcc, s89, v3
	s_mov_b64 s[68:69], -1
	s_and_saveexec_b64 s[66:67], vcc
	s_cbranch_execz .LBB6_5812
; %bb.5816:                             ;   in Loop: Header=BB6_5814 Depth=4
	s_trap 2
	ds_read_b64 v[10:11], v0
	s_waitcnt vmcnt(0) lgkmcnt(0)
	flat_load_dword v3, v[10:11] glc
	s_waitcnt vmcnt(0) lgkmcnt(0)
	buffer_invl2
	buffer_wbinvl1_vol
	v_cmp_ne_u32_e32 vcc, 0, v3
	s_and_saveexec_b64 s[70:71], vcc
	s_cbranch_execz .LBB6_5811
; %bb.5817:                             ;   in Loop: Header=BB6_5814 Depth=4
	v_or_b32_e32 v60, 64, v60
	s_xor_b64 s[68:69], exec, -1
	ds_write_b32 v0, v3
	s_trap 2
	s_branch .LBB6_5811
.LBB6_5818:                             ;   in Loop: Header=BB6_5808 Depth=3
	s_or_b64 exec, exec, s[60:61]
	v_and_b32_e32 v3, 12, v60
.LBB6_5819:                             ;   in Loop: Header=BB6_5808 Depth=3
	s_or_b64 exec, exec, s[58:59]
	v_cmp_eq_u32_e32 vcc, 0, v3
	s_orn2_b64 s[58:59], vcc, exec
	;;#ASMSTART
	s_wakeup
	;;#ASMEND
.LBB6_5820:                             ;   in Loop: Header=BB6_5808 Depth=3
	s_or_b64 exec, exec, s[34:35]
	s_xor_b64 s[26:27], s[26:27], -1
	s_and_b64 s[26:27], exec, s[26:27]
	s_or_b64 s[30:31], s[26:27], s[30:31]
	v_sub_u32_e32 v2, v1, v6
	s_xor_b64 s[26:27], s[58:59], -1
	v_min_i32_e32 v4, v4, v2
	s_and_saveexec_b64 s[34:35], s[26:27]
	s_cbranch_execz .LBB6_5836
; %bb.5821:                             ;   in Loop: Header=BB6_5808 Depth=3
	v_and_b32_e32 v2, 0x108, v60
	v_cmp_ne_u32_e32 vcc, s90, v2
	v_accvgpr_read_b32 v2, a12
	v_and_b32_e32 v2, 7, v2
	v_accvgpr_read_b32 v3, a13
	s_and_saveexec_b64 s[26:27], vcc
	s_xor_b64 s[26:27], exec, s[26:27]
	s_andn2_saveexec_b64 s[26:27], s[26:27]
	s_cbranch_execz .LBB6_5823
; %bb.5822:                             ;   in Loop: Header=BB6_5808 Depth=3
	v_accvgpr_read_b32 v8, a14
	v_accvgpr_read_b32 v9, a15
	v_mad_u64_u32 v[8:9], vcc, v2, 24, v[8:9]
	v_ashrrev_i32_e32 v5, 31, v4
	flat_store_dwordx2 v[8:9], v[4:5] offset:8
.LBB6_5823:                             ;   in Loop: Header=BB6_5808 Depth=3
	s_or_b64 exec, exec, s[26:27]
	v_and_b32_e32 v3, 0x100, v60
	v_cmp_ne_u32_e32 vcc, 0, v3
	s_mov_b64 s[26:27], -1
                                        ; implicit-def: $vgpr8_vgpr9
	s_and_saveexec_b64 s[58:59], vcc
	s_cbranch_execz .LBB6_5827
; %bb.5824:                             ;   in Loop: Header=BB6_5808 Depth=3
	v_accvgpr_read_b32 v8, a14
	v_accvgpr_read_b32 v9, a15
	v_mad_u64_u32 v[10:11], s[26:27], v2, 24, v[8:9]
	v_mov_b32_e32 v8, v11
	v_mad_u64_u32 v[8:9], s[26:27], v27, 24, v[8:9]
	v_mov_b32_e32 v11, v8
	flat_load_dword v3, v[10:11]
                                        ; implicit-def: $vgpr8_vgpr9
	s_waitcnt vmcnt(0) lgkmcnt(0)
	v_cmp_ne_u32_e32 vcc, 1, v3
	v_cmp_eq_u32_e64 s[26:27], 1, v3
	s_and_saveexec_b64 s[60:61], s[26:27]
	s_cbranch_execz .LBB6_5826
; %bb.5825:                             ;   in Loop: Header=BB6_5808 Depth=3
	flat_load_dword v8, v[10:11] offset:4 glc
	s_waitcnt vmcnt(0) lgkmcnt(0)
	v_ashrrev_i32_e32 v9, 31, v8
.LBB6_5826:                             ;   in Loop: Header=BB6_5808 Depth=3
	s_or_b64 exec, exec, s[60:61]
	s_orn2_b64 s[26:27], vcc, exec
.LBB6_5827:                             ;   in Loop: Header=BB6_5808 Depth=3
	s_or_b64 exec, exec, s[58:59]
	s_and_saveexec_b64 vcc, s[26:27]
; %bb.5828:                             ;   in Loop: Header=BB6_5808 Depth=3
	v_accvgpr_read_b32 v8, a20
	v_accvgpr_read_b32 v5, a21
	v_mul_lo_u32 v3, v27, v8
	v_mul_lo_u32 v5, v2, v5
	v_mad_u64_u32 v[8:9], s[26:27], v2, v8, 0
	v_add3_u32 v9, v9, v5, v3
; %bb.5829:                             ;   in Loop: Header=BB6_5808 Depth=3
	s_or_b64 exec, exec, vcc
	v_accvgpr_read_b32 v2, a22
	v_accvgpr_read_b32 v3, a23
	v_add_co_u32_e32 v2, vcc, v2, v8
	v_addc_co_u32_e32 v3, vcc, v3, v9, vcc
	s_trap 2
	ds_write_b64 v0, v[2:3]
	v_and_b32_e32 v2, 0x2000, v60
	v_cmp_ne_u32_e32 vcc, 0, v2
	s_and_saveexec_b64 s[26:27], vcc
	s_cbranch_execz .LBB6_5831
; %bb.5830:                             ;   in Loop: Header=BB6_5808 Depth=3
	ds_read_b64 v[2:3], v0 offset:584
	s_waitcnt lgkmcnt(0)
	v_add_co_u32_e32 v2, vcc, 1, v2
	v_addc_co_u32_e32 v3, vcc, 0, v3, vcc
	ds_write_b64 v0, v[2:3] offset:584
.LBB6_5831:                             ;   in Loop: Header=BB6_5808 Depth=3
	s_or_b64 exec, exec, s[26:27]
	v_accvgpr_read_b32 v2, a12
	v_accvgpr_read_b32 v3, a13
	v_add_co_u32_e32 v2, vcc, 2, v2
	v_addc_co_u32_e32 v3, vcc, 0, v3, vcc
	v_accvgpr_write_b32 a13, v3
	v_accvgpr_write_b32 a12, v2
	s_or_b64 exec, exec, s[34:35]
	s_and_saveexec_b64 s[26:27], s[10:11]
	s_cbranch_execnz .LBB6_5837
.LBB6_5832:                             ;   in Loop: Header=BB6_5808 Depth=3
	s_or_b64 exec, exec, s[26:27]
                                        ; implicit-def: $vgpr2
	s_and_saveexec_b64 s[26:27], s[24:25]
	s_xor_b64 s[26:27], exec, s[26:27]
	s_cbranch_execz .LBB6_5855
.LBB6_5833:                             ;   in Loop: Header=BB6_5808 Depth=3
	s_trap 2
	ds_read_b32 v3, v0
	v_cmp_lt_i32_e32 vcc, 0, v4
	v_and_b32_e32 v5, 16, v60
	v_and_b32_e32 v2, 16, v60
	s_waitcnt lgkmcnt(0)
	v_readfirstlane_b32 s34, v3
	s_cmp_eq_u32 s34, 0
	s_cselect_b64 s[34:35], -1, 0
	s_and_b64 s[34:35], vcc, s[34:35]
	v_cmp_ne_u32_e32 vcc, 0, v5
	s_and_b64 s[34:35], vcc, s[34:35]
	s_and_saveexec_b64 vcc, s[34:35]
	s_cbranch_execz .LBB6_5835
; %bb.5834:                             ;   in Loop: Header=BB6_5808 Depth=3
	v_mov_b32_e32 v2, 1
	s_waitcnt vmcnt(0)
	buffer_wbinvl1_vol
.LBB6_5835:                             ;   in Loop: Header=BB6_5808 Depth=3
	s_or_b64 exec, exec, vcc
	s_andn2_saveexec_b64 s[26:27], s[26:27]
	s_cbranch_execz .LBB6_5874
	s_branch .LBB6_5856
.LBB6_5836:                             ;   in Loop: Header=BB6_5808 Depth=3
	s_or_b64 exec, exec, s[34:35]
	s_and_saveexec_b64 s[26:27], s[10:11]
	s_cbranch_execz .LBB6_5832
.LBB6_5837:                             ;   in Loop: Header=BB6_5808 Depth=3
	s_and_saveexec_b64 vcc, s[44:45]
	s_xor_b64 s[34:35], exec, vcc
	s_cbranch_execz .LBB6_5852
; %bb.5838:                             ;   in Loop: Header=BB6_5808 Depth=3
	s_and_saveexec_b64 s[58:59], s[16:17]
	s_cbranch_execz .LBB6_5851
; %bb.5839:                             ;   in Loop: Header=BB6_5808 Depth=3
	s_mov_b64 s[62:63], exec
	v_mbcnt_lo_u32_b32 v2, s62, 0
	v_mbcnt_hi_u32_b32 v2, s63, v2
	v_cmp_eq_u32_e32 vcc, 0, v2
	s_waitcnt vmcnt(0) lgkmcnt(0)
	buffer_wbinvl1_vol
	s_and_saveexec_b64 s[60:61], vcc
	s_cbranch_execz .LBB6_5841
; %bb.5840:                             ;   in Loop: Header=BB6_5808 Depth=3
	s_bcnt1_i32_b64 vcc_lo, s[62:63]
	v_mov_b32_e32 v26, vcc_lo
	ds_add_u64 v0, v[26:27]
	s_trap 2
.LBB6_5841:                             ;   in Loop: Header=BB6_5808 Depth=3
	s_or_b64 exec, exec, s[60:61]
	s_trap 2
	ds_read_b64 v[2:3], v0
	v_accvgpr_read_b32 v8, a16
	v_accvgpr_read_b32 v0, a26
	;; [unrolled: 1-line block ×3, first 2 shown]
	v_add_co_u32_e32 v8, vcc, v8, v0
	v_addc_co_u32_e32 v9, vcc, 0, v9, vcc
	v_accvgpr_write_b32 a17, v9
	v_accvgpr_write_b32 a16, v8
	s_waitcnt lgkmcnt(0)
	v_cmp_lt_u64_e32 vcc, v[2:3], v[8:9]
	s_and_saveexec_b64 s[60:61], vcc
	s_cbranch_execz .LBB6_5850
; %bb.5842:                             ;   in Loop: Header=BB6_5808 Depth=3
	s_mov_b32 s72, 0
	s_mov_b64 s[62:63], 0
                                        ; implicit-def: $sgpr64_sgpr65
                                        ; implicit-def: $sgpr66_sgpr67
	s_branch .LBB6_5844
.LBB6_5843:                             ;   in Loop: Header=BB6_5844 Depth=4
	s_or_b64 exec, exec, s[70:71]
	s_and_b64 vcc, exec, vcc
	s_or_b64 s[62:63], vcc, s[62:63]
	s_andn2_b64 vcc, s[64:65], exec
	s_and_b64 s[64:65], s[66:67], exec
	s_or_b64 s[64:65], vcc, s[64:65]
	s_andn2_b64 exec, exec, s[62:63]
	s_cbranch_execz .LBB6_5848
.LBB6_5844:                             ;   Parent Loop BB6_47 Depth=1
                                        ;     Parent Loop BB6_5627 Depth=2
                                        ;       Parent Loop BB6_5808 Depth=3
                                        ; =>      This Inner Loop Header: Depth=4
	s_add_i32 s72, s72, 1
	s_cmpk_lg_i32 s72, 0x2710
	s_cselect_b64 s[68:69], -1, 0
	s_and_b64 vcc, exec, s[68:69]
                                        ; implicit-def: $sgpr70_sgpr71
	s_cbranch_vccnz .LBB6_5846
; %bb.5845:                             ;   in Loop: Header=BB6_5844 Depth=4
	s_trap 2
	ds_read_b64 v[2:3], v0
	s_andn2_b64 s[68:69], s[68:69], exec
	s_mov_b32 s72, 0
	s_mov_b64 s[70:71], -1
	s_waitcnt lgkmcnt(0)
	flat_load_dword v2, v[2:3] glc
	s_waitcnt vmcnt(0) lgkmcnt(0)
	buffer_invl2
	buffer_wbinvl1_vol
	v_cmp_eq_u32_e32 vcc, 0, v2
	s_and_b64 vcc, vcc, exec
	s_or_b64 s[68:69], s[68:69], vcc
.LBB6_5846:                             ;   in Loop: Header=BB6_5844 Depth=4
	s_andn2_b64 s[66:67], s[66:67], exec
	s_and_b64 s[70:71], s[70:71], exec
	s_mov_b64 vcc, -1
	s_or_b64 s[66:67], s[66:67], s[70:71]
	s_and_saveexec_b64 s[70:71], s[68:69]
	s_cbranch_execz .LBB6_5843
; %bb.5847:                             ;   in Loop: Header=BB6_5844 Depth=4
	s_sleep 1
	s_trap 2
	ds_read_b64 v[2:3], v0
	v_accvgpr_read_b32 v8, a16
	v_accvgpr_read_b32 v9, a17
	s_andn2_b64 s[66:67], s[66:67], exec
	s_waitcnt lgkmcnt(0)
	v_cmp_ge_u64_e32 vcc, v[2:3], v[8:9]
	s_orn2_b64 vcc, vcc, exec
	s_branch .LBB6_5843
.LBB6_5848:                             ;   in Loop: Header=BB6_5808 Depth=3
	s_or_b64 exec, exec, s[62:63]
	s_and_saveexec_b64 vcc, s[64:65]
	s_xor_b64 vcc, exec, vcc
	s_cbranch_execz .LBB6_5850
; %bb.5849:                             ;   in Loop: Header=BB6_5808 Depth=3
	v_mov_b32_e32 v0, 1
	ds_write_b32 v0, v0
	s_trap 2
.LBB6_5850:                             ;   in Loop: Header=BB6_5808 Depth=3
	s_or_b64 exec, exec, s[60:61]
	;;#ASMSTART
	s_wakeup
	;;#ASMEND
.LBB6_5851:                             ;   in Loop: Header=BB6_5808 Depth=3
	s_or_b64 exec, exec, s[58:59]
.LBB6_5852:                             ;   in Loop: Header=BB6_5808 Depth=3
	s_andn2_saveexec_b64 vcc, s[34:35]
	s_cbranch_execz .LBB6_5854
; %bb.5853:                             ;   in Loop: Header=BB6_5808 Depth=3
	s_waitcnt vmcnt(0) lgkmcnt(0)
	buffer_wbinvl1_vol
	s_barrier
.LBB6_5854:                             ;   in Loop: Header=BB6_5808 Depth=3
	s_or_b64 exec, exec, vcc
	s_or_b64 exec, exec, s[26:27]
                                        ; implicit-def: $vgpr2
	s_and_saveexec_b64 s[26:27], s[24:25]
	s_xor_b64 s[26:27], exec, s[26:27]
	s_cbranch_execnz .LBB6_5833
.LBB6_5855:                             ;   in Loop: Header=BB6_5808 Depth=3
	s_andn2_saveexec_b64 s[26:27], s[26:27]
	s_cbranch_execz .LBB6_5874
.LBB6_5856:                             ;   in Loop: Header=BB6_5808 Depth=3
	s_and_saveexec_b64 vcc, s[44:45]
	s_xor_b64 s[34:35], exec, vcc
	s_cbranch_execz .LBB6_5871
; %bb.5857:                             ;   in Loop: Header=BB6_5808 Depth=3
	s_and_saveexec_b64 s[58:59], s[16:17]
	s_cbranch_execz .LBB6_5870
; %bb.5858:                             ;   in Loop: Header=BB6_5808 Depth=3
	s_mov_b64 s[62:63], exec
	v_mbcnt_lo_u32_b32 v2, s62, 0
	v_mbcnt_hi_u32_b32 v2, s63, v2
	v_cmp_eq_u32_e32 vcc, 0, v2
	;;#ASMSTART
	s_waitcnt lgkmcnt(0) vmcnt(0)
	;;#ASMEND
	s_and_saveexec_b64 s[60:61], vcc
	s_cbranch_execz .LBB6_5860
; %bb.5859:                             ;   in Loop: Header=BB6_5808 Depth=3
	s_bcnt1_i32_b64 vcc_lo, s[62:63]
	v_mov_b32_e32 v26, vcc_lo
	ds_add_u64 v0, v[26:27]
	s_trap 2
.LBB6_5860:                             ;   in Loop: Header=BB6_5808 Depth=3
	s_or_b64 exec, exec, s[60:61]
	s_trap 2
	ds_read_b64 v[2:3], v0
	v_accvgpr_read_b32 v8, a16
	v_accvgpr_read_b32 v0, a26
	;; [unrolled: 1-line block ×3, first 2 shown]
	v_add_co_u32_e32 v8, vcc, v8, v0
	v_addc_co_u32_e32 v9, vcc, 0, v9, vcc
	v_accvgpr_write_b32 a17, v9
	v_accvgpr_write_b32 a16, v8
	s_waitcnt lgkmcnt(0)
	v_cmp_lt_u64_e32 vcc, v[2:3], v[8:9]
	s_and_saveexec_b64 s[60:61], vcc
	s_cbranch_execz .LBB6_5869
; %bb.5861:                             ;   in Loop: Header=BB6_5808 Depth=3
	s_mov_b32 s72, 0
	s_mov_b64 s[62:63], 0
                                        ; implicit-def: $sgpr64_sgpr65
                                        ; implicit-def: $sgpr66_sgpr67
	s_branch .LBB6_5863
.LBB6_5862:                             ;   in Loop: Header=BB6_5863 Depth=4
	s_or_b64 exec, exec, s[70:71]
	s_and_b64 vcc, exec, vcc
	s_or_b64 s[62:63], vcc, s[62:63]
	s_andn2_b64 vcc, s[64:65], exec
	s_and_b64 s[64:65], s[66:67], exec
	s_or_b64 s[64:65], vcc, s[64:65]
	s_andn2_b64 exec, exec, s[62:63]
	s_cbranch_execz .LBB6_5867
.LBB6_5863:                             ;   Parent Loop BB6_47 Depth=1
                                        ;     Parent Loop BB6_5627 Depth=2
                                        ;       Parent Loop BB6_5808 Depth=3
                                        ; =>      This Inner Loop Header: Depth=4
	s_add_i32 s72, s72, 1
	s_cmpk_lg_i32 s72, 0x2710
	s_cselect_b64 s[68:69], -1, 0
	s_and_b64 vcc, exec, s[68:69]
                                        ; implicit-def: $sgpr70_sgpr71
	s_cbranch_vccnz .LBB6_5865
; %bb.5864:                             ;   in Loop: Header=BB6_5863 Depth=4
	s_trap 2
	ds_read_b64 v[2:3], v0
	s_andn2_b64 s[68:69], s[68:69], exec
	s_mov_b32 s72, 0
	s_mov_b64 s[70:71], -1
	s_waitcnt vmcnt(0) lgkmcnt(0)
	flat_load_dword v2, v[2:3] glc
	s_waitcnt vmcnt(0) lgkmcnt(0)
	buffer_invl2
	buffer_wbinvl1_vol
	v_cmp_eq_u32_e32 vcc, 0, v2
	s_and_b64 vcc, vcc, exec
	s_or_b64 s[68:69], s[68:69], vcc
.LBB6_5865:                             ;   in Loop: Header=BB6_5863 Depth=4
	s_andn2_b64 s[66:67], s[66:67], exec
	s_and_b64 s[70:71], s[70:71], exec
	s_mov_b64 vcc, -1
	s_or_b64 s[66:67], s[66:67], s[70:71]
	s_and_saveexec_b64 s[70:71], s[68:69]
	s_cbranch_execz .LBB6_5862
; %bb.5866:                             ;   in Loop: Header=BB6_5863 Depth=4
	s_sleep 1
	s_trap 2
	ds_read_b64 v[2:3], v0
	v_accvgpr_read_b32 v8, a16
	v_accvgpr_read_b32 v9, a17
	s_andn2_b64 s[66:67], s[66:67], exec
	s_waitcnt lgkmcnt(0)
	v_cmp_ge_u64_e32 vcc, v[2:3], v[8:9]
	s_orn2_b64 vcc, vcc, exec
	s_branch .LBB6_5862
.LBB6_5867:                             ;   in Loop: Header=BB6_5808 Depth=3
	s_or_b64 exec, exec, s[62:63]
	s_and_saveexec_b64 vcc, s[64:65]
	s_xor_b64 vcc, exec, vcc
	s_cbranch_execz .LBB6_5869
; %bb.5868:                             ;   in Loop: Header=BB6_5808 Depth=3
	v_mov_b32_e32 v0, 1
	ds_write_b32 v0, v0
	s_trap 2
.LBB6_5869:                             ;   in Loop: Header=BB6_5808 Depth=3
	s_or_b64 exec, exec, s[60:61]
	;;#ASMSTART
	s_wakeup
	;;#ASMEND
.LBB6_5870:                             ;   in Loop: Header=BB6_5808 Depth=3
	s_or_b64 exec, exec, s[58:59]
.LBB6_5871:                             ;   in Loop: Header=BB6_5808 Depth=3
	s_andn2_saveexec_b64 vcc, s[34:35]
	s_cbranch_execz .LBB6_5873
; %bb.5872:                             ;   in Loop: Header=BB6_5808 Depth=3
	;;#ASMSTART
	s_waitcnt lgkmcnt(0) vmcnt(0)
	;;#ASMEND
	s_barrier
.LBB6_5873:                             ;   in Loop: Header=BB6_5808 Depth=3
	s_or_b64 exec, exec, vcc
	v_and_b32_e32 v2, 16, v60
.LBB6_5874:                             ;   in Loop: Header=BB6_5808 Depth=3
	s_or_b64 exec, exec, s[26:27]
	v_cmp_ne_u32_e32 vcc, 0, v2
	s_xor_b64 s[26:27], s[12:13], -1
	s_and_b64 vcc, vcc, s[26:27]
	s_and_saveexec_b64 s[26:27], vcc
	s_cbranch_execz .LBB6_5876
; %bb.5875:                             ;   in Loop: Header=BB6_5808 Depth=3
	v_accvgpr_read_b32 v2, a24
	v_accvgpr_read_b32 v3, a25
	v_mov_b32_e32 v0, 1
	flat_store_dword v[2:3], v0
.LBB6_5876:                             ;   in Loop: Header=BB6_5808 Depth=3
	s_or_b64 exec, exec, s[26:27]
	v_and_b32_e32 v2, 48, v60
	v_cmp_ne_u32_e32 vcc, 0, v2
	s_and_saveexec_b64 s[26:27], vcc
	s_cbranch_execz .LBB6_5807
; %bb.5877:                             ;   in Loop: Header=BB6_5808 Depth=3
	v_accvgpr_read_b32 v2, a12
	v_accvgpr_read_b32 v3, a13
	v_add_co_u32_e32 v2, vcc, 2, v2
	v_addc_co_u32_e32 v3, vcc, 0, v3, vcc
	v_accvgpr_write_b32 a13, v3
	v_accvgpr_read_b32 v8, a18
	v_accvgpr_write_b32 a12, v2
	v_accvgpr_read_b32 v9, a19
	flat_store_dwordx2 v[8:9], v[2:3]
	s_branch .LBB6_5807
.LBB6_5878:                             ;   in Loop: Header=BB6_5627 Depth=2
	s_or_b64 exec, exec, s[60:61]
	s_or_b64 exec, exec, s[58:59]
	v_cmp_gt_i32_e32 vcc, 2, v5
	s_and_saveexec_b64 s[28:29], vcc
	s_cbranch_execnz .LBB6_5806
.LBB6_5879:                             ;   in Loop: Header=BB6_5627 Depth=2
	s_or_b64 exec, exec, s[28:29]
	s_add_i32 s26, s47, 1
	s_cmp_eq_u32 s47, s88
	s_cbranch_scc0 .LBB6_5881
	s_branch .LBB6_5882
.LBB6_5880:                             ;   in Loop: Header=BB6_5627 Depth=2
	s_or_b64 exec, exec, s[30:31]
	s_or_b64 exec, exec, s[28:29]
	s_add_i32 s26, s47, 1
	s_cmp_eq_u32 s47, s88
	s_cbranch_scc1 .LBB6_5882
.LBB6_5881:                             ;   in Loop: Header=BB6_5627 Depth=2
	s_mov_b32 s47, s26
	s_branch .LBB6_5627
.LBB6_5882:                             ;   in Loop: Header=BB6_47 Depth=1
	v_accvgpr_read_b32 v6, a52
	v_readlane_b32 s26, v61, 12
	v_accvgpr_read_b32 v7, a53
	v_readlane_b32 s27, v61, 13
	v_mul_lo_u32 v1, v7, s26
	v_mul_lo_u32 v4, v6, s27
	v_mad_u64_u32 v[2:3], s[26:27], v6, s26, 0
	v_add3_u32 v3, v3, v4, v1
	v_accvgpr_read_b32 v0, a54
	v_accvgpr_read_b32 v1, a55
	v_sub_co_u32_e32 v4, vcc, v0, v2
	v_subb_co_u32_e32 v5, vcc, v1, v3, vcc
	v_cmp_lt_i64_e32 vcc, v[6:7], v[4:5]
	v_cndmask_b32_e32 v4, v4, v6, vcc
	v_max_i32_e32 v1, 0, v4
	v_add_u32_e32 v5, 31, v1
	v_lshrrev_b32_e32 v5, 1, v5
	v_and_b32_e32 v5, 0x3ffffff0, v5
	v_cmp_lt_i32_e32 vcc, 0, v4
	v_max_i32_e32 v6, s85, v5
	s_and_b64 s[26:27], s[50:51], vcc
	v_mov_b32_e32 v4, 0
	v_mov_b32_e32 v7, 0
	s_and_saveexec_b64 s[28:29], s[26:27]
	s_cbranch_execz .LBB6_6022
; %bb.5883:                             ;   in Loop: Header=BB6_47 Depth=1
	v_accvgpr_read_b32 v0, a49
	v_add_co_u32_e32 v12, vcc, v2, v0
	v_accvgpr_read_b32 v0, a56
	v_addc_co_u32_e32 v13, vcc, v3, v0, vcc
	s_mov_b32 s47, 1
	s_mov_b64 s[34:35], -1
	s_mov_b64 s[30:31], 0
	v_mov_b32_e32 v7, 0
	s_branch .LBB6_5885
.LBB6_5884:                             ;   in Loop: Header=BB6_5885 Depth=2
	s_or_b64 exec, exec, s[26:27]
	v_add_u32_e32 v7, v6, v7
	v_cmp_ge_i32_e32 vcc, v7, v1
	s_xor_b64 s[26:27], s[34:35], -1
	s_or_b64 s[26:27], s[26:27], vcc
	s_and_b64 s[26:27], exec, s[26:27]
	s_or_b64 s[30:31], s[26:27], s[30:31]
	s_mov_b64 s[34:35], 0
	v_mov_b32_e32 v4, s47
	s_mov_b32 s47, 2
	s_andn2_b64 exec, exec, s[30:31]
	s_cbranch_execz .LBB6_6021
.LBB6_5885:                             ;   Parent Loop BB6_47 Depth=1
                                        ; =>  This Loop Header: Depth=2
                                        ;       Child Loop BB6_5893 Depth 3
                                        ;       Child Loop BB6_5917 Depth 3
	;; [unrolled: 1-line block ×9, first 2 shown]
	s_and_saveexec_b64 s[26:27], s[4:5]
	s_cbranch_execz .LBB6_5887
; %bb.5886:                             ;   in Loop: Header=BB6_5885 Depth=2
	s_trap 2
	ds_read_b128 v[2:5], v0
	v_ashrrev_i32_e32 v8, 31, v7
	s_waitcnt lgkmcnt(0)
	v_add_co_u32_e32 v2, vcc, v2, v12
	v_addc_co_u32_e32 v3, vcc, v3, v13, vcc
	v_add_co_u32_e32 v2, vcc, v2, v7
	v_addc_co_u32_e32 v3, vcc, v3, v8, vcc
	ds_write_b64 v0, v[2:3]
	v_add_co_u32_e32 v2, vcc, v4, v12
	v_addc_co_u32_e32 v3, vcc, v5, v13, vcc
	v_add_co_u32_e32 v2, vcc, v2, v7
	v_addc_co_u32_e32 v3, vcc, v3, v8, vcc
	v_cmp_ne_u64_e32 vcc, 0, v[4:5]
	v_cndmask_b32_e32 v3, 0, v3, vcc
	v_cndmask_b32_e32 v2, 0, v2, vcc
	ds_write_b64 v0, v[2:3]
.LBB6_5887:                             ;   in Loop: Header=BB6_5885 Depth=2
	s_or_b64 exec, exec, s[26:27]
	v_and_b32_e32 v2, 4, v60
	v_cmp_ne_u32_e32 vcc, 0, v2
	s_mov_b64 s[58:59], -1
	s_and_saveexec_b64 s[26:27], vcc
	s_cbranch_execz .LBB6_5897
; %bb.5888:                             ;   in Loop: Header=BB6_5885 Depth=2
	v_accvgpr_read_b32 v2, a12
	v_accvgpr_read_b32 v3, a13
	v_add_co_u32_e32 v2, vcc, 2, v2
	v_addc_co_u32_e32 v3, vcc, 0, v3, vcc
	v_cmp_lt_u64_e32 vcc, v[48:49], v[2:3]
	v_mov_b32_e32 v4, 1
	s_and_saveexec_b64 s[58:59], vcc
	s_cbranch_execz .LBB6_5908
; %bb.5889:                             ;   in Loop: Header=BB6_5885 Depth=2
	s_mov_b64 s[60:61], 0
	v_mov_b32_e32 v4, 0
                                        ; implicit-def: $sgpr62_sgpr63
	s_branch .LBB6_5893
.LBB6_5890:                             ;   in Loop: Header=BB6_5893 Depth=3
	s_or_b64 exec, exec, s[70:71]
	v_mov_b32_e32 v5, 0
	s_orn2_b64 s[68:69], s[68:69], exec
.LBB6_5891:                             ;   in Loop: Header=BB6_5893 Depth=3
	s_or_b64 exec, exec, s[66:67]
	s_andn2_b64 vcc, s[62:63], exec
	s_and_b64 s[62:63], s[68:69], exec
	s_or_b64 s[62:63], vcc, s[62:63]
	v_mov_b32_e32 v4, v5
.LBB6_5892:                             ;   in Loop: Header=BB6_5893 Depth=3
	s_or_b64 exec, exec, s[64:65]
	s_waitcnt vmcnt(0) lgkmcnt(0)
	v_cmp_ge_u64_e32 vcc, v[48:49], v[2:3]
	s_xor_b64 s[64:65], s[62:63], -1
	s_or_b64 vcc, s[64:65], vcc
	s_and_b64 vcc, exec, vcc
	s_or_b64 s[60:61], vcc, s[60:61]
	s_andn2_b64 exec, exec, s[60:61]
	s_cbranch_execz .LBB6_5907
.LBB6_5893:                             ;   Parent Loop BB6_47 Depth=1
                                        ;     Parent Loop BB6_5885 Depth=2
                                        ; =>    This Inner Loop Header: Depth=3
	v_accvgpr_read_b32 v8, a18
	v_accvgpr_read_b32 v9, a19
	s_sleep 1
	flat_load_dwordx2 v[48:49], v[8:9] glc
	v_and_b32_e32 v5, 64, v60
	v_cmp_eq_u32_e32 vcc, 0, v5
	s_andn2_b64 s[62:63], s[62:63], exec
	s_and_saveexec_b64 s[64:65], vcc
	s_cbranch_execz .LBB6_5892
; %bb.5894:                             ;   in Loop: Header=BB6_5893 Depth=3
	v_add_u32_e32 v5, 1, v4
	v_cmp_lt_i32_e32 vcc, s89, v4
	s_mov_b64 s[68:69], -1
	s_and_saveexec_b64 s[66:67], vcc
	s_cbranch_execz .LBB6_5891
; %bb.5895:                             ;   in Loop: Header=BB6_5893 Depth=3
	s_trap 2
	ds_read_b64 v[4:5], v0
	s_waitcnt vmcnt(0) lgkmcnt(0)
	flat_load_dword v4, v[4:5] glc
	s_waitcnt vmcnt(0) lgkmcnt(0)
	buffer_invl2
	buffer_wbinvl1_vol
	v_cmp_ne_u32_e32 vcc, 0, v4
	s_and_saveexec_b64 s[70:71], vcc
	s_cbranch_execz .LBB6_5890
; %bb.5896:                             ;   in Loop: Header=BB6_5893 Depth=3
	v_or_b32_e32 v60, 64, v60
	s_xor_b64 s[68:69], exec, -1
	ds_write_b32 v0, v4
	s_trap 2
	s_branch .LBB6_5890
.LBB6_5897:                             ;   in Loop: Header=BB6_5885 Depth=2
	s_or_b64 exec, exec, s[26:27]
	s_xor_b64 s[26:27], s[58:59], -1
	s_and_saveexec_b64 s[58:59], s[26:27]
	s_cbranch_execz .LBB6_5909
.LBB6_5898:                             ;   in Loop: Header=BB6_5885 Depth=2
	v_and_b32_e32 v2, 0x100, v60
	v_cmp_ne_u32_e32 vcc, 0, v2
	v_accvgpr_read_b32 v2, a12
	v_accvgpr_read_b32 v3, a13
	v_and_b32_e32 v8, 7, v2
	s_mov_b64 s[26:27], -1
                                        ; implicit-def: $vgpr2_vgpr3
	s_and_saveexec_b64 s[60:61], vcc
	s_cbranch_execz .LBB6_5902
; %bb.5899:                             ;   in Loop: Header=BB6_5885 Depth=2
	v_accvgpr_read_b32 v2, a14
	v_accvgpr_read_b32 v3, a15
	v_mad_u64_u32 v[4:5], s[26:27], v8, 24, v[2:3]
	flat_load_dword v2, v[4:5]
	s_waitcnt vmcnt(0) lgkmcnt(0)
	v_cmp_ne_u32_e32 vcc, 1, v2
	v_cmp_eq_u32_e64 s[26:27], 1, v2
                                        ; implicit-def: $vgpr2_vgpr3
	s_and_saveexec_b64 s[62:63], s[26:27]
	s_cbranch_execz .LBB6_5901
; %bb.5900:                             ;   in Loop: Header=BB6_5885 Depth=2
	flat_load_dword v2, v[4:5] offset:4 glc
	s_waitcnt vmcnt(0) lgkmcnt(0)
	v_ashrrev_i32_e32 v3, 31, v2
.LBB6_5901:                             ;   in Loop: Header=BB6_5885 Depth=2
	s_or_b64 exec, exec, s[62:63]
	s_orn2_b64 s[26:27], vcc, exec
.LBB6_5902:                             ;   in Loop: Header=BB6_5885 Depth=2
	s_or_b64 exec, exec, s[60:61]
	s_and_saveexec_b64 vcc, s[26:27]
; %bb.5903:                             ;   in Loop: Header=BB6_5885 Depth=2
	v_accvgpr_read_b32 v2, a20
	v_mad_i64_i32 v[2:3], s[26:27], v8, v2, 0
; %bb.5904:                             ;   in Loop: Header=BB6_5885 Depth=2
	s_or_b64 exec, exec, vcc
	v_accvgpr_read_b32 v4, a22
	v_accvgpr_read_b32 v5, a23
	v_add_co_u32_e32 v2, vcc, v4, v2
	v_addc_co_u32_e32 v3, vcc, v5, v3, vcc
	ds_write_b64 v0, v[2:3] offset:720
	v_and_b32_e32 v2, 0x2000, v60
	v_cmp_ne_u32_e32 vcc, 0, v2
	s_and_saveexec_b64 s[26:27], vcc
	s_cbranch_execz .LBB6_5906
; %bb.5905:                             ;   in Loop: Header=BB6_5885 Depth=2
	ds_read_b64 v[2:3], v0 offset:584
	s_waitcnt lgkmcnt(0)
	v_add_co_u32_e32 v2, vcc, 1, v2
	v_addc_co_u32_e32 v3, vcc, 0, v3, vcc
	ds_write_b64 v0, v[2:3] offset:584
.LBB6_5906:                             ;   in Loop: Header=BB6_5885 Depth=2
	s_or_b64 exec, exec, s[26:27]
	v_accvgpr_read_b32 v2, a12
	v_accvgpr_read_b32 v3, a13
	v_add_co_u32_e32 v2, vcc, 2, v2
	v_addc_co_u32_e32 v3, vcc, 0, v3, vcc
	v_accvgpr_write_b32 a13, v3
	v_accvgpr_write_b32 a12, v2
	s_or_b64 exec, exec, s[58:59]
	s_and_saveexec_b64 s[26:27], s[10:11]
	s_cbranch_execz .LBB6_5928
	s_branch .LBB6_5910
.LBB6_5907:                             ;   in Loop: Header=BB6_5885 Depth=2
	s_or_b64 exec, exec, s[60:61]
	v_and_b32_e32 v4, 4, v60
.LBB6_5908:                             ;   in Loop: Header=BB6_5885 Depth=2
	s_or_b64 exec, exec, s[58:59]
	v_cmp_eq_u32_e32 vcc, 0, v4
	s_orn2_b64 s[58:59], vcc, exec
	;;#ASMSTART
	s_wakeup
	;;#ASMEND
	s_or_b64 exec, exec, s[26:27]
	s_xor_b64 s[26:27], s[58:59], -1
	s_and_saveexec_b64 s[58:59], s[26:27]
	s_cbranch_execnz .LBB6_5898
.LBB6_5909:                             ;   in Loop: Header=BB6_5885 Depth=2
	s_or_b64 exec, exec, s[58:59]
	s_and_saveexec_b64 s[26:27], s[10:11]
	s_cbranch_execz .LBB6_5928
.LBB6_5910:                             ;   in Loop: Header=BB6_5885 Depth=2
	s_and_saveexec_b64 vcc, s[44:45]
	s_xor_b64 s[58:59], exec, vcc
	s_cbranch_execz .LBB6_5925
; %bb.5911:                             ;   in Loop: Header=BB6_5885 Depth=2
	s_and_saveexec_b64 s[60:61], s[16:17]
	s_cbranch_execz .LBB6_5924
; %bb.5912:                             ;   in Loop: Header=BB6_5885 Depth=2
	s_mov_b64 s[64:65], exec
	v_mbcnt_lo_u32_b32 v2, s64, 0
	v_mbcnt_hi_u32_b32 v2, s65, v2
	v_cmp_eq_u32_e32 vcc, 0, v2
	s_waitcnt vmcnt(0) lgkmcnt(0)
	buffer_wbinvl1_vol
	s_and_saveexec_b64 s[62:63], vcc
	s_cbranch_execz .LBB6_5914
; %bb.5913:                             ;   in Loop: Header=BB6_5885 Depth=2
	s_bcnt1_i32_b64 vcc_lo, s[64:65]
	v_mov_b32_e32 v26, vcc_lo
	ds_add_u64 v0, v[26:27]
	s_trap 2
.LBB6_5914:                             ;   in Loop: Header=BB6_5885 Depth=2
	s_or_b64 exec, exec, s[62:63]
	s_trap 2
	ds_read_b64 v[2:3], v0
	v_accvgpr_read_b32 v4, a16
	v_accvgpr_read_b32 v0, a26
	;; [unrolled: 1-line block ×3, first 2 shown]
	v_add_co_u32_e32 v4, vcc, v4, v0
	v_addc_co_u32_e32 v5, vcc, 0, v5, vcc
	v_accvgpr_write_b32 a17, v5
	v_accvgpr_write_b32 a16, v4
	s_waitcnt lgkmcnt(0)
	v_cmp_lt_u64_e32 vcc, v[2:3], v[4:5]
	s_and_saveexec_b64 s[62:63], vcc
	s_cbranch_execz .LBB6_5923
; %bb.5915:                             ;   in Loop: Header=BB6_5885 Depth=2
	s_mov_b32 s74, 0
	s_mov_b64 s[64:65], 0
                                        ; implicit-def: $sgpr66_sgpr67
                                        ; implicit-def: $sgpr68_sgpr69
	s_branch .LBB6_5917
.LBB6_5916:                             ;   in Loop: Header=BB6_5917 Depth=3
	s_or_b64 exec, exec, s[72:73]
	s_and_b64 vcc, exec, vcc
	s_or_b64 s[64:65], vcc, s[64:65]
	s_andn2_b64 vcc, s[66:67], exec
	s_and_b64 s[66:67], s[68:69], exec
	s_or_b64 s[66:67], vcc, s[66:67]
	s_andn2_b64 exec, exec, s[64:65]
	s_cbranch_execz .LBB6_5921
.LBB6_5917:                             ;   Parent Loop BB6_47 Depth=1
                                        ;     Parent Loop BB6_5885 Depth=2
                                        ; =>    This Inner Loop Header: Depth=3
	s_add_i32 s74, s74, 1
	s_cmpk_lg_i32 s74, 0x2710
	s_cselect_b64 s[70:71], -1, 0
	s_and_b64 vcc, exec, s[70:71]
                                        ; implicit-def: $sgpr72_sgpr73
	s_cbranch_vccnz .LBB6_5919
; %bb.5918:                             ;   in Loop: Header=BB6_5917 Depth=3
	s_trap 2
	ds_read_b64 v[2:3], v0
	s_andn2_b64 s[70:71], s[70:71], exec
	s_mov_b32 s74, 0
	s_mov_b64 s[72:73], -1
	s_waitcnt lgkmcnt(0)
	flat_load_dword v2, v[2:3] glc
	s_waitcnt vmcnt(0) lgkmcnt(0)
	buffer_invl2
	buffer_wbinvl1_vol
	v_cmp_eq_u32_e32 vcc, 0, v2
	s_and_b64 vcc, vcc, exec
	s_or_b64 s[70:71], s[70:71], vcc
.LBB6_5919:                             ;   in Loop: Header=BB6_5917 Depth=3
	s_andn2_b64 s[68:69], s[68:69], exec
	s_and_b64 s[72:73], s[72:73], exec
	s_mov_b64 vcc, -1
	s_or_b64 s[68:69], s[68:69], s[72:73]
	s_and_saveexec_b64 s[72:73], s[70:71]
	s_cbranch_execz .LBB6_5916
; %bb.5920:                             ;   in Loop: Header=BB6_5917 Depth=3
	s_sleep 1
	s_trap 2
	ds_read_b64 v[2:3], v0
	v_accvgpr_read_b32 v4, a16
	v_accvgpr_read_b32 v5, a17
	s_andn2_b64 s[68:69], s[68:69], exec
	s_waitcnt lgkmcnt(0)
	v_cmp_ge_u64_e32 vcc, v[2:3], v[4:5]
	s_orn2_b64 vcc, vcc, exec
	s_branch .LBB6_5916
.LBB6_5921:                             ;   in Loop: Header=BB6_5885 Depth=2
	s_or_b64 exec, exec, s[64:65]
	s_and_saveexec_b64 vcc, s[66:67]
	s_xor_b64 vcc, exec, vcc
	s_cbranch_execz .LBB6_5923
; %bb.5922:                             ;   in Loop: Header=BB6_5885 Depth=2
	v_mov_b32_e32 v0, 1
	ds_write_b32 v0, v0
	s_trap 2
.LBB6_5923:                             ;   in Loop: Header=BB6_5885 Depth=2
	s_or_b64 exec, exec, s[62:63]
	;;#ASMSTART
	s_wakeup
	;;#ASMEND
.LBB6_5924:                             ;   in Loop: Header=BB6_5885 Depth=2
	s_or_b64 exec, exec, s[60:61]
.LBB6_5925:                             ;   in Loop: Header=BB6_5885 Depth=2
	s_andn2_saveexec_b64 vcc, s[58:59]
	s_cbranch_execz .LBB6_5927
; %bb.5926:                             ;   in Loop: Header=BB6_5885 Depth=2
	s_waitcnt vmcnt(0) lgkmcnt(0)
	buffer_wbinvl1_vol
	s_barrier
.LBB6_5927:                             ;   in Loop: Header=BB6_5885 Depth=2
	s_or_b64 exec, exec, vcc
.LBB6_5928:                             ;   in Loop: Header=BB6_5885 Depth=2
	s_or_b64 exec, exec, s[26:27]
	s_trap 2
	ds_read_b32 v2, v0
	v_and_b32_e32 v3, 0x4000, v60
	v_cmp_ne_u32_e32 vcc, 0, v3
	s_xor_b64 s[26:27], s[6:7], -1
	s_and_b64 vcc, s[26:27], vcc
	s_and_saveexec_b64 s[26:27], vcc
	s_cbranch_execz .LBB6_5947
; %bb.5929:                             ;   in Loop: Header=BB6_5885 Depth=2
	s_and_saveexec_b64 vcc, s[44:45]
	s_xor_b64 s[58:59], exec, vcc
	s_cbranch_execz .LBB6_5944
; %bb.5930:                             ;   in Loop: Header=BB6_5885 Depth=2
	s_and_saveexec_b64 s[60:61], s[16:17]
	s_cbranch_execz .LBB6_5943
; %bb.5931:                             ;   in Loop: Header=BB6_5885 Depth=2
	s_mov_b64 s[64:65], exec
	v_mbcnt_lo_u32_b32 v3, s64, 0
	v_mbcnt_hi_u32_b32 v3, s65, v3
	v_cmp_eq_u32_e32 vcc, 0, v3
	s_waitcnt vmcnt(0) lgkmcnt(0)
	buffer_wbinvl1_vol
	s_and_saveexec_b64 s[62:63], vcc
	s_cbranch_execz .LBB6_5933
; %bb.5932:                             ;   in Loop: Header=BB6_5885 Depth=2
	s_bcnt1_i32_b64 vcc_lo, s[64:65]
	v_mov_b32_e32 v26, vcc_lo
	ds_add_u64 v0, v[26:27]
	s_trap 2
.LBB6_5933:                             ;   in Loop: Header=BB6_5885 Depth=2
	s_or_b64 exec, exec, s[62:63]
	s_trap 2
	ds_read_b64 v[4:5], v0
	v_accvgpr_read_b32 v8, a16
	v_accvgpr_read_b32 v0, a26
	;; [unrolled: 1-line block ×3, first 2 shown]
	v_add_co_u32_e32 v8, vcc, v8, v0
	v_addc_co_u32_e32 v9, vcc, 0, v9, vcc
	v_accvgpr_write_b32 a17, v9
	v_accvgpr_write_b32 a16, v8
	s_waitcnt lgkmcnt(0)
	v_cmp_lt_u64_e32 vcc, v[4:5], v[8:9]
	s_and_saveexec_b64 s[62:63], vcc
	s_cbranch_execz .LBB6_5942
; %bb.5934:                             ;   in Loop: Header=BB6_5885 Depth=2
	s_mov_b32 s74, 0
	s_mov_b64 s[64:65], 0
                                        ; implicit-def: $sgpr66_sgpr67
                                        ; implicit-def: $sgpr68_sgpr69
	s_branch .LBB6_5936
.LBB6_5935:                             ;   in Loop: Header=BB6_5936 Depth=3
	s_or_b64 exec, exec, s[72:73]
	s_and_b64 vcc, exec, vcc
	s_or_b64 s[64:65], vcc, s[64:65]
	s_andn2_b64 vcc, s[66:67], exec
	s_and_b64 s[66:67], s[68:69], exec
	s_or_b64 s[66:67], vcc, s[66:67]
	s_andn2_b64 exec, exec, s[64:65]
	s_cbranch_execz .LBB6_5940
.LBB6_5936:                             ;   Parent Loop BB6_47 Depth=1
                                        ;     Parent Loop BB6_5885 Depth=2
                                        ; =>    This Inner Loop Header: Depth=3
	s_add_i32 s74, s74, 1
	s_cmpk_lg_i32 s74, 0x2710
	s_cselect_b64 s[70:71], -1, 0
	s_and_b64 vcc, exec, s[70:71]
                                        ; implicit-def: $sgpr72_sgpr73
	s_cbranch_vccnz .LBB6_5938
; %bb.5937:                             ;   in Loop: Header=BB6_5936 Depth=3
	s_trap 2
	ds_read_b64 v[4:5], v0
	s_andn2_b64 s[70:71], s[70:71], exec
	s_mov_b32 s74, 0
	s_mov_b64 s[72:73], -1
	s_waitcnt lgkmcnt(0)
	flat_load_dword v3, v[4:5] glc
	s_waitcnt vmcnt(0) lgkmcnt(0)
	buffer_invl2
	buffer_wbinvl1_vol
	v_cmp_eq_u32_e32 vcc, 0, v3
	s_and_b64 vcc, vcc, exec
	s_or_b64 s[70:71], s[70:71], vcc
.LBB6_5938:                             ;   in Loop: Header=BB6_5936 Depth=3
	s_andn2_b64 s[68:69], s[68:69], exec
	s_and_b64 s[72:73], s[72:73], exec
	s_mov_b64 vcc, -1
	s_or_b64 s[68:69], s[68:69], s[72:73]
	s_and_saveexec_b64 s[72:73], s[70:71]
	s_cbranch_execz .LBB6_5935
; %bb.5939:                             ;   in Loop: Header=BB6_5936 Depth=3
	s_sleep 1
	s_trap 2
	ds_read_b64 v[4:5], v0
	v_accvgpr_read_b32 v8, a16
	v_accvgpr_read_b32 v9, a17
	s_andn2_b64 s[68:69], s[68:69], exec
	s_waitcnt lgkmcnt(0)
	v_cmp_ge_u64_e32 vcc, v[4:5], v[8:9]
	s_orn2_b64 vcc, vcc, exec
	s_branch .LBB6_5935
.LBB6_5940:                             ;   in Loop: Header=BB6_5885 Depth=2
	s_or_b64 exec, exec, s[64:65]
	s_and_saveexec_b64 vcc, s[66:67]
	s_xor_b64 vcc, exec, vcc
	s_cbranch_execz .LBB6_5942
; %bb.5941:                             ;   in Loop: Header=BB6_5885 Depth=2
	v_mov_b32_e32 v0, 1
	ds_write_b32 v0, v0
	s_trap 2
.LBB6_5942:                             ;   in Loop: Header=BB6_5885 Depth=2
	s_or_b64 exec, exec, s[62:63]
	;;#ASMSTART
	s_wakeup
	;;#ASMEND
.LBB6_5943:                             ;   in Loop: Header=BB6_5885 Depth=2
	s_or_b64 exec, exec, s[60:61]
.LBB6_5944:                             ;   in Loop: Header=BB6_5885 Depth=2
	s_andn2_saveexec_b64 vcc, s[58:59]
	s_cbranch_execz .LBB6_5946
; %bb.5945:                             ;   in Loop: Header=BB6_5885 Depth=2
	s_waitcnt vmcnt(0) lgkmcnt(0)
	buffer_wbinvl1_vol
	s_barrier
.LBB6_5946:                             ;   in Loop: Header=BB6_5885 Depth=2
	s_or_b64 exec, exec, vcc
.LBB6_5947:                             ;   in Loop: Header=BB6_5885 Depth=2
	s_or_b64 exec, exec, s[26:27]
	s_trap 2
	ds_read_b64 v[4:5], v0
	v_sub_u32_e32 v3, v1, v7
	v_min_i32_e32 v6, v6, v3
	v_mov_b32_e32 v14, 0
	s_waitcnt lgkmcnt(0)
	v_readfirstlane_b32 s26, v4
	v_readfirstlane_b32 s27, v5
	s_cmp_eq_u64 s[26:27], 0
	s_cselect_b64 s[26:27], -1, 0
	s_or_b64 s[26:27], s[26:27], s[26:27]
	s_and_b64 vcc, exec, s[26:27]
	s_cbranch_vccnz .LBB6_5963
; %bb.5948:                             ;   in Loop: Header=BB6_5885 Depth=2
	s_mov_b64 s[26:27], -1
	s_and_saveexec_b64 s[58:59], s[20:21]
	s_cbranch_execz .LBB6_5950
; %bb.5949:                             ;   in Loop: Header=BB6_5885 Depth=2
	ds_read_b32 v3, v0 offset:720
	s_waitcnt lgkmcnt(0)
	v_and_b32_e32 v3, 15, v3
	v_cmp_eq_u32_e32 vcc, 0, v3
	s_orn2_b64 s[26:27], vcc, exec
.LBB6_5950:                             ;   in Loop: Header=BB6_5885 Depth=2
	s_or_b64 exec, exec, s[58:59]
	s_and_saveexec_b64 s[58:59], s[18:19]
	s_cbranch_execz .LBB6_5952
; %bb.5951:                             ;   in Loop: Header=BB6_5885 Depth=2
	ds_read_b32 v3, v0 offset:784
	s_waitcnt lgkmcnt(0)
	v_and_b32_e32 v3, 15, v3
	v_cmp_eq_u32_e32 vcc, 0, v3
	s_and_b64 vcc, s[26:27], vcc
	s_andn2_b64 s[26:27], s[26:27], exec
	s_and_b64 vcc, vcc, exec
	s_or_b64 s[26:27], s[26:27], vcc
.LBB6_5952:                             ;   in Loop: Header=BB6_5885 Depth=2
	s_or_b64 exec, exec, s[58:59]
	v_cmp_eq_u32_e32 vcc, 0, v2
	s_xor_b64 s[26:27], s[26:27], -1
	v_cndmask_b32_e32 v14, 0, v6, vcc
	v_cndmask_b32_e64 v2, 0, 1, s[26:27]
	v_mov_b32_e32 v15, 0
	s_mov_b64 s[60:61], -1
	;;#ASMSTART
	;;#ASMEND
	v_cmp_ne_u32_e32 vcc, 0, v2
	v_mov_b32_e32 v16, v14
	v_mov_b32_e32 v17, v57
	v_accvgpr_read_b32 v4, a33
	s_cbranch_vccz .LBB6_5975
; %bb.5953:                             ;   in Loop: Header=BB6_5885 Depth=2
	s_and_saveexec_b64 s[26:27], s[60:61]
	s_cbranch_execz .LBB6_5988
.LBB6_5954:                             ;   in Loop: Header=BB6_5885 Depth=2
	v_ashrrev_i32_e32 v2, 31, v16
	v_lshrrev_b32_e32 v2, 21, v2
	v_add_u32_e32 v2, v16, v2
	v_ashrrev_i32_e32 v20, 11, v2
	v_sub_u32_e32 v18, v20, v4
	v_ashrrev_i32_e32 v2, 31, v17
	v_cmp_lt_i32_e32 vcc, 0, v18
	v_lshrrev_b32_e32 v19, 26, v2
	s_and_saveexec_b64 s[58:59], vcc
	s_cbranch_execz .LBB6_5958
; %bb.5955:                             ;   in Loop: Header=BB6_5885 Depth=2
	s_trap 2
	ds_read_b64 v[2:3], v0
	v_add_u32_e32 v5, v17, v19
	v_and_b32_e32 v5, 0xffffffc0, v5
	v_sub_u32_e32 v5, v17, v5
	v_lshlrev_b32_e32 v4, 11, v4
	v_add3_u32 v4, v15, v5, v4
	v_ashrrev_i32_e32 v5, 31, v4
	s_mov_b64 s[60:61], 0
	s_waitcnt lgkmcnt(0)
	v_pk_mov_b32 v[8:9], v[2:3], v[2:3] op_sel:[0,1]
	v_accvgpr_read_b32 v0, a26
	v_accvgpr_read_b32 v58, a38
	;; [unrolled: 1-line block ×3, first 2 shown]
.LBB6_5956:                             ;   Parent Loop BB6_47 Depth=1
                                        ;     Parent Loop BB6_5885 Depth=2
                                        ; =>    This Inner Loop Header: Depth=3
	v_add_co_u32_e32 v10, vcc, v4, v8
	v_addc_co_u32_e32 v11, vcc, v5, v9, vcc
	flat_load_ubyte v21, v[10:11] glc slc
	flat_load_ubyte v22, v[10:11] offset:64 glc slc
	flat_load_ubyte v23, v[10:11] offset:128 glc slc
	flat_load_ubyte v24, v[10:11] offset:192 glc slc
	flat_load_ubyte v25, v[10:11] offset:256 glc slc
	flat_load_ubyte v26, v[10:11] offset:320 glc slc
	flat_load_ubyte v28, v[10:11] offset:384 glc slc
	flat_load_ubyte v29, v[10:11] offset:448 glc slc
	flat_load_ubyte v30, v[10:11] offset:512 glc slc
	flat_load_ubyte v32, v[10:11] offset:576 glc slc
	flat_load_ubyte v33, v[10:11] offset:640 glc slc
	flat_load_ubyte v34, v[10:11] offset:704 glc slc
	flat_load_ubyte v35, v[10:11] offset:768 glc slc
	flat_load_ubyte v36, v[10:11] offset:832 glc slc
	flat_load_ubyte v37, v[10:11] offset:896 glc slc
	flat_load_ubyte v38, v[10:11] offset:960 glc slc
	flat_load_ubyte v39, v[10:11] offset:1024 glc slc
	flat_load_ubyte v50, v[10:11] offset:1088 glc slc
	flat_load_ubyte v51, v[10:11] offset:1152 glc slc
	flat_load_ubyte v52, v[10:11] offset:1216 glc slc
	flat_load_ubyte v53, v[10:11] offset:1280 glc slc
	flat_load_ubyte v54, v[10:11] offset:1344 glc slc
	flat_load_ubyte v55, v[10:11] offset:1408 glc slc
	flat_load_ubyte v40, v[10:11] offset:1472 glc slc
	flat_load_ubyte v41, v[10:11] offset:1536 glc slc
	flat_load_ubyte v42, v[10:11] offset:1600 glc slc
	flat_load_ubyte v43, v[10:11] offset:1664 glc slc
	flat_load_ubyte v44, v[10:11] offset:1728 glc slc
	flat_load_ubyte v45, v[10:11] offset:1792 glc slc
	flat_load_ubyte v46, v[10:11] offset:1856 glc slc
	flat_load_ubyte v47, v[10:11] offset:1920 glc slc
	flat_load_ubyte v56, v[10:11] offset:1984 glc slc
	v_add_co_u32_e32 v10, vcc, v4, v2
	v_addc_co_u32_e32 v11, vcc, v5, v3, vcc
	v_add_co_u32_e32 v8, vcc, v8, v58
	v_addc_co_u32_e32 v9, vcc, v9, v59, vcc
	v_add_co_u32_e32 v2, vcc, v2, v58
	v_sub_u32_e32 v18, v18, v0
	v_addc_co_u32_e32 v3, vcc, v3, v59, vcc
	v_cmp_gt_i32_e32 vcc, 1, v18
	s_or_b64 s[60:61], vcc, s[60:61]
	s_waitcnt vmcnt(0) lgkmcnt(0)
	flat_store_byte v[10:11], v21 glc slc
	flat_store_byte v[10:11], v22 offset:64 glc slc
	flat_store_byte v[10:11], v23 offset:128 glc slc
	;; [unrolled: 1-line block ×31, first 2 shown]
	s_andn2_b64 exec, exec, s[60:61]
	s_cbranch_execnz .LBB6_5956
; %bb.5957:                             ;   in Loop: Header=BB6_5885 Depth=2
	s_or_b64 exec, exec, s[60:61]
	v_accvgpr_read_b32 v55, a43
	v_accvgpr_read_b32 v41, a44
.LBB6_5958:                             ;   in Loop: Header=BB6_5885 Depth=2
	s_or_b64 exec, exec, s[58:59]
	v_lshlrev_b32_e32 v2, 11, v20
	v_cmp_ne_u32_e32 vcc, v16, v2
	s_mov_b64 s[58:59], exec
	s_and_b64 vcc, s[58:59], vcc
	v_accvgpr_read_b32 v0, a27
	v_accvgpr_read_b32 v20, a40
	;; [unrolled: 1-line block ×3, first 2 shown]
	s_mov_b64 exec, vcc
	s_cbranch_execz .LBB6_5962
; %bb.5959:                             ;   in Loop: Header=BB6_5885 Depth=2
	v_add_u32_e32 v3, v17, v19
	v_and_b32_e32 v3, 0xffffffc0, v3
	v_sub_u32_e32 v3, v17, v3
	v_lshlrev_b32_e32 v4, 6, v18
	v_sub_u32_e32 v3, v3, v4
	v_add_u32_e32 v4, v2, v3
	v_sub_u32_e32 v8, v16, v4
	v_cmp_lt_i32_e32 vcc, 0, v8
	s_and_b64 exec, exec, vcc
	s_cbranch_execz .LBB6_5962
; %bb.5960:                             ;   in Loop: Header=BB6_5885 Depth=2
	s_trap 2
	ds_read_b64 v[2:3], v0
	v_add_u32_e32 v4, v4, v15
	v_ashrrev_i32_e32 v5, 31, v4
	s_mov_b64 s[60:61], 0
.LBB6_5961:                             ;   Parent Loop BB6_47 Depth=1
                                        ;     Parent Loop BB6_5885 Depth=2
                                        ; =>    This Inner Loop Header: Depth=3
	s_waitcnt lgkmcnt(0)
	v_add_co_u32_e32 v10, vcc, v2, v4
	v_addc_co_u32_e32 v11, vcc, v3, v5, vcc
	flat_load_ubyte v9, v[10:11] glc slc
	v_add_co_u32_e32 v4, vcc, v4, v20
	v_sub_u32_e32 v8, v8, v0
	v_addc_co_u32_e32 v5, vcc, v5, v21, vcc
	v_cmp_gt_i32_e32 vcc, 1, v8
	s_or_b64 s[60:61], vcc, s[60:61]
	s_waitcnt vmcnt(0) lgkmcnt(0)
	flat_store_byte v[10:11], v9 glc slc
	s_andn2_b64 exec, exec, s[60:61]
	s_cbranch_execnz .LBB6_5961
.LBB6_5962:                             ;   in Loop: Header=BB6_5885 Depth=2
	s_or_b64 exec, exec, s[58:59]
	s_or_b64 exec, exec, s[26:27]
	s_and_saveexec_b64 s[26:27], s[10:11]
	s_cbranch_execz .LBB6_5989
	s_branch .LBB6_5964
.LBB6_5963:                             ;   in Loop: Header=BB6_5885 Depth=2
	s_and_saveexec_b64 s[26:27], s[10:11]
	s_cbranch_execz .LBB6_5989
.LBB6_5964:                             ;   in Loop: Header=BB6_5885 Depth=2
	s_and_saveexec_b64 vcc, s[44:45]
	s_xor_b64 s[58:59], exec, vcc
	s_cbranch_execz .LBB6_5997
; %bb.5965:                             ;   in Loop: Header=BB6_5885 Depth=2
	s_and_saveexec_b64 s[60:61], s[16:17]
	s_cbranch_execz .LBB6_5996
; %bb.5966:                             ;   in Loop: Header=BB6_5885 Depth=2
	s_mov_b64 s[64:65], exec
	v_mbcnt_lo_u32_b32 v2, s64, 0
	v_mbcnt_hi_u32_b32 v2, s65, v2
	v_cmp_eq_u32_e32 vcc, 0, v2
	s_waitcnt vmcnt(0) lgkmcnt(0)
	buffer_wbinvl1_vol
	s_and_saveexec_b64 s[62:63], vcc
	s_cbranch_execz .LBB6_5968
; %bb.5967:                             ;   in Loop: Header=BB6_5885 Depth=2
	s_bcnt1_i32_b64 vcc_lo, s[64:65]
	v_mov_b32_e32 v26, vcc_lo
	ds_add_u64 v0, v[26:27]
	s_trap 2
.LBB6_5968:                             ;   in Loop: Header=BB6_5885 Depth=2
	s_or_b64 exec, exec, s[62:63]
	s_trap 2
	ds_read_b64 v[2:3], v0
	v_accvgpr_read_b32 v4, a16
	v_accvgpr_read_b32 v0, a26
	;; [unrolled: 1-line block ×3, first 2 shown]
	v_add_co_u32_e32 v4, vcc, v4, v0
	v_addc_co_u32_e32 v5, vcc, 0, v5, vcc
	v_accvgpr_write_b32 a17, v5
	v_accvgpr_write_b32 a16, v4
	s_waitcnt lgkmcnt(0)
	v_cmp_lt_u64_e32 vcc, v[2:3], v[4:5]
	s_and_saveexec_b64 s[62:63], vcc
	s_cbranch_execz .LBB6_5995
; %bb.5969:                             ;   in Loop: Header=BB6_5885 Depth=2
	s_mov_b32 s74, 0
	s_mov_b64 s[64:65], 0
                                        ; implicit-def: $sgpr66_sgpr67
                                        ; implicit-def: $sgpr68_sgpr69
	s_branch .LBB6_5971
.LBB6_5970:                             ;   in Loop: Header=BB6_5971 Depth=3
	s_or_b64 exec, exec, s[72:73]
	s_and_b64 vcc, exec, vcc
	s_or_b64 s[64:65], vcc, s[64:65]
	s_andn2_b64 vcc, s[66:67], exec
	s_and_b64 s[66:67], s[68:69], exec
	s_or_b64 s[66:67], vcc, s[66:67]
	s_andn2_b64 exec, exec, s[64:65]
	s_cbranch_execz .LBB6_5993
.LBB6_5971:                             ;   Parent Loop BB6_47 Depth=1
                                        ;     Parent Loop BB6_5885 Depth=2
                                        ; =>    This Inner Loop Header: Depth=3
	s_add_i32 s74, s74, 1
	s_cmpk_lg_i32 s74, 0x2710
	s_cselect_b64 s[70:71], -1, 0
	s_and_b64 vcc, exec, s[70:71]
                                        ; implicit-def: $sgpr72_sgpr73
	s_cbranch_vccnz .LBB6_5973
; %bb.5972:                             ;   in Loop: Header=BB6_5971 Depth=3
	s_trap 2
	ds_read_b64 v[2:3], v0
	s_andn2_b64 s[70:71], s[70:71], exec
	s_mov_b32 s74, 0
	s_mov_b64 s[72:73], -1
	s_waitcnt lgkmcnt(0)
	flat_load_dword v2, v[2:3] glc
	s_waitcnt vmcnt(0) lgkmcnt(0)
	buffer_invl2
	buffer_wbinvl1_vol
	v_cmp_eq_u32_e32 vcc, 0, v2
	s_and_b64 vcc, vcc, exec
	s_or_b64 s[70:71], s[70:71], vcc
.LBB6_5973:                             ;   in Loop: Header=BB6_5971 Depth=3
	s_andn2_b64 s[68:69], s[68:69], exec
	s_and_b64 s[72:73], s[72:73], exec
	s_mov_b64 vcc, -1
	s_or_b64 s[68:69], s[68:69], s[72:73]
	s_and_saveexec_b64 s[72:73], s[70:71]
	s_cbranch_execz .LBB6_5970
; %bb.5974:                             ;   in Loop: Header=BB6_5971 Depth=3
	s_sleep 1
	s_trap 2
	ds_read_b64 v[2:3], v0
	v_accvgpr_read_b32 v4, a16
	v_accvgpr_read_b32 v5, a17
	s_andn2_b64 s[68:69], s[68:69], exec
	s_waitcnt lgkmcnt(0)
	v_cmp_ge_u64_e32 vcc, v[2:3], v[4:5]
	s_orn2_b64 vcc, vcc, exec
	s_branch .LBB6_5970
.LBB6_5975:                             ;   in Loop: Header=BB6_5885 Depth=2
	v_ashrrev_i32_e32 v2, 31, v14
	v_lshrrev_b32_e32 v2, 20, v2
	v_add_u32_e32 v2, v14, v2
	v_ashrrev_i32_e32 v8, 12, v2
	v_accvgpr_read_b32 v0, a33
	v_sub_u32_e32 v9, v8, v0
	v_cmp_lt_i32_e32 vcc, 0, v9
	s_and_saveexec_b64 s[26:27], vcc
	s_cbranch_execz .LBB6_5979
; %bb.5976:                             ;   in Loop: Header=BB6_5885 Depth=2
	s_trap 2
	ds_read_b64 v[2:3], v0
	s_mov_b64 s[58:59], 0
	v_accvgpr_read_b32 v0, a26
	v_accvgpr_read_b32 v15, a35
	;; [unrolled: 1-line block ×3, first 2 shown]
	s_waitcnt lgkmcnt(0)
	v_pk_mov_b32 v[4:5], v[2:3], v[2:3] op_sel:[0,1]
	v_accvgpr_read_b32 v26, a46
	v_accvgpr_read_b32 v25, a45
.LBB6_5977:                             ;   Parent Loop BB6_47 Depth=1
                                        ;     Parent Loop BB6_5885 Depth=2
                                        ; =>    This Inner Loop Header: Depth=3
	v_add_co_u32_e32 v10, vcc, v26, v4
	v_addc_co_u32_e32 v11, vcc, v25, v5, vcc
	global_load_dwordx4 v[16:19], v[10:11], off glc slc
	global_load_dwordx4 v[20:23], v[10:11], off offset:1024 glc slc
	global_load_dwordx4 v[36:39], v[10:11], off offset:2048 glc slc
	;; [unrolled: 1-line block ×3, first 2 shown]
	v_add_co_u32_e32 v10, vcc, v26, v2
	v_addc_co_u32_e32 v11, vcc, v25, v3, vcc
	v_add_co_u32_e32 v4, vcc, v4, v15
	v_addc_co_u32_e32 v5, vcc, v5, v24, vcc
	v_add_co_u32_e32 v2, vcc, v2, v15
	v_sub_u32_e32 v9, v9, v0
	v_addc_co_u32_e32 v3, vcc, v3, v24, vcc
	v_cmp_gt_i32_e32 vcc, 1, v9
	s_or_b64 s[58:59], vcc, s[58:59]
	s_waitcnt vmcnt(0)
	global_store_dwordx4 v[10:11], v[16:19], off glc slc
	global_store_dwordx4 v[10:11], v[20:23], off offset:1024 glc slc
	global_store_dwordx4 v[10:11], v[36:39], off offset:2048 glc slc
	;; [unrolled: 1-line block ×3, first 2 shown]
	s_andn2_b64 exec, exec, s[58:59]
	s_cbranch_execnz .LBB6_5977
; %bb.5978:                             ;   in Loop: Header=BB6_5885 Depth=2
	s_or_b64 exec, exec, s[58:59]
.LBB6_5979:                             ;   in Loop: Header=BB6_5885 Depth=2
	s_or_b64 exec, exec, s[26:27]
	v_lshlrev_b32_e32 v8, 12, v8
	v_cmp_ne_u32_e32 vcc, v14, v8
	s_mov_b64 s[60:61], 0
	v_mov_b32_e32 v15, 0
                                        ; implicit-def: $vgpr16
                                        ; implicit-def: $vgpr17
                                        ; implicit-def: $vgpr4
	s_and_saveexec_b64 s[58:59], vcc
	s_cbranch_execz .LBB6_5987
; %bb.5980:                             ;   in Loop: Header=BB6_5885 Depth=2
	v_lshlrev_b32_e32 v3, 6, v9
	v_accvgpr_read_b32 v0, a42
	v_sub_u32_e32 v3, v0, v3
	v_ashrrev_i32_e32 v4, 31, v3
	v_lshrrev_b32_e32 v4, 26, v4
	v_add_u32_e32 v4, v3, v4
	v_ashrrev_i32_e32 v5, 6, v4
	v_and_b32_e32 v4, 0xffffffc0, v4
	v_sub_u32_e32 v9, v3, v4
	v_sub_u32_e32 v2, v14, v8
	v_lshlrev_b32_e32 v3, 4, v9
	v_lshl_add_u32 v4, v5, 10, v3
	v_ashrrev_i32_e32 v3, 31, v2
	v_lshrrev_b32_e32 v3, 22, v3
	v_add_u32_e32 v3, v2, v3
	v_and_b32_e32 v10, 0xfffffc00, v3
	v_sub_u32_e32 v18, v2, v10
	v_ashrrev_i32_e32 v11, 10, v3
	v_cmp_lt_i32_e32 vcc, 15, v18
	v_sub_u32_e32 v15, v2, v4
	v_addc_co_u32_e64 v2, s[26:27], 0, v11, vcc
	v_sub_u32_e32 v11, v2, v5
	v_cmp_lt_i32_e64 s[26:27], 15, v15
	s_and_saveexec_b64 s[60:61], s[26:27]
	s_cbranch_execz .LBB6_5984
; %bb.5981:                             ;   in Loop: Header=BB6_5885 Depth=2
	s_trap 2
	ds_read_b64 v[2:3], v0
	v_add_u32_e32 v4, v4, v8
	v_ashrrev_i32_e32 v5, 31, v4
	s_mov_b64 s[62:63], 0
	v_accvgpr_read_b32 v0, a26
	v_accvgpr_read_b32 v19, a30
.LBB6_5982:                             ;   Parent Loop BB6_47 Depth=1
                                        ;     Parent Loop BB6_5885 Depth=2
                                        ; =>    This Inner Loop Header: Depth=3
	s_waitcnt lgkmcnt(0)
	v_add_co_u32_e64 v16, s[26:27], v2, v4
	v_addc_co_u32_e64 v17, s[26:27], v3, v5, s[26:27]
	global_load_dwordx4 v[20:23], v[16:17], off glc slc
	v_add_co_u32_e64 v4, s[26:27], v4, v55
	v_sub_u32_e32 v15, v15, v19
	v_addc_co_u32_e64 v5, s[26:27], v5, v41, s[26:27]
	v_cmp_gt_i32_e64 s[26:27], 16, v15
	v_sub_u32_e32 v11, v11, v0
	s_or_b64 s[62:63], s[26:27], s[62:63]
	s_waitcnt vmcnt(0)
	global_store_dwordx4 v[16:17], v[20:23], off glc slc
	s_andn2_b64 exec, exec, s[62:63]
	s_cbranch_execnz .LBB6_5982
; %bb.5983:                             ;   in Loop: Header=BB6_5885 Depth=2
	s_or_b64 exec, exec, s[62:63]
.LBB6_5984:                             ;   in Loop: Header=BB6_5885 Depth=2
	s_or_b64 exec, exec, s[60:61]
	v_and_b32_e32 v2, 15, v14
	v_cndmask_b32_e32 v16, v18, v2, vcc
	v_cmp_ne_u32_e64 s[26:27], 0, v16
	s_mov_b64 s[60:61], 0
	v_mov_b32_e32 v15, 0
                                        ; implicit-def: $vgpr17
                                        ; implicit-def: $vgpr4
	s_and_saveexec_b64 s[62:63], s[26:27]
	s_cbranch_execz .LBB6_5986
; %bb.5985:                             ;   in Loop: Header=BB6_5885 Depth=2
	v_sub_u32_e32 v2, v18, v2
	v_cndmask_b32_e32 v2, 0, v2, vcc
	v_cmp_lt_i32_e32 vcc, 0, v11
	v_accvgpr_read_b32 v0, a26
	v_add3_u32 v15, v10, v8, v2
	v_cndmask_b32_e32 v2, 0, v0, vcc
	v_sub_u32_e32 v2, v2, v11
	v_lshl_add_u32 v17, v2, 6, v9
	v_ashrrev_i32_e32 v2, 31, v17
	v_lshrrev_b32_e32 v2, 26, v2
	v_add_u32_e32 v2, v17, v2
	s_mov_b64 s[60:61], exec
	v_ashrrev_i32_e32 v4, 6, v2
.LBB6_5986:                             ;   in Loop: Header=BB6_5885 Depth=2
	s_or_b64 exec, exec, s[62:63]
	s_and_b64 s[60:61], s[60:61], exec
.LBB6_5987:                             ;   in Loop: Header=BB6_5885 Depth=2
	s_or_b64 exec, exec, s[58:59]
	s_and_saveexec_b64 s[26:27], s[60:61]
	s_cbranch_execnz .LBB6_5954
.LBB6_5988:                             ;   in Loop: Header=BB6_5885 Depth=2
	s_or_b64 exec, exec, s[26:27]
	s_and_saveexec_b64 s[26:27], s[10:11]
	s_cbranch_execnz .LBB6_5964
.LBB6_5989:                             ;   in Loop: Header=BB6_5885 Depth=2
	s_or_b64 exec, exec, s[26:27]
	s_and_saveexec_b64 s[26:27], s[24:25]
	s_xor_b64 s[58:59], exec, s[26:27]
	s_cbranch_execz .LBB6_6000
.LBB6_5990:                             ;   in Loop: Header=BB6_5885 Depth=2
	v_and_b32_e32 v2, 16, v60
	v_cmp_lt_i32_e32 vcc, 0, v14
	v_cmp_ne_u32_e64 s[26:27], 0, v2
	s_and_b64 vcc, s[26:27], vcc
	s_and_saveexec_b64 s[26:27], vcc
	s_cbranch_execz .LBB6_5992
; %bb.5991:                             ;   in Loop: Header=BB6_5885 Depth=2
	s_waitcnt vmcnt(0) lgkmcnt(0)
	buffer_wbinvl1_vol
.LBB6_5992:                             ;   in Loop: Header=BB6_5885 Depth=2
	s_or_b64 exec, exec, s[26:27]
	s_andn2_saveexec_b64 s[26:27], s[58:59]
	s_cbranch_execz .LBB6_6019
	s_branch .LBB6_6001
.LBB6_5993:                             ;   in Loop: Header=BB6_5885 Depth=2
	s_or_b64 exec, exec, s[64:65]
	s_and_saveexec_b64 vcc, s[66:67]
	s_xor_b64 vcc, exec, vcc
	s_cbranch_execz .LBB6_5995
; %bb.5994:                             ;   in Loop: Header=BB6_5885 Depth=2
	v_mov_b32_e32 v0, 1
	ds_write_b32 v0, v0
	s_trap 2
.LBB6_5995:                             ;   in Loop: Header=BB6_5885 Depth=2
	s_or_b64 exec, exec, s[62:63]
	;;#ASMSTART
	s_wakeup
	;;#ASMEND
.LBB6_5996:                             ;   in Loop: Header=BB6_5885 Depth=2
	s_or_b64 exec, exec, s[60:61]
.LBB6_5997:                             ;   in Loop: Header=BB6_5885 Depth=2
	s_andn2_saveexec_b64 vcc, s[58:59]
	s_cbranch_execz .LBB6_5999
; %bb.5998:                             ;   in Loop: Header=BB6_5885 Depth=2
	s_waitcnt vmcnt(0) lgkmcnt(0)
	buffer_wbinvl1_vol
	s_barrier
.LBB6_5999:                             ;   in Loop: Header=BB6_5885 Depth=2
	s_or_b64 exec, exec, vcc
	s_or_b64 exec, exec, s[26:27]
	s_and_saveexec_b64 s[26:27], s[24:25]
	s_xor_b64 s[58:59], exec, s[26:27]
	s_cbranch_execnz .LBB6_5990
.LBB6_6000:                             ;   in Loop: Header=BB6_5885 Depth=2
	s_andn2_saveexec_b64 s[26:27], s[58:59]
	s_cbranch_execz .LBB6_6019
.LBB6_6001:                             ;   in Loop: Header=BB6_5885 Depth=2
	s_and_saveexec_b64 vcc, s[44:45]
	s_xor_b64 s[58:59], exec, vcc
	s_cbranch_execz .LBB6_6016
; %bb.6002:                             ;   in Loop: Header=BB6_5885 Depth=2
	s_and_saveexec_b64 s[60:61], s[16:17]
	s_cbranch_execz .LBB6_6015
; %bb.6003:                             ;   in Loop: Header=BB6_5885 Depth=2
	s_mov_b64 s[64:65], exec
	v_mbcnt_lo_u32_b32 v2, s64, 0
	v_mbcnt_hi_u32_b32 v2, s65, v2
	v_cmp_eq_u32_e32 vcc, 0, v2
	;;#ASMSTART
	s_waitcnt lgkmcnt(0) vmcnt(0)
	;;#ASMEND
	s_and_saveexec_b64 s[62:63], vcc
	s_cbranch_execz .LBB6_6005
; %bb.6004:                             ;   in Loop: Header=BB6_5885 Depth=2
	s_bcnt1_i32_b64 vcc_lo, s[64:65]
	v_mov_b32_e32 v26, vcc_lo
	ds_add_u64 v0, v[26:27]
	s_trap 2
.LBB6_6005:                             ;   in Loop: Header=BB6_5885 Depth=2
	s_or_b64 exec, exec, s[62:63]
	s_trap 2
	ds_read_b64 v[2:3], v0
	v_accvgpr_read_b32 v4, a16
	v_accvgpr_read_b32 v0, a26
	;; [unrolled: 1-line block ×3, first 2 shown]
	v_add_co_u32_e32 v4, vcc, v4, v0
	v_addc_co_u32_e32 v5, vcc, 0, v5, vcc
	v_accvgpr_write_b32 a17, v5
	v_accvgpr_write_b32 a16, v4
	s_waitcnt lgkmcnt(0)
	v_cmp_lt_u64_e32 vcc, v[2:3], v[4:5]
	s_and_saveexec_b64 s[62:63], vcc
	s_cbranch_execz .LBB6_6014
; %bb.6006:                             ;   in Loop: Header=BB6_5885 Depth=2
	s_mov_b32 s74, 0
	s_mov_b64 s[64:65], 0
                                        ; implicit-def: $sgpr66_sgpr67
                                        ; implicit-def: $sgpr68_sgpr69
	s_branch .LBB6_6008
.LBB6_6007:                             ;   in Loop: Header=BB6_6008 Depth=3
	s_or_b64 exec, exec, s[72:73]
	s_and_b64 vcc, exec, vcc
	s_or_b64 s[64:65], vcc, s[64:65]
	s_andn2_b64 vcc, s[66:67], exec
	s_and_b64 s[66:67], s[68:69], exec
	s_or_b64 s[66:67], vcc, s[66:67]
	s_andn2_b64 exec, exec, s[64:65]
	s_cbranch_execz .LBB6_6012
.LBB6_6008:                             ;   Parent Loop BB6_47 Depth=1
                                        ;     Parent Loop BB6_5885 Depth=2
                                        ; =>    This Inner Loop Header: Depth=3
	s_add_i32 s74, s74, 1
	s_cmpk_lg_i32 s74, 0x2710
	s_cselect_b64 s[70:71], -1, 0
	s_and_b64 vcc, exec, s[70:71]
                                        ; implicit-def: $sgpr72_sgpr73
	s_cbranch_vccnz .LBB6_6010
; %bb.6009:                             ;   in Loop: Header=BB6_6008 Depth=3
	s_trap 2
	ds_read_b64 v[2:3], v0
	s_andn2_b64 s[70:71], s[70:71], exec
	s_mov_b32 s74, 0
	s_mov_b64 s[72:73], -1
	s_waitcnt vmcnt(0) lgkmcnt(0)
	flat_load_dword v2, v[2:3] glc
	s_waitcnt vmcnt(0) lgkmcnt(0)
	buffer_invl2
	buffer_wbinvl1_vol
	v_cmp_eq_u32_e32 vcc, 0, v2
	s_and_b64 vcc, vcc, exec
	s_or_b64 s[70:71], s[70:71], vcc
.LBB6_6010:                             ;   in Loop: Header=BB6_6008 Depth=3
	s_andn2_b64 s[68:69], s[68:69], exec
	s_and_b64 s[72:73], s[72:73], exec
	s_mov_b64 vcc, -1
	s_or_b64 s[68:69], s[68:69], s[72:73]
	s_and_saveexec_b64 s[72:73], s[70:71]
	s_cbranch_execz .LBB6_6007
; %bb.6011:                             ;   in Loop: Header=BB6_6008 Depth=3
	s_sleep 1
	s_trap 2
	ds_read_b64 v[2:3], v0
	v_accvgpr_read_b32 v4, a16
	v_accvgpr_read_b32 v5, a17
	s_andn2_b64 s[68:69], s[68:69], exec
	s_waitcnt lgkmcnt(0)
	v_cmp_ge_u64_e32 vcc, v[2:3], v[4:5]
	s_orn2_b64 vcc, vcc, exec
	s_branch .LBB6_6007
.LBB6_6012:                             ;   in Loop: Header=BB6_5885 Depth=2
	s_or_b64 exec, exec, s[64:65]
	s_and_saveexec_b64 vcc, s[66:67]
	s_xor_b64 vcc, exec, vcc
	s_cbranch_execz .LBB6_6014
; %bb.6013:                             ;   in Loop: Header=BB6_5885 Depth=2
	v_mov_b32_e32 v0, 1
	ds_write_b32 v0, v0
	s_trap 2
.LBB6_6014:                             ;   in Loop: Header=BB6_5885 Depth=2
	s_or_b64 exec, exec, s[62:63]
	;;#ASMSTART
	s_wakeup
	;;#ASMEND
.LBB6_6015:                             ;   in Loop: Header=BB6_5885 Depth=2
	s_or_b64 exec, exec, s[60:61]
.LBB6_6016:                             ;   in Loop: Header=BB6_5885 Depth=2
	s_andn2_saveexec_b64 vcc, s[58:59]
	s_cbranch_execz .LBB6_6018
; %bb.6017:                             ;   in Loop: Header=BB6_5885 Depth=2
	;;#ASMSTART
	s_waitcnt lgkmcnt(0) vmcnt(0)
	;;#ASMEND
	s_barrier
.LBB6_6018:                             ;   in Loop: Header=BB6_5885 Depth=2
	s_or_b64 exec, exec, vcc
.LBB6_6019:                             ;   in Loop: Header=BB6_5885 Depth=2
	s_or_b64 exec, exec, s[26:27]
	v_and_b32_e32 v2, 32, v60
	v_cmp_ne_u32_e32 vcc, 0, v2
	s_and_saveexec_b64 s[26:27], vcc
	s_cbranch_execz .LBB6_5884
; %bb.6020:                             ;   in Loop: Header=BB6_5885 Depth=2
	v_accvgpr_read_b32 v2, a12
	v_accvgpr_read_b32 v3, a13
	v_add_co_u32_e32 v2, vcc, 2, v2
	v_addc_co_u32_e32 v3, vcc, 0, v3, vcc
	v_accvgpr_write_b32 a13, v3
	v_accvgpr_read_b32 v4, a18
	v_accvgpr_write_b32 a12, v2
	v_accvgpr_read_b32 v5, a19
	flat_store_dwordx2 v[4:5], v[2:3]
	s_branch .LBB6_5884
.LBB6_6021:                             ;   in Loop: Header=BB6_47 Depth=1
	s_or_b64 exec, exec, s[30:31]
.LBB6_6022:                             ;   in Loop: Header=BB6_47 Depth=1
	s_or_b64 exec, exec, s[28:29]
	v_cmp_gt_i32_e32 vcc, 2, v4
	s_and_saveexec_b64 s[28:29], vcc
	s_cbranch_execnz .LBB6_6023
; %bb.6137:                             ;   in Loop: Header=BB6_47 Depth=1
	s_getpc_b64 s[98:99]
.Lpost_getpc13:
	s_add_u32 s98, s98, (.LBB6_46-.Lpost_getpc13)&4294967295
	s_addc_u32 s99, s99, (.LBB6_46-.Lpost_getpc13)>>32
	s_setpc_b64 s[98:99]
.LBB6_6023:                             ;   in Loop: Header=BB6_47 Depth=1
	v_cmp_eq_u32_e64 s[26:27], 0, v4
	s_mov_b64 s[30:31], 0
	s_branch .LBB6_6025
.LBB6_6024:                             ;   in Loop: Header=BB6_6025 Depth=2
	s_or_b64 exec, exec, s[26:27]
	v_add_u32_e32 v7, v6, v7
	s_mov_b64 s[26:27], 0
	s_andn2_b64 exec, exec, s[30:31]
	s_cbranch_execnz .LBB6_6025
; %bb.6139:                             ;   in Loop: Header=BB6_47 Depth=1
	s_getpc_b64 s[98:99]
.Lpost_getpc14:
	s_add_u32 s98, s98, (.LBB6_45-.Lpost_getpc14)&4294967295
	s_addc_u32 s99, s99, (.LBB6_45-.Lpost_getpc14)>>32
	s_setpc_b64 s[98:99]
.LBB6_6025:                             ;   Parent Loop BB6_47 Depth=1
                                        ; =>  This Loop Header: Depth=2
                                        ;       Child Loop BB6_6031 Depth 3
                                        ;       Child Loop BB6_6055 Depth 3
	;; [unrolled: 1-line block ×3, first 2 shown]
	v_and_b32_e32 v2, 4, v60
	s_mov_b64 s[58:59], -1
	v_cmp_ne_u32_e32 vcc, 0, v2
	s_and_saveexec_b64 s[34:35], vcc
	s_cbranch_execz .LBB6_6037
; %bb.6026:                             ;   in Loop: Header=BB6_6025 Depth=2
	v_accvgpr_read_b32 v2, a12
	v_accvgpr_read_b32 v3, a13
	v_add_co_u32_e32 v2, vcc, 2, v2
	v_addc_co_u32_e32 v3, vcc, 0, v3, vcc
	v_cmp_lt_u64_e32 vcc, v[48:49], v[2:3]
	v_mov_b32_e32 v4, 1
	s_and_saveexec_b64 s[58:59], vcc
	s_cbranch_execz .LBB6_6036
; %bb.6027:                             ;   in Loop: Header=BB6_6025 Depth=2
	s_mov_b64 s[60:61], 0
	v_mov_b32_e32 v4, 0
                                        ; implicit-def: $sgpr62_sgpr63
	s_branch .LBB6_6031
.LBB6_6028:                             ;   in Loop: Header=BB6_6031 Depth=3
	s_or_b64 exec, exec, s[70:71]
	v_mov_b32_e32 v5, 0
	s_orn2_b64 s[68:69], s[68:69], exec
.LBB6_6029:                             ;   in Loop: Header=BB6_6031 Depth=3
	s_or_b64 exec, exec, s[66:67]
	s_andn2_b64 vcc, s[62:63], exec
	s_and_b64 s[62:63], s[68:69], exec
	s_or_b64 s[62:63], vcc, s[62:63]
	v_mov_b32_e32 v4, v5
.LBB6_6030:                             ;   in Loop: Header=BB6_6031 Depth=3
	s_or_b64 exec, exec, s[64:65]
	s_waitcnt vmcnt(0) lgkmcnt(0)
	v_cmp_ge_u64_e32 vcc, v[48:49], v[2:3]
	s_xor_b64 s[64:65], s[62:63], -1
	s_or_b64 vcc, s[64:65], vcc
	s_and_b64 vcc, exec, vcc
	s_or_b64 s[60:61], vcc, s[60:61]
	s_andn2_b64 exec, exec, s[60:61]
	s_cbranch_execz .LBB6_6035
.LBB6_6031:                             ;   Parent Loop BB6_47 Depth=1
                                        ;     Parent Loop BB6_6025 Depth=2
                                        ; =>    This Inner Loop Header: Depth=3
	v_accvgpr_read_b32 v8, a18
	v_accvgpr_read_b32 v9, a19
	s_sleep 1
	flat_load_dwordx2 v[48:49], v[8:9] glc
	v_and_b32_e32 v5, 64, v60
	v_cmp_eq_u32_e32 vcc, 0, v5
	s_andn2_b64 s[62:63], s[62:63], exec
	s_and_saveexec_b64 s[64:65], vcc
	s_cbranch_execz .LBB6_6030
; %bb.6032:                             ;   in Loop: Header=BB6_6031 Depth=3
	v_add_u32_e32 v5, 1, v4
	v_cmp_lt_i32_e32 vcc, s89, v4
	s_mov_b64 s[68:69], -1
	s_and_saveexec_b64 s[66:67], vcc
	s_cbranch_execz .LBB6_6029
; %bb.6033:                             ;   in Loop: Header=BB6_6031 Depth=3
	s_trap 2
	ds_read_b64 v[4:5], v0
	s_waitcnt vmcnt(0) lgkmcnt(0)
	flat_load_dword v4, v[4:5] glc
	s_waitcnt vmcnt(0) lgkmcnt(0)
	buffer_invl2
	buffer_wbinvl1_vol
	v_cmp_ne_u32_e32 vcc, 0, v4
	s_and_saveexec_b64 s[70:71], vcc
	s_cbranch_execz .LBB6_6028
; %bb.6034:                             ;   in Loop: Header=BB6_6031 Depth=3
	v_or_b32_e32 v60, 64, v60
	s_xor_b64 s[68:69], exec, -1
	ds_write_b32 v0, v4
	s_trap 2
	s_branch .LBB6_6028
.LBB6_6035:                             ;   in Loop: Header=BB6_6025 Depth=2
	s_or_b64 exec, exec, s[60:61]
	v_and_b32_e32 v4, 4, v60
.LBB6_6036:                             ;   in Loop: Header=BB6_6025 Depth=2
	s_or_b64 exec, exec, s[58:59]
	v_cmp_eq_u32_e32 vcc, 0, v4
	s_orn2_b64 s[58:59], vcc, exec
	;;#ASMSTART
	s_wakeup
	;;#ASMEND
.LBB6_6037:                             ;   in Loop: Header=BB6_6025 Depth=2
	s_or_b64 exec, exec, s[34:35]
	s_xor_b64 s[26:27], s[26:27], -1
	s_and_b64 s[26:27], exec, s[26:27]
	s_or_b64 s[30:31], s[26:27], s[30:31]
	s_xor_b64 s[26:27], s[58:59], -1
	s_and_saveexec_b64 s[34:35], s[26:27]
	s_cbranch_execz .LBB6_6047
; %bb.6038:                             ;   in Loop: Header=BB6_6025 Depth=2
	v_and_b32_e32 v2, 0x100, v60
	v_cmp_ne_u32_e32 vcc, 0, v2
	v_accvgpr_read_b32 v2, a12
	v_accvgpr_read_b32 v3, a13
	v_and_b32_e32 v8, 7, v2
	s_mov_b64 s[26:27], -1
                                        ; implicit-def: $vgpr2_vgpr3
	s_and_saveexec_b64 s[58:59], vcc
	s_cbranch_execz .LBB6_6042
; %bb.6039:                             ;   in Loop: Header=BB6_6025 Depth=2
	v_accvgpr_read_b32 v2, a14
	v_accvgpr_read_b32 v3, a15
	v_mad_u64_u32 v[4:5], s[26:27], v8, 24, v[2:3]
	flat_load_dword v2, v[4:5]
	s_waitcnt vmcnt(0) lgkmcnt(0)
	v_cmp_ne_u32_e32 vcc, 1, v2
	v_cmp_eq_u32_e64 s[26:27], 1, v2
                                        ; implicit-def: $vgpr2_vgpr3
	s_and_saveexec_b64 s[60:61], s[26:27]
	s_cbranch_execz .LBB6_6041
; %bb.6040:                             ;   in Loop: Header=BB6_6025 Depth=2
	flat_load_dword v2, v[4:5] offset:4 glc
	s_waitcnt vmcnt(0) lgkmcnt(0)
	v_ashrrev_i32_e32 v3, 31, v2
.LBB6_6041:                             ;   in Loop: Header=BB6_6025 Depth=2
	s_or_b64 exec, exec, s[60:61]
	s_orn2_b64 s[26:27], vcc, exec
.LBB6_6042:                             ;   in Loop: Header=BB6_6025 Depth=2
	s_or_b64 exec, exec, s[58:59]
	s_and_saveexec_b64 vcc, s[26:27]
; %bb.6043:                             ;   in Loop: Header=BB6_6025 Depth=2
	v_accvgpr_read_b32 v2, a20
	v_mad_i64_i32 v[2:3], s[26:27], v8, v2, 0
; %bb.6044:                             ;   in Loop: Header=BB6_6025 Depth=2
	s_or_b64 exec, exec, vcc
	v_accvgpr_read_b32 v4, a22
	v_accvgpr_read_b32 v5, a23
	v_add_co_u32_e32 v2, vcc, v4, v2
	v_addc_co_u32_e32 v3, vcc, v5, v3, vcc
	ds_write_b64 v0, v[2:3] offset:720
	v_and_b32_e32 v2, 0x2000, v60
	v_cmp_ne_u32_e32 vcc, 0, v2
	s_and_saveexec_b64 s[26:27], vcc
	s_cbranch_execz .LBB6_6046
; %bb.6045:                             ;   in Loop: Header=BB6_6025 Depth=2
	ds_read_b64 v[2:3], v0 offset:584
	s_waitcnt lgkmcnt(0)
	v_add_co_u32_e32 v2, vcc, 1, v2
	v_addc_co_u32_e32 v3, vcc, 0, v3, vcc
	ds_write_b64 v0, v[2:3] offset:584
.LBB6_6046:                             ;   in Loop: Header=BB6_6025 Depth=2
	s_or_b64 exec, exec, s[26:27]
	v_accvgpr_read_b32 v2, a12
	v_accvgpr_read_b32 v3, a13
	v_add_co_u32_e32 v2, vcc, 2, v2
	v_addc_co_u32_e32 v3, vcc, 0, v3, vcc
	v_accvgpr_write_b32 a13, v3
	v_accvgpr_write_b32 a12, v2
.LBB6_6047:                             ;   in Loop: Header=BB6_6025 Depth=2
	s_or_b64 exec, exec, s[34:35]
	s_and_saveexec_b64 s[26:27], s[10:11]
	s_cbranch_execz .LBB6_6066
; %bb.6048:                             ;   in Loop: Header=BB6_6025 Depth=2
	s_and_saveexec_b64 vcc, s[44:45]
	s_xor_b64 s[34:35], exec, vcc
	s_cbranch_execz .LBB6_6063
; %bb.6049:                             ;   in Loop: Header=BB6_6025 Depth=2
	s_and_saveexec_b64 s[58:59], s[16:17]
	s_cbranch_execz .LBB6_6062
; %bb.6050:                             ;   in Loop: Header=BB6_6025 Depth=2
	s_mov_b64 s[62:63], exec
	v_mbcnt_lo_u32_b32 v2, s62, 0
	v_mbcnt_hi_u32_b32 v2, s63, v2
	v_cmp_eq_u32_e32 vcc, 0, v2
	s_waitcnt vmcnt(0) lgkmcnt(0)
	buffer_wbinvl1_vol
	s_and_saveexec_b64 s[60:61], vcc
	s_cbranch_execz .LBB6_6052
; %bb.6051:                             ;   in Loop: Header=BB6_6025 Depth=2
	s_bcnt1_i32_b64 vcc_lo, s[62:63]
	v_mov_b32_e32 v26, vcc_lo
	ds_add_u64 v0, v[26:27]
	s_trap 2
.LBB6_6052:                             ;   in Loop: Header=BB6_6025 Depth=2
	s_or_b64 exec, exec, s[60:61]
	s_trap 2
	ds_read_b64 v[2:3], v0
	v_accvgpr_read_b32 v4, a16
	v_accvgpr_read_b32 v0, a26
	v_accvgpr_read_b32 v5, a17
	v_add_co_u32_e32 v4, vcc, v4, v0
	v_addc_co_u32_e32 v5, vcc, 0, v5, vcc
	v_accvgpr_write_b32 a17, v5
	v_accvgpr_write_b32 a16, v4
	s_waitcnt lgkmcnt(0)
	v_cmp_lt_u64_e32 vcc, v[2:3], v[4:5]
	s_and_saveexec_b64 s[60:61], vcc
	s_cbranch_execz .LBB6_6061
; %bb.6053:                             ;   in Loop: Header=BB6_6025 Depth=2
	s_mov_b32 s47, 0
	s_mov_b64 s[62:63], 0
                                        ; implicit-def: $sgpr64_sgpr65
                                        ; implicit-def: $sgpr66_sgpr67
	s_branch .LBB6_6055
.LBB6_6054:                             ;   in Loop: Header=BB6_6055 Depth=3
	s_or_b64 exec, exec, s[70:71]
	s_and_b64 vcc, exec, vcc
	s_or_b64 s[62:63], vcc, s[62:63]
	s_andn2_b64 vcc, s[64:65], exec
	s_and_b64 s[64:65], s[66:67], exec
	s_or_b64 s[64:65], vcc, s[64:65]
	s_andn2_b64 exec, exec, s[62:63]
	s_cbranch_execz .LBB6_6059
.LBB6_6055:                             ;   Parent Loop BB6_47 Depth=1
                                        ;     Parent Loop BB6_6025 Depth=2
                                        ; =>    This Inner Loop Header: Depth=3
	s_add_i32 s47, s47, 1
	s_cmpk_lg_i32 s47, 0x2710
	s_cselect_b64 s[68:69], -1, 0
	s_and_b64 vcc, exec, s[68:69]
                                        ; implicit-def: $sgpr70_sgpr71
	s_cbranch_vccnz .LBB6_6057
; %bb.6056:                             ;   in Loop: Header=BB6_6055 Depth=3
	s_trap 2
	ds_read_b64 v[2:3], v0
	s_andn2_b64 s[68:69], s[68:69], exec
	s_mov_b32 s47, 0
	s_mov_b64 s[70:71], -1
	s_waitcnt lgkmcnt(0)
	flat_load_dword v2, v[2:3] glc
	s_waitcnt vmcnt(0) lgkmcnt(0)
	buffer_invl2
	buffer_wbinvl1_vol
	v_cmp_eq_u32_e32 vcc, 0, v2
	s_and_b64 vcc, vcc, exec
	s_or_b64 s[68:69], s[68:69], vcc
.LBB6_6057:                             ;   in Loop: Header=BB6_6055 Depth=3
	s_andn2_b64 s[66:67], s[66:67], exec
	s_and_b64 s[70:71], s[70:71], exec
	s_mov_b64 vcc, -1
	s_or_b64 s[66:67], s[66:67], s[70:71]
	s_and_saveexec_b64 s[70:71], s[68:69]
	s_cbranch_execz .LBB6_6054
; %bb.6058:                             ;   in Loop: Header=BB6_6055 Depth=3
	s_sleep 1
	s_trap 2
	ds_read_b64 v[2:3], v0
	v_accvgpr_read_b32 v4, a16
	v_accvgpr_read_b32 v5, a17
	s_andn2_b64 s[66:67], s[66:67], exec
	s_waitcnt lgkmcnt(0)
	v_cmp_ge_u64_e32 vcc, v[2:3], v[4:5]
	s_orn2_b64 vcc, vcc, exec
	s_branch .LBB6_6054
.LBB6_6059:                             ;   in Loop: Header=BB6_6025 Depth=2
	s_or_b64 exec, exec, s[62:63]
	s_and_saveexec_b64 vcc, s[64:65]
	s_xor_b64 vcc, exec, vcc
	s_cbranch_execz .LBB6_6061
; %bb.6060:                             ;   in Loop: Header=BB6_6025 Depth=2
	v_mov_b32_e32 v0, 1
	ds_write_b32 v0, v0
	s_trap 2
.LBB6_6061:                             ;   in Loop: Header=BB6_6025 Depth=2
	s_or_b64 exec, exec, s[60:61]
	;;#ASMSTART
	s_wakeup
	;;#ASMEND
.LBB6_6062:                             ;   in Loop: Header=BB6_6025 Depth=2
	s_or_b64 exec, exec, s[58:59]
.LBB6_6063:                             ;   in Loop: Header=BB6_6025 Depth=2
	s_andn2_saveexec_b64 vcc, s[34:35]
	s_cbranch_execz .LBB6_6065
; %bb.6064:                             ;   in Loop: Header=BB6_6025 Depth=2
	s_waitcnt vmcnt(0) lgkmcnt(0)
	buffer_wbinvl1_vol
	s_barrier
.LBB6_6065:                             ;   in Loop: Header=BB6_6025 Depth=2
	s_or_b64 exec, exec, vcc
.LBB6_6066:                             ;   in Loop: Header=BB6_6025 Depth=2
	s_or_b64 exec, exec, s[26:27]
	v_sub_u32_e32 v2, v1, v7
	v_min_i32_e32 v6, v6, v2
	s_and_saveexec_b64 s[26:27], s[24:25]
	s_xor_b64 s[26:27], exec, s[26:27]
	s_cbranch_execz .LBB6_6070
; %bb.6067:                             ;   in Loop: Header=BB6_6025 Depth=2
	s_trap 2
	ds_read_b32 v2, v0
	v_cmp_lt_i32_e32 vcc, 0, v6
	v_and_b32_e32 v3, 16, v60
	s_waitcnt lgkmcnt(0)
	v_readfirstlane_b32 s34, v2
	s_cmp_eq_u32 s34, 0
	s_cselect_b64 s[34:35], -1, 0
	s_and_b64 s[34:35], vcc, s[34:35]
	v_cmp_ne_u32_e32 vcc, 0, v3
	s_and_b64 s[34:35], vcc, s[34:35]
	s_and_saveexec_b64 vcc, s[34:35]
	s_cbranch_execz .LBB6_6069
; %bb.6068:                             ;   in Loop: Header=BB6_6025 Depth=2
	s_waitcnt vmcnt(0)
	buffer_wbinvl1_vol
.LBB6_6069:                             ;   in Loop: Header=BB6_6025 Depth=2
	s_or_b64 exec, exec, vcc
.LBB6_6070:                             ;   in Loop: Header=BB6_6025 Depth=2
	s_andn2_saveexec_b64 s[26:27], s[26:27]
	s_cbranch_execz .LBB6_6089
; %bb.6071:                             ;   in Loop: Header=BB6_6025 Depth=2
	s_and_saveexec_b64 vcc, s[44:45]
	s_xor_b64 s[34:35], exec, vcc
	s_cbranch_execz .LBB6_6086
; %bb.6072:                             ;   in Loop: Header=BB6_6025 Depth=2
	s_and_saveexec_b64 s[58:59], s[16:17]
	s_cbranch_execz .LBB6_6085
; %bb.6073:                             ;   in Loop: Header=BB6_6025 Depth=2
	s_mov_b64 s[62:63], exec
	v_mbcnt_lo_u32_b32 v2, s62, 0
	v_mbcnt_hi_u32_b32 v2, s63, v2
	v_cmp_eq_u32_e32 vcc, 0, v2
	;;#ASMSTART
	s_waitcnt lgkmcnt(0) vmcnt(0)
	;;#ASMEND
	s_and_saveexec_b64 s[60:61], vcc
	s_cbranch_execz .LBB6_6075
; %bb.6074:                             ;   in Loop: Header=BB6_6025 Depth=2
	s_bcnt1_i32_b64 vcc_lo, s[62:63]
	v_mov_b32_e32 v26, vcc_lo
	ds_add_u64 v0, v[26:27]
	s_trap 2
.LBB6_6075:                             ;   in Loop: Header=BB6_6025 Depth=2
	s_or_b64 exec, exec, s[60:61]
	s_trap 2
	ds_read_b64 v[2:3], v0
	v_accvgpr_read_b32 v4, a16
	v_accvgpr_read_b32 v0, a26
	;; [unrolled: 1-line block ×3, first 2 shown]
	v_add_co_u32_e32 v4, vcc, v4, v0
	v_addc_co_u32_e32 v5, vcc, 0, v5, vcc
	v_accvgpr_write_b32 a17, v5
	v_accvgpr_write_b32 a16, v4
	s_waitcnt lgkmcnt(0)
	v_cmp_lt_u64_e32 vcc, v[2:3], v[4:5]
	s_and_saveexec_b64 s[60:61], vcc
	s_cbranch_execz .LBB6_6084
; %bb.6076:                             ;   in Loop: Header=BB6_6025 Depth=2
	s_mov_b32 s47, 0
	s_mov_b64 s[62:63], 0
                                        ; implicit-def: $sgpr64_sgpr65
                                        ; implicit-def: $sgpr66_sgpr67
	s_branch .LBB6_6078
.LBB6_6077:                             ;   in Loop: Header=BB6_6078 Depth=3
	s_or_b64 exec, exec, s[70:71]
	s_and_b64 vcc, exec, vcc
	s_or_b64 s[62:63], vcc, s[62:63]
	s_andn2_b64 vcc, s[64:65], exec
	s_and_b64 s[64:65], s[66:67], exec
	s_or_b64 s[64:65], vcc, s[64:65]
	s_andn2_b64 exec, exec, s[62:63]
	s_cbranch_execz .LBB6_6082
.LBB6_6078:                             ;   Parent Loop BB6_47 Depth=1
                                        ;     Parent Loop BB6_6025 Depth=2
                                        ; =>    This Inner Loop Header: Depth=3
	s_add_i32 s47, s47, 1
	s_cmpk_lg_i32 s47, 0x2710
	s_cselect_b64 s[68:69], -1, 0
	s_and_b64 vcc, exec, s[68:69]
                                        ; implicit-def: $sgpr70_sgpr71
	s_cbranch_vccnz .LBB6_6080
; %bb.6079:                             ;   in Loop: Header=BB6_6078 Depth=3
	s_trap 2
	ds_read_b64 v[2:3], v0
	s_andn2_b64 s[68:69], s[68:69], exec
	s_mov_b32 s47, 0
	s_mov_b64 s[70:71], -1
	s_waitcnt vmcnt(0) lgkmcnt(0)
	flat_load_dword v2, v[2:3] glc
	s_waitcnt vmcnt(0) lgkmcnt(0)
	buffer_invl2
	buffer_wbinvl1_vol
	v_cmp_eq_u32_e32 vcc, 0, v2
	s_and_b64 vcc, vcc, exec
	s_or_b64 s[68:69], s[68:69], vcc
.LBB6_6080:                             ;   in Loop: Header=BB6_6078 Depth=3
	s_andn2_b64 s[66:67], s[66:67], exec
	s_and_b64 s[70:71], s[70:71], exec
	s_mov_b64 vcc, -1
	s_or_b64 s[66:67], s[66:67], s[70:71]
	s_and_saveexec_b64 s[70:71], s[68:69]
	s_cbranch_execz .LBB6_6077
; %bb.6081:                             ;   in Loop: Header=BB6_6078 Depth=3
	s_sleep 1
	s_trap 2
	ds_read_b64 v[2:3], v0
	v_accvgpr_read_b32 v4, a16
	v_accvgpr_read_b32 v5, a17
	s_andn2_b64 s[66:67], s[66:67], exec
	s_waitcnt lgkmcnt(0)
	v_cmp_ge_u64_e32 vcc, v[2:3], v[4:5]
	s_orn2_b64 vcc, vcc, exec
	s_branch .LBB6_6077
.LBB6_6082:                             ;   in Loop: Header=BB6_6025 Depth=2
	s_or_b64 exec, exec, s[62:63]
	s_and_saveexec_b64 vcc, s[64:65]
	s_xor_b64 vcc, exec, vcc
	s_cbranch_execz .LBB6_6084
; %bb.6083:                             ;   in Loop: Header=BB6_6025 Depth=2
	v_mov_b32_e32 v0, 1
	ds_write_b32 v0, v0
	s_trap 2
.LBB6_6084:                             ;   in Loop: Header=BB6_6025 Depth=2
	s_or_b64 exec, exec, s[60:61]
	;;#ASMSTART
	s_wakeup
	;;#ASMEND
.LBB6_6085:                             ;   in Loop: Header=BB6_6025 Depth=2
	s_or_b64 exec, exec, s[58:59]
.LBB6_6086:                             ;   in Loop: Header=BB6_6025 Depth=2
	s_andn2_saveexec_b64 vcc, s[34:35]
	s_cbranch_execz .LBB6_6088
; %bb.6087:                             ;   in Loop: Header=BB6_6025 Depth=2
	;;#ASMSTART
	s_waitcnt lgkmcnt(0) vmcnt(0)
	;;#ASMEND
	s_barrier
.LBB6_6088:                             ;   in Loop: Header=BB6_6025 Depth=2
	s_or_b64 exec, exec, vcc
.LBB6_6089:                             ;   in Loop: Header=BB6_6025 Depth=2
	s_or_b64 exec, exec, s[26:27]
	v_and_b32_e32 v2, 32, v60
	v_cmp_ne_u32_e32 vcc, 0, v2
	s_and_saveexec_b64 s[26:27], vcc
	s_cbranch_execz .LBB6_6024
; %bb.6090:                             ;   in Loop: Header=BB6_6025 Depth=2
	v_accvgpr_read_b32 v2, a12
	v_accvgpr_read_b32 v3, a13
	v_add_co_u32_e32 v2, vcc, 2, v2
	v_addc_co_u32_e32 v3, vcc, 0, v3, vcc
	v_accvgpr_write_b32 a13, v3
	v_accvgpr_read_b32 v4, a18
	v_accvgpr_write_b32 a12, v2
	v_accvgpr_read_b32 v5, a19
	flat_store_dwordx2 v[4:5], v[2:3]
	s_branch .LBB6_6024
.LBB6_6091:
	s_or_b64 exec, exec, s[40:41]
	v_readlane_b32 s28, v61, 4
	v_readlane_b32 s26, v61, 2
	;; [unrolled: 1-line block ×4, first 2 shown]
	v_accvgpr_read_b32 v18, a0
	v_accvgpr_read_b32 v31, a1
.LBB6_6092:
	v_readlane_b32 s4, v61, 0
	v_readlane_b32 s5, v61, 1
	s_or_b64 exec, exec, s[4:5]
	v_and_b32_e32 v0, 0x800, v60
	v_cmp_eq_u32_e32 vcc, 0, v0
	s_and_saveexec_b64 s[4:5], vcc
	s_cbranch_execz .LBB6_6127
; %bb.6093:
	v_and_b32_e32 v0, 48, v60
	v_cmp_ne_u32_e32 vcc, 0, v0
	s_and_saveexec_b64 s[6:7], vcc
	s_cbranch_execz .LBB6_6095
; %bb.6094:
	v_accvgpr_read_b32 v0, a10
	v_accvgpr_read_b32 v1, a11
	flat_store_dwordx2 v[0:1], a[12:13] offset:104
.LBB6_6095:
	s_or_b64 exec, exec, s[6:7]
	s_movk_i32 s6, 0x88
	v_and_b32_e32 v0, 0x88, v60
	v_cmp_eq_u32_e32 vcc, s6, v0
	s_and_saveexec_b64 s[6:7], vcc
	s_cbranch_execz .LBB6_6107
; %bb.6096:
	v_accvgpr_read_b32 v0, a12
	v_add_u32_e32 v0, 6, v0
	v_accvgpr_read_b32 v2, a14
	v_and_b32_e32 v0, 7, v0
	v_accvgpr_read_b32 v3, a15
	v_mad_u64_u32 v[0:1], s[8:9], v0, 24, v[2:3]
	v_add_co_u32_e32 v2, vcc, 8, v0
	v_addc_co_u32_e32 v3, vcc, 0, v1, vcc
	s_mov_b64 s[10:11], 0
	v_mov_b32_e32 v0, 0
	s_movk_i32 s8, 0x270e
                                        ; implicit-def: $sgpr12_sgpr13
	s_branch .LBB6_6101
.LBB6_6097:                             ;   in Loop: Header=BB6_6101 Depth=1
	s_or_b64 exec, exec, s[22:23]
	v_mov_b32_e32 v1, 0
	s_orn2_b64 s[20:21], s[20:21], exec
.LBB6_6098:                             ;   in Loop: Header=BB6_6101 Depth=1
	s_or_b64 exec, exec, s[18:19]
	s_and_b64 s[18:19], s[20:21], exec
	v_mov_b32_e32 v0, v1
.LBB6_6099:                             ;   in Loop: Header=BB6_6101 Depth=1
	s_or_b64 exec, exec, s[16:17]
	s_xor_b64 s[16:17], s[18:19], -1
	s_andn2_b64 s[12:13], s[12:13], exec
	s_and_b64 s[16:17], s[16:17], exec
	s_or_b64 s[12:13], s[12:13], s[16:17]
.LBB6_6100:                             ;   in Loop: Header=BB6_6101 Depth=1
	s_or_b64 exec, exec, s[14:15]
	s_and_b64 s[14:15], exec, s[12:13]
	s_or_b64 s[10:11], s[14:15], s[10:11]
	s_andn2_b64 exec, exec, s[10:11]
	s_cbranch_execz .LBB6_6106
.LBB6_6101:                             ; =>This Inner Loop Header: Depth=1
	flat_load_dwordx2 v[4:5], v[2:3] glc
	s_waitcnt vmcnt(0)
	s_or_b64 s[12:13], s[12:13], exec
	s_waitcnt lgkmcnt(0)
	v_cmp_ne_u64_e32 vcc, -1, v[4:5]
	s_and_saveexec_b64 s[14:15], vcc
	s_cbranch_execz .LBB6_6100
; %bb.6102:                             ;   in Loop: Header=BB6_6101 Depth=1
	v_and_b32_e32 v1, 64, v60
	v_cmp_eq_u32_e32 vcc, 0, v1
	s_mov_b64 s[18:19], 0
	s_and_saveexec_b64 s[16:17], vcc
	s_cbranch_execz .LBB6_6099
; %bb.6103:                             ;   in Loop: Header=BB6_6101 Depth=1
	v_add_u32_e32 v1, 1, v0
	v_cmp_lt_i32_e32 vcc, s8, v0
	s_mov_b64 s[20:21], -1
	s_and_saveexec_b64 s[18:19], vcc
	s_cbranch_execz .LBB6_6098
; %bb.6104:                             ;   in Loop: Header=BB6_6101 Depth=1
	s_trap 2
	ds_read_b64 v[0:1], v0
	s_waitcnt lgkmcnt(0)
	flat_load_dword v0, v[0:1] glc
	s_waitcnt vmcnt(0) lgkmcnt(0)
	buffer_invl2
	buffer_wbinvl1_vol
	v_cmp_ne_u32_e32 vcc, 0, v0
	s_and_saveexec_b64 s[22:23], vcc
	s_cbranch_execz .LBB6_6097
; %bb.6105:                             ;   in Loop: Header=BB6_6101 Depth=1
	v_or_b32_e32 v60, 64, v60
	s_xor_b64 s[20:21], exec, -1
	ds_write_b32 v0, v0
	s_trap 2
	s_branch .LBB6_6097
.LBB6_6106:
	s_or_b64 exec, exec, s[10:11]
.LBB6_6107:
	s_or_b64 exec, exec, s[6:7]
	v_and_b32_e32 v0, 0x2000, v60
	v_cmp_ne_u32_e32 vcc, 0, v0
	s_and_saveexec_b64 s[6:7], vcc
	s_cbranch_execz .LBB6_6109
; %bb.6108:
	s_trap 2
	ds_read_b64 v[0:1], v0
	buffer_load_dword v2, off, s[0:3], s33 offset:176 ; 4-byte Folded Reload
	buffer_load_dword v3, off, s[0:3], s33 offset:180 ; 4-byte Folded Reload
	s_waitcnt vmcnt(0) lgkmcnt(0)
	flat_store_dwordx2 v[2:3], v[0:1] offset:16
.LBB6_6109:
	s_or_b64 exec, exec, s[6:7]
	v_cmp_ne_u32_e32 vcc, 64, v18
	s_and_b64 exec, exec, vcc
	s_cbranch_execz .LBB6_6127
; %bb.6110:
	v_accvgpr_read_b32 v0, a2
	v_cmp_ne_u32_sdwa s[6:7], v0, v18 src0_sel:WORD_0 src1_sel:DWORD
	s_and_saveexec_b64 s[8:9], s[6:7]
	s_xor_b64 s[6:7], exec, s[8:9]
	s_cbranch_execz .LBB6_6125
; %bb.6111:
	v_and_b32_e32 v0, 63, v31
	v_cmp_eq_u32_e32 vcc, 0, v0
	s_and_saveexec_b64 s[10:11], vcc
	s_cbranch_execz .LBB6_6124
; %bb.6112:
	s_mov_b64 s[14:15], exec
	v_mbcnt_lo_u32_b32 v0, s14, 0
	v_mbcnt_hi_u32_b32 v0, s15, v0
	v_cmp_eq_u32_e32 vcc, 0, v0
	s_waitcnt vmcnt(0) lgkmcnt(0)
	buffer_wbinvl1_vol
	s_and_saveexec_b64 s[12:13], vcc
	s_cbranch_execz .LBB6_6114
; %bb.6113:
	s_bcnt1_i32_b64 s8, s[14:15]
	v_mov_b32_e32 v0, s8
	v_mov_b32_e32 v1, 0
	ds_add_u64 v0, v[0:1]
	s_trap 2
.LBB6_6114:
	s_or_b64 exec, exec, s[12:13]
	v_ashrrev_i32_e32 v0, 31, v18
	v_lshrrev_b32_e32 v0, 26, v0
	v_add_u32_e32 v0, v18, v0
	v_ashrrev_i32_e32 v0, 6, v0
	s_trap 2
	ds_read_b64 v[2:3], v0
	v_accvgpr_read_b32 v4, a16
	v_ashrrev_i32_e32 v1, 31, v0
	v_accvgpr_read_b32 v5, a17
	v_add_co_u32_e32 v0, vcc, v4, v0
	v_addc_co_u32_e32 v1, vcc, v5, v1, vcc
	s_waitcnt lgkmcnt(0)
	v_cmp_lt_u64_e32 vcc, v[2:3], v[0:1]
	s_and_saveexec_b64 s[12:13], vcc
	s_cbranch_execz .LBB6_6123
; %bb.6115:
	s_mov_b32 s8, 0
	s_mov_b64 s[14:15], 0
                                        ; implicit-def: $sgpr16_sgpr17
                                        ; implicit-def: $sgpr18_sgpr19
	s_branch .LBB6_6117
.LBB6_6116:                             ;   in Loop: Header=BB6_6117 Depth=1
	s_or_b64 exec, exec, s[24:25]
	s_and_b64 s[20:21], exec, s[22:23]
	s_or_b64 s[14:15], s[20:21], s[14:15]
	s_andn2_b64 s[16:17], s[16:17], exec
	s_and_b64 s[20:21], s[18:19], exec
	s_or_b64 s[16:17], s[16:17], s[20:21]
	s_andn2_b64 exec, exec, s[14:15]
	s_cbranch_execz .LBB6_6121
.LBB6_6117:                             ; =>This Inner Loop Header: Depth=1
	s_add_i32 s8, s8, 1
	s_cmpk_lg_i32 s8, 0x2710
	s_cselect_b64 s[20:21], -1, 0
	s_and_b64 vcc, exec, s[20:21]
                                        ; implicit-def: $sgpr24_sgpr25
	s_cbranch_vccnz .LBB6_6119
; %bb.6118:                             ;   in Loop: Header=BB6_6117 Depth=1
	s_trap 2
	ds_read_b64 v[2:3], v0
	s_andn2_b64 s[20:21], s[20:21], exec
	s_mov_b32 s8, 0
	s_mov_b64 s[24:25], -1
	s_waitcnt lgkmcnt(0)
	flat_load_dword v2, v[2:3] glc
	s_waitcnt vmcnt(0) lgkmcnt(0)
	buffer_invl2
	buffer_wbinvl1_vol
	v_cmp_eq_u32_e32 vcc, 0, v2
	s_and_b64 s[22:23], vcc, exec
	s_or_b64 s[20:21], s[20:21], s[22:23]
.LBB6_6119:                             ;   in Loop: Header=BB6_6117 Depth=1
	s_andn2_b64 s[18:19], s[18:19], exec
	s_and_b64 s[24:25], s[24:25], exec
	s_mov_b64 s[22:23], -1
	s_or_b64 s[18:19], s[18:19], s[24:25]
	s_and_saveexec_b64 s[24:25], s[20:21]
	s_cbranch_execz .LBB6_6116
; %bb.6120:                             ;   in Loop: Header=BB6_6117 Depth=1
	s_sleep 1
	s_trap 2
	ds_read_b64 v[2:3], v0
	s_andn2_b64 s[18:19], s[18:19], exec
	s_waitcnt lgkmcnt(0)
	v_cmp_ge_u64_e32 vcc, v[2:3], v[0:1]
	s_orn2_b64 s[22:23], vcc, exec
	s_branch .LBB6_6116
.LBB6_6121:
	s_or_b64 exec, exec, s[14:15]
	s_and_saveexec_b64 s[8:9], s[16:17]
	s_xor_b64 s[8:9], exec, s[8:9]
	s_cbranch_execz .LBB6_6123
; %bb.6122:
	v_mov_b32_e32 v0, 1
	ds_write_b32 v0, v0
	s_trap 2
.LBB6_6123:
	s_or_b64 exec, exec, s[12:13]
	;;#ASMSTART
	s_wakeup
	;;#ASMEND
.LBB6_6124:
	s_or_b64 exec, exec, s[10:11]
.LBB6_6125:
	s_andn2_saveexec_b64 s[6:7], s[6:7]
	s_cbranch_execz .LBB6_6127
; %bb.6126:
	s_waitcnt vmcnt(0) lgkmcnt(0)
	buffer_wbinvl1_vol
	s_barrier
.LBB6_6127:
	s_or_b64 exec, exec, s[4:5]
.LBB6_6128:
	s_andn2_saveexec_b64 s[26:27], s[26:27]
	s_cbranch_execz .LBB6_6130
; %bb.6129:
	s_getpc_b64 s[4:5]
	s_add_u32 s4, s4, __PRETTY_FUNCTION__._ZN10PrimitivesI14__hip_fp8_e4m37FuncSumIS0_E12FanSymmetricILi1EELi0E11ProtoSimpleILi2ELi2ELi0ELi4ELi0ELi0EELi0ELb0ELi0ELi0ELi0EEC2EiiPKiS9_PKvPvmhhhP15ncclDevWorkCollP14ncclDevWorkP2pii@rel32@lo+4
	s_addc_u32 s5, s5, __PRETTY_FUNCTION__._ZN10PrimitivesI14__hip_fp8_e4m37FuncSumIS0_E12FanSymmetricILi1EELi0E11ProtoSimpleILi2ELi2ELi0ELi4ELi0ELi0EELi0ELb0ELi0ELi0ELi0EEC2EiiPKiS9_PKvPvmhhhP15ncclDevWorkCollP14ncclDevWorkP2pii@rel32@hi+12
	s_mov_b64 s[8:9], s[28:29]
	v_mov_b32_e32 v0, s4
	v_mov_b32_e32 v1, s5
	s_getpc_b64 s[6:7]
	s_add_u32 s6, s6, __assert_fail@rel32@lo+4
	s_addc_u32 s7, s7, __assert_fail@rel32@hi+12
	s_swappc_b64 s[30:31], s[6:7]
	; divergent unreachable
.LBB6_6130:
	s_or_b64 exec, exec, s[26:27]
	buffer_load_dword a63, off, s[0:3], s33 ; 4-byte Folded Reload
	buffer_load_dword a62, off, s[0:3], s33 offset:4 ; 4-byte Folded Reload
	buffer_load_dword a61, off, s[0:3], s33 offset:8 ; 4-byte Folded Reload
	;; [unrolled: 1-line block ×43, first 2 shown]
	v_readlane_b32 s30, v62, 0
	v_readlane_b32 s31, v62, 1
	v_readlane_b32 s97, v63, 63
	v_readlane_b32 s96, v63, 62
	v_readlane_b32 s95, v63, 61
	v_readlane_b32 s94, v63, 60
	v_readlane_b32 s93, v63, 59
	v_readlane_b32 s92, v63, 58
	v_readlane_b32 s91, v63, 57
	v_readlane_b32 s90, v63, 56
	v_readlane_b32 s89, v63, 55
	v_readlane_b32 s88, v63, 54
	v_readlane_b32 s87, v63, 53
	v_readlane_b32 s86, v63, 52
	v_readlane_b32 s85, v63, 51
	v_readlane_b32 s84, v63, 50
	v_readlane_b32 s83, v63, 49
	v_readlane_b32 s82, v63, 48
	v_readlane_b32 s81, v63, 47
	v_readlane_b32 s80, v63, 46
	v_readlane_b32 s79, v63, 45
	v_readlane_b32 s78, v63, 44
	v_readlane_b32 s77, v63, 43
	v_readlane_b32 s76, v63, 42
	v_readlane_b32 s75, v63, 41
	v_readlane_b32 s74, v63, 40
	v_readlane_b32 s73, v63, 39
	v_readlane_b32 s72, v63, 38
	v_readlane_b32 s71, v63, 37
	v_readlane_b32 s70, v63, 36
	v_readlane_b32 s69, v63, 35
	v_readlane_b32 s68, v63, 34
	v_readlane_b32 s67, v63, 33
	v_readlane_b32 s66, v63, 32
	v_readlane_b32 s65, v63, 31
	v_readlane_b32 s64, v63, 30
	v_readlane_b32 s63, v63, 29
	v_readlane_b32 s62, v63, 28
	v_readlane_b32 s61, v63, 27
	v_readlane_b32 s60, v63, 26
	v_readlane_b32 s59, v63, 25
	v_readlane_b32 s58, v63, 24
	v_readlane_b32 s57, v63, 23
	v_readlane_b32 s56, v63, 22
	v_readlane_b32 s55, v63, 21
	v_readlane_b32 s54, v63, 20
	v_readlane_b32 s53, v63, 19
	v_readlane_b32 s52, v63, 18
	v_readlane_b32 s51, v63, 17
	v_readlane_b32 s50, v63, 16
	v_readlane_b32 s49, v63, 15
	v_readlane_b32 s48, v63, 14
	v_readlane_b32 s47, v63, 13
	v_readlane_b32 s46, v63, 12
	v_readlane_b32 s45, v63, 11
	v_readlane_b32 s44, v63, 10
	v_readlane_b32 s43, v63, 9
	v_readlane_b32 s42, v63, 8
	v_readlane_b32 s41, v63, 7
	v_readlane_b32 s40, v63, 6
	v_readlane_b32 s39, v63, 5
	v_readlane_b32 s38, v63, 4
	v_readlane_b32 s37, v63, 3
	v_readlane_b32 s36, v63, 2
	v_readlane_b32 s35, v63, 1
	v_readlane_b32 s34, v63, 0
	v_accvgpr_read_b32 v40, a9              ;  Reload Reuse
	v_readlane_b32 s4, v62, 2
	s_or_saveexec_b64 s[6:7], -1
	buffer_load_dword v63, off, s[0:3], s33 offset:184 ; 4-byte Folded Reload
	buffer_load_dword v62, off, s[0:3], s33 offset:188 ; 4-byte Folded Reload
	;; [unrolled: 1-line block ×3, first 2 shown]
	s_mov_b64 exec, s[6:7]
	s_addk_i32 s32, 0xcc00
	s_mov_b32 s33, s4
	s_waitcnt vmcnt(0) lgkmcnt(0)
	s_setpc_b64 s[30:31]
.Lfunc_end6:
	.size	_ZN12_GLOBAL__N_17runRingI14__hip_fp8_e4m37FuncSumIS1_E11ProtoSimpleILi2ELi2ELi0ELi4ELi0ELi0EELi0ELi0ELi4ELi0EEEviiP15ncclDevWorkColl, .Lfunc_end6-_ZN12_GLOBAL__N_17runRingI14__hip_fp8_e4m37FuncSumIS1_E11ProtoSimpleILi2ELi2ELi0ELi4ELi0ELi0EELi0ELi0ELi4ELi0EEEviiP15ncclDevWorkColl
                                        ; -- End function
	.section	.AMDGPU.csdata,"",@progbits
; Function info:
; codeLenInByte = 199644
; NumSgprs: 104
; NumVgprs: 64
; NumAgprs: 64
; TotalNumVgprs: 128
; ScratchSize: 272
; MemoryBound: 1
	.text
	.p2align	2                               ; -- Begin function _Z50ncclDevFunc_AllReduce_RING_SIMPLE_Sum_f8e4m3_0_0_4v
	.type	_Z50ncclDevFunc_AllReduce_RING_SIMPLE_Sum_f8e4m3_0_0_4v,@function
_Z50ncclDevFunc_AllReduce_RING_SIMPLE_Sum_f8e4m3_0_0_4v: ; @_Z50ncclDevFunc_AllReduce_RING_SIMPLE_Sum_f8e4m3_0_0_4v
; %bb.0:
	s_waitcnt vmcnt(0) expcnt(0) lgkmcnt(0)
	s_mov_b32 s4, s33
	s_mov_b32 s33, s32
	s_or_saveexec_b64 s[6:7], -1
	buffer_store_dword a32, off, s[0:3], s33 offset:20 ; 4-byte Folded Spill
	buffer_store_dword v63, off, s[0:3], s33 offset:24 ; 4-byte Folded Spill
	;; [unrolled: 1-line block ×5, first 2 shown]
	s_mov_b64 exec, s[6:7]
	v_writelane_b32 v45, s4, 6
	v_writelane_b32 v45, s100, 4
	;; [unrolled: 1-line block ×3, first 2 shown]
	s_addk_i32 s32, 0xc00
	buffer_store_dword v40, off, s[0:3], s33 offset:16 ; 4-byte Folded Spill
	buffer_store_dword v41, off, s[0:3], s33 offset:12 ; 4-byte Folded Spill
	;; [unrolled: 1-line block ×4, first 2 shown]
	buffer_store_dword v62, off, s[0:3], s33 ; 4-byte Folded Spill
	v_writelane_b32 v44, s34, 0
	v_writelane_b32 v44, s35, 1
	;; [unrolled: 1-line block ×68, first 2 shown]
	s_trap 2
	ds_read_b32 v0, v0
                                        ; implicit-def: $vgpr43 : SGPR spill to VGPR lane
	v_mov_b32_e32 v40, v31
	v_writelane_b32 v43, s12, 0
	v_writelane_b32 v43, s8, 1
	;; [unrolled: 1-line block ×3, first 2 shown]
	s_waitcnt lgkmcnt(0)
	v_cmp_gt_i32_e32 vcc, 1, v0
	s_cbranch_vccnz .LBB7_8
; %bb.1:
	s_mov_b32 s6, 0
	v_and_b32_e32 v41, 0x3ff, v40
	v_mov_b32_e32 v42, 6
	s_branch .LBB7_3
.LBB7_2:                                ;   in Loop: Header=BB7_3 Depth=1
	s_or_b64 exec, exec, s[8:9]
	s_trap 2
	ds_read_b32 v0, v0
	s_add_i32 s6, s6, 1
	s_waitcnt lgkmcnt(0)
	v_cmp_lt_i32_e32 vcc, s6, v0
	s_cbranch_vccz .LBB7_8
.LBB7_3:                                ; =>This Inner Loop Header: Depth=1
	s_trap 2
	ds_read_b32 v0, v0
	s_cmp_eq_u32 s6, 0
	s_cbranch_scc1 .LBB7_6
; %bb.4:                                ;   in Loop: Header=BB7_3 Depth=1
	s_trap 2
	s_waitcnt lgkmcnt(0)
	ds_read_b32 v1, v0
	s_waitcnt lgkmcnt(0)
	v_xor_b32_e32 v1, v1, v0
	v_and_b32_e32 v1, 0xff0000, v1
	v_cmp_eq_u32_e32 vcc, 0, v1
	s_cbranch_vccnz .LBB7_6
; %bb.5:                                ;   in Loop: Header=BB7_3 Depth=1
	s_barrier
	ds_read_b32 v0, v0
.LBB7_6:                                ;   in Loop: Header=BB7_3 Depth=1
	s_waitcnt lgkmcnt(0)
	v_lshlrev_b32_sdwa v1, v42, v0 dst_sel:DWORD dst_unused:UNUSED_PAD src0_sel:DWORD src1_sel:BYTE_2
	v_cmp_lt_u32_e32 vcc, v41, v1
	s_and_saveexec_b64 s[8:9], vcc
	s_cbranch_execz .LBB7_2
; %bb.7:                                ;   in Loop: Header=BB7_3 Depth=1
	v_writelane_b32 v43, s8, 3
	v_writelane_b32 v43, s9, 4
	v_readlane_b32 s8, v43, 1
	v_readlane_b32 s9, v43, 2
	s_mov_b64 s[10:11], src_shared_base
	s_getpc_b64 s[4:5]
	s_add_u32 s4, s4, _ZN12_GLOBAL__N_17runRingI14__hip_fp8_e4m37FuncSumIS1_E11ProtoSimpleILi2ELi2ELi0ELi4ELi0ELi0EELi0ELi0ELi4ELi0EEEviiP15ncclDevWorkColl@rel32@lo+4
	s_addc_u32 s5, s5, _ZN12_GLOBAL__N_17runRingI14__hip_fp8_e4m37FuncSumIS1_E11ProtoSimpleILi2ELi2ELi0ELi4ELi0ELi0EELi0ELi0ELi4ELi0EEEviiP15ncclDevWorkColl@rel32@hi+12
	v_readlane_b32 s12, v43, 0
	v_mov_b32_e32 v31, v40
	v_mov_b32_e32 v0, v41
	v_mov_b32_e32 v3, s11
	v_writelane_b32 v43, s6, 5
	s_or_saveexec_b64 s[100:101], -1
	v_accvgpr_write_b32 a32, v43
	s_mov_b64 exec, s[100:101]
	s_swappc_b64 s[30:31], s[4:5]
	s_or_saveexec_b64 s[100:101], -1
	v_accvgpr_read_b32 v43, a32
	s_mov_b64 exec, s[100:101]
	v_readlane_b32 s8, v43, 3
	v_readlane_b32 s9, v43, 4
	v_readlane_b32 s6, v43, 5
	s_branch .LBB7_2
.LBB7_8:
	buffer_load_dword v62, off, s[0:3], s33 ; 4-byte Folded Reload
	buffer_load_dword v61, off, s[0:3], s33 offset:4 ; 4-byte Folded Reload
	buffer_load_dword v42, off, s[0:3], s33 offset:8 ; 4-byte Folded Reload
	;; [unrolled: 1-line block ×4, first 2 shown]
	v_readlane_b32 s30, v45, 2
	v_readlane_b32 s31, v45, 3
	;; [unrolled: 1-line block ×71, first 2 shown]
	s_or_saveexec_b64 s[6:7], -1
	buffer_load_dword a32, off, s[0:3], s33 offset:20 ; 4-byte Folded Reload
	buffer_load_dword v63, off, s[0:3], s33 offset:24 ; 4-byte Folded Reload
	;; [unrolled: 1-line block ×5, first 2 shown]
	s_mov_b64 exec, s[6:7]
	s_addk_i32 s32, 0xf400
	s_mov_b32 s33, s4
	s_waitcnt vmcnt(0)
	s_setpc_b64 s[30:31]
.Lfunc_end7:
	.size	_Z50ncclDevFunc_AllReduce_RING_SIMPLE_Sum_f8e4m3_0_0_4v, .Lfunc_end7-_Z50ncclDevFunc_AllReduce_RING_SIMPLE_Sum_f8e4m3_0_0_4v
                                        ; -- End function
	.section	.AMDGPU.csdata,"",@progbits
; Function info:
; codeLenInByte = 1692
; NumSgprs: 106
; NumVgprs: 64
; NumAgprs: 64
; TotalNumVgprs: 128
; ScratchSize: 320
; MemoryBound: 0
	.text
	.p2alignl 6, 3212836864
	.fill 256, 4, 3212836864
	.type	__const.__assert_fail.fmt,@object ; @__const.__assert_fail.fmt
	.section	.rodata.str1.16,"aMS",@progbits,1
	.p2align	4, 0x0
__const.__assert_fail.fmt:
	.asciz	"%s:%u: %s: Device-side assertion `%s' failed.\n"
	.size	__const.__assert_fail.fmt, 47

	.type	.str.1,@object                  ; @.str.1
	.section	.rodata.str1.1,"aMS",@progbits,1
.str.1:
	.asciz	"2*(nrecv+nsend) <= nthreads"
	.size	.str.1, 28

	.type	.str.2,@object                  ; @.str.2
.str.2:
	.asciz	"/root/src/amdgpu-assembly/repos/ROCm__rccl/hipify/src/device/prims_simple.h"
	.size	.str.2, 76

	.type	__PRETTY_FUNCTION__._ZN10PrimitivesI14__hip_fp8_e4m37FuncSumIS0_E12FanSymmetricILi1EELi0E11ProtoSimpleILi2ELi2ELi0ELi1ELi0ELi0EELi0ELb0ELi0ELi0ELi0EEC2EiiPKiS9_PKvPvmhhhP15ncclDevWorkCollP14ncclDevWorkP2pii,@object ; @__PRETTY_FUNCTION__._ZN10PrimitivesI14__hip_fp8_e4m37FuncSumIS0_E12FanSymmetricILi1EELi0E11ProtoSimpleILi2ELi2ELi0ELi1ELi0ELi0EELi0ELb0ELi0ELi0ELi0EEC2EiiPKiS9_PKvPvmhhhP15ncclDevWorkCollP14ncclDevWorkP2pii
__PRETTY_FUNCTION__._ZN10PrimitivesI14__hip_fp8_e4m37FuncSumIS0_E12FanSymmetricILi1EELi0E11ProtoSimpleILi2ELi2ELi0ELi1ELi0ELi0EELi0ELb0ELi0ELi0ELi0EEC2EiiPKiS9_PKvPvmhhhP15ncclDevWorkCollP14ncclDevWorkP2pii:
	.asciz	"Primitives<__hip_fp8_e4m3, FuncSum<__hip_fp8_e4m3>, FanSymmetric<1>, 0, ProtoSimple<2, 2, 0, 1>, 0>::Primitives(int, int, const int *, const int *, const void *, void *, uint64_t, uint8_t, uint8_t, uint8_t, struct ncclDevWorkColl *, struct ncclDevWorkP2p *, int, int) [T = __hip_fp8_e4m3, RedOp = FuncSum<__hip_fp8_e4m3>, Fan = FanSymmetric<1>, Direct = 0, Proto = ProtoSimple<2, 2, 0, 1>, P2p = 0, isNetOffload = false, Metadata = 0, Pipeline = 0, useAcc = 0]"
	.size	__PRETTY_FUNCTION__._ZN10PrimitivesI14__hip_fp8_e4m37FuncSumIS0_E12FanSymmetricILi1EELi0E11ProtoSimpleILi2ELi2ELi0ELi1ELi0ELi0EELi0ELb0ELi0ELi0ELi0EEC2EiiPKiS9_PKvPvmhhhP15ncclDevWorkCollP14ncclDevWorkP2pii, 461

	.type	__PRETTY_FUNCTION__._ZN10PrimitivesI14__hip_fp8_e4m37FuncSumIS0_E12FanSymmetricILi1EELi0E11ProtoSimpleILi2ELi2ELi0ELi2ELi0ELi0EELi0ELb0ELi0ELi0ELi0EEC2EiiPKiS9_PKvPvmhhhP15ncclDevWorkCollP14ncclDevWorkP2pii,@object ; @__PRETTY_FUNCTION__._ZN10PrimitivesI14__hip_fp8_e4m37FuncSumIS0_E12FanSymmetricILi1EELi0E11ProtoSimpleILi2ELi2ELi0ELi2ELi0ELi0EELi0ELb0ELi0ELi0ELi0EEC2EiiPKiS9_PKvPvmhhhP15ncclDevWorkCollP14ncclDevWorkP2pii
__PRETTY_FUNCTION__._ZN10PrimitivesI14__hip_fp8_e4m37FuncSumIS0_E12FanSymmetricILi1EELi0E11ProtoSimpleILi2ELi2ELi0ELi2ELi0ELi0EELi0ELb0ELi0ELi0ELi0EEC2EiiPKiS9_PKvPvmhhhP15ncclDevWorkCollP14ncclDevWorkP2pii:
	.asciz	"Primitives<__hip_fp8_e4m3, FuncSum<__hip_fp8_e4m3>, FanSymmetric<1>, 0, ProtoSimple<2, 2, 0, 2>, 0>::Primitives(int, int, const int *, const int *, const void *, void *, uint64_t, uint8_t, uint8_t, uint8_t, struct ncclDevWorkColl *, struct ncclDevWorkP2p *, int, int) [T = __hip_fp8_e4m3, RedOp = FuncSum<__hip_fp8_e4m3>, Fan = FanSymmetric<1>, Direct = 0, Proto = ProtoSimple<2, 2, 0, 2>, P2p = 0, isNetOffload = false, Metadata = 0, Pipeline = 0, useAcc = 0]"
	.size	__PRETTY_FUNCTION__._ZN10PrimitivesI14__hip_fp8_e4m37FuncSumIS0_E12FanSymmetricILi1EELi0E11ProtoSimpleILi2ELi2ELi0ELi2ELi0ELi0EELi0ELb0ELi0ELi0ELi0EEC2EiiPKiS9_PKvPvmhhhP15ncclDevWorkCollP14ncclDevWorkP2pii, 461

	.type	__PRETTY_FUNCTION__._ZN10PrimitivesI14__hip_fp8_e4m37FuncSumIS0_E12FanSymmetricILi1EELi0E11ProtoSimpleILi2ELi2ELi0ELi4ELi0ELi0EELi0ELb0ELi0ELi0ELi0EEC2EiiPKiS9_PKvPvmhhhP15ncclDevWorkCollP14ncclDevWorkP2pii,@object ; @__PRETTY_FUNCTION__._ZN10PrimitivesI14__hip_fp8_e4m37FuncSumIS0_E12FanSymmetricILi1EELi0E11ProtoSimpleILi2ELi2ELi0ELi4ELi0ELi0EELi0ELb0ELi0ELi0ELi0EEC2EiiPKiS9_PKvPvmhhhP15ncclDevWorkCollP14ncclDevWorkP2pii
__PRETTY_FUNCTION__._ZN10PrimitivesI14__hip_fp8_e4m37FuncSumIS0_E12FanSymmetricILi1EELi0E11ProtoSimpleILi2ELi2ELi0ELi4ELi0ELi0EELi0ELb0ELi0ELi0ELi0EEC2EiiPKiS9_PKvPvmhhhP15ncclDevWorkCollP14ncclDevWorkP2pii:
	.asciz	"Primitives<__hip_fp8_e4m3, FuncSum<__hip_fp8_e4m3>, FanSymmetric<1>, 0, ProtoSimple<2, 2, 0, 4>, 0>::Primitives(int, int, const int *, const int *, const void *, void *, uint64_t, uint8_t, uint8_t, uint8_t, struct ncclDevWorkColl *, struct ncclDevWorkP2p *, int, int) [T = __hip_fp8_e4m3, RedOp = FuncSum<__hip_fp8_e4m3>, Fan = FanSymmetric<1>, Direct = 0, Proto = ProtoSimple<2, 2, 0, 4>, P2p = 0, isNetOffload = false, Metadata = 0, Pipeline = 0, useAcc = 0]"
	.size	__PRETTY_FUNCTION__._ZN10PrimitivesI14__hip_fp8_e4m37FuncSumIS0_E12FanSymmetricILi1EELi0E11ProtoSimpleILi2ELi2ELi0ELi4ELi0ELi0EELi0ELb0ELi0ELi0ELi0EEC2EiiPKiS9_PKvPvmhhhP15ncclDevWorkCollP14ncclDevWorkP2pii, 461

	.type	__hip_cuid_be3a06fa3e949080,@object ; @__hip_cuid_be3a06fa3e949080
	.section	.bss,"aw",@nobits
	.globl	__hip_cuid_be3a06fa3e949080
__hip_cuid_be3a06fa3e949080:
	.byte	0                               ; 0x0
	.size	__hip_cuid_be3a06fa3e949080, 1

	.ident	"AMD clang version 19.0.0git (https://github.com/RadeonOpenCompute/llvm-project roc-6.4.0 25133 c7fe45cf4b819c5991fe208aaa96edf142730f1d)"
	.section	".note.GNU-stack","",@progbits
	.addrsig
	.addrsig_sym _Z50ncclDevFunc_AllReduce_RING_SIMPLE_Sum_f8e4m3_0_0_1v
	.addrsig_sym _Z50ncclDevFunc_AllReduce_RING_SIMPLE_Sum_f8e4m3_0_0_2v
	.addrsig_sym _Z50ncclDevFunc_AllReduce_RING_SIMPLE_Sum_f8e4m3_0_0_4v
	.addrsig_sym ncclShmem
	.addrsig_sym __hip_cuid_be3a06fa3e949080
	.amdgpu_metadata
---
amdhsa.kernels:  []
amdhsa.target:   amdgcn-amd-amdhsa--gfx90a
amdhsa.version:
  - 1
  - 2
...

	.end_amdgpu_metadata
